;; amdgpu-corpus repo=pytorch/pytorch kind=compiled arch=gfx906 opt=O3
	.amdgcn_target "amdgcn-amd-amdhsa--gfx906"
	.amdhsa_code_object_version 6
	.section	.text._ZN2at6native29vectorized_elementwise_kernelILi16ENS0_11FillFunctorIhEESt5arrayIPcLm1EEEEviT0_T1_,"axG",@progbits,_ZN2at6native29vectorized_elementwise_kernelILi16ENS0_11FillFunctorIhEESt5arrayIPcLm1EEEEviT0_T1_,comdat
	.protected	_ZN2at6native29vectorized_elementwise_kernelILi16ENS0_11FillFunctorIhEESt5arrayIPcLm1EEEEviT0_T1_ ; -- Begin function _ZN2at6native29vectorized_elementwise_kernelILi16ENS0_11FillFunctorIhEESt5arrayIPcLm1EEEEviT0_T1_
	.globl	_ZN2at6native29vectorized_elementwise_kernelILi16ENS0_11FillFunctorIhEESt5arrayIPcLm1EEEEviT0_T1_
	.p2align	8
	.type	_ZN2at6native29vectorized_elementwise_kernelILi16ENS0_11FillFunctorIhEESt5arrayIPcLm1EEEEviT0_T1_,@function
_ZN2at6native29vectorized_elementwise_kernelILi16ENS0_11FillFunctorIhEESt5arrayIPcLm1EEEEviT0_T1_: ; @_ZN2at6native29vectorized_elementwise_kernelILi16ENS0_11FillFunctorIhEESt5arrayIPcLm1EEEEviT0_T1_
; %bb.0:
	s_load_dwordx4 s[24:27], s[4:5], 0x0
	s_lshl_b32 s28, s6, 12
	s_mov_b64 s[0:1], -1
	s_waitcnt lgkmcnt(0)
	s_sub_i32 s24, s24, s28
	s_cmpk_gt_i32 s24, 0xfff
	s_cbranch_scc0 .LBB0_2
; %bb.1:
	s_ashr_i32 s1, s28, 31
	s_add_u32 s0, s26, s28
	s_addc_u32 s1, s27, s1
	s_lshl_b32 s2, s25, 8
	s_and_b32 s3, s25, 0xff
	s_or_b32 s2, s3, s2
	s_and_b32 s3, s2, 0xffff
	s_lshl_b32 s2, s2, 16
	s_or_b32 s2, s3, s2
	v_lshlrev_b32_e32 v5, 4, v0
	v_mov_b32_e32 v1, s2
	v_mov_b32_e32 v2, s2
	;; [unrolled: 1-line block ×4, first 2 shown]
	global_store_dwordx4 v5, v[1:4], s[0:1]
	s_mov_b64 s[0:1], 0
.LBB0_2:
	s_andn2_b64 vcc, exec, s[0:1]
	s_cbranch_vccnz .LBB0_20
; %bb.3:
	v_cmp_gt_i32_e32 vcc, s24, v0
	s_and_saveexec_b64 s[0:1], vcc
	s_cbranch_execz .LBB0_20
; %bb.4:
	s_and_b32 s29, s25, 0xff
	v_mov_b32_e32 v1, s29
	v_cndmask_b32_e32 v1, 0, v1, vcc
	v_mov_b32_e32 v8, 0x7060004
	v_or_b32_e32 v18, 0x100, v0
	v_perm_b32 v2, v1, s25, v8
	v_cmp_gt_i32_e32 vcc, s24, v18
	v_cndmask_b32_e32 v2, v1, v2, vcc
	v_mov_b32_e32 v13, 0xc0c0304
	v_perm_b32 v3, s25, v2, v13
	v_or_b32_e32 v1, 0x200, v0
	v_lshlrev_b32_e32 v3, 16, v3
	s_mov_b32 s30, 0xffff
	v_and_or_b32 v3, v2, s30, v3
	v_cmp_gt_i32_e32 vcc, s24, v1
	v_cndmask_b32_e32 v2, v2, v3, vcc
	v_mov_b32_e32 v19, 0xc0c0006
	v_perm_b32 v3, v2, s25, v19
	v_or_b32_e32 v16, 0x300, v0
	v_lshlrev_b32_e32 v3, 16, v3
	v_and_or_b32 v3, v2, s30, v3
	v_cmp_gt_i32_e32 vcc, s24, v16
	v_cndmask_b32_e32 v17, v2, v3, vcc
	v_or_b32_e32 v2, s28, v0
	v_or_b32_e32 v15, 0x400, v0
	;; [unrolled: 1-line block ×12, first 2 shown]
	global_store_byte v2, v17, s[26:27]
	v_or_b32_e32 v2, 0xf00, v0
	v_cmp_gt_i32_e64 s[18:19], s24, v15
	v_cmp_gt_i32_e64 s[20:21], s24, v14
	v_cmp_gt_i32_e64 s[14:15], s24, v12
	v_cmp_gt_i32_e64 s[8:9], s24, v11
	v_cmp_gt_i32_e64 s[10:11], s24, v10
	v_cmp_gt_i32_e64 s[12:13], s24, v9
	v_cmp_gt_i32_e64 s[6:7], s24, v7
	v_cmp_gt_i32_e32 vcc, s24, v6
	v_cmp_gt_i32_e64 s[0:1], s24, v5
	v_cmp_gt_i32_e64 s[2:3], s24, v4
	;; [unrolled: 1-line block ×4, first 2 shown]
	v_cmp_gt_u32_e64 s[22:23], s24, v18
	s_and_b64 exec, exec, s[22:23]
	s_cbranch_execz .LBB0_20
; %bb.5:
	v_mov_b32_e32 v18, 0x3020104
	v_perm_b32 v20, s25, 0, v18
	v_cndmask_b32_e64 v18, 0, v20, s[18:19]
	v_perm_b32 v21, v18, s25, v8
	v_cndmask_b32_e64 v18, v18, v21, s[20:21]
	v_mov_b32_e32 v21, 0x7000504
	v_perm_b32 v22, v18, s25, v21
	v_cndmask_b32_e64 v18, v18, v22, s[14:15]
	v_mov_b32_e32 v22, 0x60504
	;; [unrolled: 3-line block ×3, first 2 shown]
	v_cndmask_b32_e64 v23, 0, v23, s[10:11]
	v_perm_b32 v24, v23, s25, v8
	v_cndmask_b32_e64 v23, v23, v24, s[12:13]
	v_perm_b32 v13, s25, v23, v13
	v_lshlrev_b32_e32 v13, 16, v13
	v_and_or_b32 v13, v23, s30, v13
	v_cndmask_b32_e64 v13, v23, v13, s[6:7]
	v_perm_b32 v19, v13, s25, v19
	v_lshlrev_b32_e32 v19, 16, v19
	v_and_or_b32 v19, v13, s30, v19
	v_cndmask_b32_e32 v13, v13, v19, vcc
	v_cndmask_b32_e64 v19, 0, v20, s[0:1]
	v_perm_b32 v8, v19, s25, v8
	v_cndmask_b32_e64 v8, v19, v8, s[2:3]
	v_perm_b32 v19, v8, s25, v21
	;; [unrolled: 2-line block ×3, first 2 shown]
	v_cndmask_b32_e64 v8, v8, v19, s[16:17]
	v_lshrrev_b32_e32 v19, 8, v17
	v_add_u32_e32 v0, s28, v0
	v_cmp_gt_u32_e32 vcc, s24, v1
	global_store_byte v0, v19, s[26:27] offset:256
	s_and_b64 exec, exec, vcc
	s_cbranch_execz .LBB0_20
; %bb.6:
	v_mov_b32_e32 v1, s27
	v_add_co_u32_e32 v0, vcc, s26, v0
	v_addc_co_u32_e32 v1, vcc, 0, v1, vcc
	v_cmp_gt_u32_e32 vcc, s24, v16
	global_store_byte_d16_hi v[0:1], v17, off offset:512
	s_and_b64 exec, exec, vcc
	s_cbranch_execz .LBB0_20
; %bb.7:
	v_lshrrev_b32_e32 v16, 24, v17
	v_cmp_gt_u32_e32 vcc, s24, v15
	global_store_byte v[0:1], v16, off offset:768
	s_and_b64 exec, exec, vcc
	s_cbranch_execz .LBB0_20
; %bb.8:
	v_cmp_gt_u32_e32 vcc, s24, v14
	global_store_byte v[0:1], v18, off offset:1024
	s_and_b64 exec, exec, vcc
	s_cbranch_execz .LBB0_20
; %bb.9:
	v_lshrrev_b32_e32 v14, 8, v18
	v_cmp_gt_u32_e32 vcc, s24, v12
	global_store_byte v[0:1], v14, off offset:1280
	s_and_b64 exec, exec, vcc
	s_cbranch_execz .LBB0_20
; %bb.10:
	v_cmp_gt_u32_e32 vcc, s24, v11
	global_store_byte_d16_hi v[0:1], v18, off offset:1536
	s_and_b64 exec, exec, vcc
	s_cbranch_execz .LBB0_20
; %bb.11:
	v_lshrrev_b32_e32 v11, 24, v18
	v_cmp_gt_u32_e32 vcc, s24, v10
	global_store_byte v[0:1], v11, off offset:1792
	s_and_b64 exec, exec, vcc
	s_cbranch_execz .LBB0_20
; %bb.12:
	v_cmp_gt_u32_e32 vcc, s24, v9
	global_store_byte v[0:1], v13, off offset:2048
	s_and_b64 exec, exec, vcc
	s_cbranch_execz .LBB0_20
; %bb.13:
	v_lshrrev_b32_e32 v9, 8, v13
	v_cmp_gt_u32_e32 vcc, s24, v7
	global_store_byte v[0:1], v9, off offset:2304
	s_and_b64 exec, exec, vcc
	s_cbranch_execz .LBB0_20
; %bb.14:
	;; [unrolled: 22-line block ×3, first 2 shown]
	v_cmp_gt_u32_e32 vcc, s24, v2
	global_store_byte_d16_hi v[0:1], v8, off offset:3584
	s_and_b64 exec, exec, vcc
	s_cbranch_execz .LBB0_20
; %bb.19:
	v_lshrrev_b32_e32 v2, 24, v8
	global_store_byte v[0:1], v2, off offset:3840
.LBB0_20:
	s_endpgm
	.section	.rodata,"a",@progbits
	.p2align	6, 0x0
	.amdhsa_kernel _ZN2at6native29vectorized_elementwise_kernelILi16ENS0_11FillFunctorIhEESt5arrayIPcLm1EEEEviT0_T1_
		.amdhsa_group_segment_fixed_size 0
		.amdhsa_private_segment_fixed_size 0
		.amdhsa_kernarg_size 16
		.amdhsa_user_sgpr_count 6
		.amdhsa_user_sgpr_private_segment_buffer 1
		.amdhsa_user_sgpr_dispatch_ptr 0
		.amdhsa_user_sgpr_queue_ptr 0
		.amdhsa_user_sgpr_kernarg_segment_ptr 1
		.amdhsa_user_sgpr_dispatch_id 0
		.amdhsa_user_sgpr_flat_scratch_init 0
		.amdhsa_user_sgpr_private_segment_size 0
		.amdhsa_uses_dynamic_stack 0
		.amdhsa_system_sgpr_private_segment_wavefront_offset 0
		.amdhsa_system_sgpr_workgroup_id_x 1
		.amdhsa_system_sgpr_workgroup_id_y 0
		.amdhsa_system_sgpr_workgroup_id_z 0
		.amdhsa_system_sgpr_workgroup_info 0
		.amdhsa_system_vgpr_workitem_id 0
		.amdhsa_next_free_vgpr 25
		.amdhsa_next_free_sgpr 31
		.amdhsa_reserve_vcc 1
		.amdhsa_reserve_flat_scratch 0
		.amdhsa_float_round_mode_32 0
		.amdhsa_float_round_mode_16_64 0
		.amdhsa_float_denorm_mode_32 3
		.amdhsa_float_denorm_mode_16_64 3
		.amdhsa_dx10_clamp 1
		.amdhsa_ieee_mode 1
		.amdhsa_fp16_overflow 0
		.amdhsa_exception_fp_ieee_invalid_op 0
		.amdhsa_exception_fp_denorm_src 0
		.amdhsa_exception_fp_ieee_div_zero 0
		.amdhsa_exception_fp_ieee_overflow 0
		.amdhsa_exception_fp_ieee_underflow 0
		.amdhsa_exception_fp_ieee_inexact 0
		.amdhsa_exception_int_div_zero 0
	.end_amdhsa_kernel
	.section	.text._ZN2at6native29vectorized_elementwise_kernelILi16ENS0_11FillFunctorIhEESt5arrayIPcLm1EEEEviT0_T1_,"axG",@progbits,_ZN2at6native29vectorized_elementwise_kernelILi16ENS0_11FillFunctorIhEESt5arrayIPcLm1EEEEviT0_T1_,comdat
.Lfunc_end0:
	.size	_ZN2at6native29vectorized_elementwise_kernelILi16ENS0_11FillFunctorIhEESt5arrayIPcLm1EEEEviT0_T1_, .Lfunc_end0-_ZN2at6native29vectorized_elementwise_kernelILi16ENS0_11FillFunctorIhEESt5arrayIPcLm1EEEEviT0_T1_
                                        ; -- End function
	.set _ZN2at6native29vectorized_elementwise_kernelILi16ENS0_11FillFunctorIhEESt5arrayIPcLm1EEEEviT0_T1_.num_vgpr, 25
	.set _ZN2at6native29vectorized_elementwise_kernelILi16ENS0_11FillFunctorIhEESt5arrayIPcLm1EEEEviT0_T1_.num_agpr, 0
	.set _ZN2at6native29vectorized_elementwise_kernelILi16ENS0_11FillFunctorIhEESt5arrayIPcLm1EEEEviT0_T1_.numbered_sgpr, 31
	.set _ZN2at6native29vectorized_elementwise_kernelILi16ENS0_11FillFunctorIhEESt5arrayIPcLm1EEEEviT0_T1_.num_named_barrier, 0
	.set _ZN2at6native29vectorized_elementwise_kernelILi16ENS0_11FillFunctorIhEESt5arrayIPcLm1EEEEviT0_T1_.private_seg_size, 0
	.set _ZN2at6native29vectorized_elementwise_kernelILi16ENS0_11FillFunctorIhEESt5arrayIPcLm1EEEEviT0_T1_.uses_vcc, 1
	.set _ZN2at6native29vectorized_elementwise_kernelILi16ENS0_11FillFunctorIhEESt5arrayIPcLm1EEEEviT0_T1_.uses_flat_scratch, 0
	.set _ZN2at6native29vectorized_elementwise_kernelILi16ENS0_11FillFunctorIhEESt5arrayIPcLm1EEEEviT0_T1_.has_dyn_sized_stack, 0
	.set _ZN2at6native29vectorized_elementwise_kernelILi16ENS0_11FillFunctorIhEESt5arrayIPcLm1EEEEviT0_T1_.has_recursion, 0
	.set _ZN2at6native29vectorized_elementwise_kernelILi16ENS0_11FillFunctorIhEESt5arrayIPcLm1EEEEviT0_T1_.has_indirect_call, 0
	.section	.AMDGPU.csdata,"",@progbits
; Kernel info:
; codeLenInByte = 1052
; TotalNumSgprs: 35
; NumVgprs: 25
; ScratchSize: 0
; MemoryBound: 0
; FloatMode: 240
; IeeeMode: 1
; LDSByteSize: 0 bytes/workgroup (compile time only)
; SGPRBlocks: 4
; VGPRBlocks: 6
; NumSGPRsForWavesPerEU: 35
; NumVGPRsForWavesPerEU: 25
; Occupancy: 9
; WaveLimiterHint : 0
; COMPUTE_PGM_RSRC2:SCRATCH_EN: 0
; COMPUTE_PGM_RSRC2:USER_SGPR: 6
; COMPUTE_PGM_RSRC2:TRAP_HANDLER: 0
; COMPUTE_PGM_RSRC2:TGID_X_EN: 1
; COMPUTE_PGM_RSRC2:TGID_Y_EN: 0
; COMPUTE_PGM_RSRC2:TGID_Z_EN: 0
; COMPUTE_PGM_RSRC2:TIDIG_COMP_CNT: 0
	.section	.text._ZN2at6native29vectorized_elementwise_kernelILi8ENS0_11FillFunctorIhEESt5arrayIPcLm1EEEEviT0_T1_,"axG",@progbits,_ZN2at6native29vectorized_elementwise_kernelILi8ENS0_11FillFunctorIhEESt5arrayIPcLm1EEEEviT0_T1_,comdat
	.protected	_ZN2at6native29vectorized_elementwise_kernelILi8ENS0_11FillFunctorIhEESt5arrayIPcLm1EEEEviT0_T1_ ; -- Begin function _ZN2at6native29vectorized_elementwise_kernelILi8ENS0_11FillFunctorIhEESt5arrayIPcLm1EEEEviT0_T1_
	.globl	_ZN2at6native29vectorized_elementwise_kernelILi8ENS0_11FillFunctorIhEESt5arrayIPcLm1EEEEviT0_T1_
	.p2align	8
	.type	_ZN2at6native29vectorized_elementwise_kernelILi8ENS0_11FillFunctorIhEESt5arrayIPcLm1EEEEviT0_T1_,@function
_ZN2at6native29vectorized_elementwise_kernelILi8ENS0_11FillFunctorIhEESt5arrayIPcLm1EEEEviT0_T1_: ; @_ZN2at6native29vectorized_elementwise_kernelILi8ENS0_11FillFunctorIhEESt5arrayIPcLm1EEEEviT0_T1_
; %bb.0:
	s_load_dwordx4 s[24:27], s[4:5], 0x0
	s_lshl_b32 s28, s6, 12
	s_mov_b64 s[0:1], -1
	s_waitcnt lgkmcnt(0)
	s_sub_i32 s24, s24, s28
	s_cmpk_gt_i32 s24, 0xfff
	s_cbranch_scc0 .LBB1_2
; %bb.1:
	s_lshl_b32 s0, s25, 8
	s_and_b32 s1, s25, 0xff
	s_or_b32 s0, s1, s0
	s_and_b32 s1, s0, 0xffff
	s_lshl_b32 s0, s0, 16
	s_or_b32 s0, s1, s0
	s_mov_b32 s1, s0
	s_ashr_i32 s3, s28, 31
	s_add_u32 s2, s26, s28
	v_mov_b32_e32 v2, s1
	s_addc_u32 s3, s27, s3
	v_lshlrev_b32_e32 v3, 3, v0
	v_mov_b32_e32 v1, s0
	global_store_dwordx2 v3, v[1:2], s[2:3]
	global_store_dwordx2 v3, v[1:2], s[2:3] offset:2048
	s_mov_b64 s[0:1], 0
.LBB1_2:
	s_andn2_b64 vcc, exec, s[0:1]
	s_cbranch_vccnz .LBB1_20
; %bb.3:
	v_cmp_gt_i32_e32 vcc, s24, v0
	s_and_saveexec_b64 s[0:1], vcc
	s_cbranch_execz .LBB1_20
; %bb.4:
	s_and_b32 s29, s25, 0xff
	v_mov_b32_e32 v1, s29
	v_cndmask_b32_e32 v1, 0, v1, vcc
	v_mov_b32_e32 v8, 0x7060004
	v_or_b32_e32 v18, 0x100, v0
	v_perm_b32 v2, v1, s25, v8
	v_cmp_gt_i32_e32 vcc, s24, v18
	v_cndmask_b32_e32 v2, v1, v2, vcc
	v_mov_b32_e32 v13, 0xc0c0304
	v_perm_b32 v3, s25, v2, v13
	v_or_b32_e32 v1, 0x200, v0
	v_lshlrev_b32_e32 v3, 16, v3
	s_mov_b32 s30, 0xffff
	v_and_or_b32 v3, v2, s30, v3
	v_cmp_gt_i32_e32 vcc, s24, v1
	v_cndmask_b32_e32 v2, v2, v3, vcc
	v_mov_b32_e32 v19, 0xc0c0006
	v_perm_b32 v3, v2, s25, v19
	v_or_b32_e32 v16, 0x300, v0
	v_lshlrev_b32_e32 v3, 16, v3
	v_and_or_b32 v3, v2, s30, v3
	v_cmp_gt_i32_e32 vcc, s24, v16
	v_cndmask_b32_e32 v17, v2, v3, vcc
	v_or_b32_e32 v2, s28, v0
	v_or_b32_e32 v15, 0x400, v0
	;; [unrolled: 1-line block ×12, first 2 shown]
	global_store_byte v2, v17, s[26:27]
	v_or_b32_e32 v2, 0xf00, v0
	v_cmp_gt_i32_e64 s[18:19], s24, v15
	v_cmp_gt_i32_e64 s[20:21], s24, v14
	;; [unrolled: 1-line block ×7, first 2 shown]
	v_cmp_gt_i32_e32 vcc, s24, v6
	v_cmp_gt_i32_e64 s[0:1], s24, v5
	v_cmp_gt_i32_e64 s[2:3], s24, v4
	;; [unrolled: 1-line block ×4, first 2 shown]
	v_cmp_gt_u32_e64 s[22:23], s24, v18
	s_and_b64 exec, exec, s[22:23]
	s_cbranch_execz .LBB1_20
; %bb.5:
	v_mov_b32_e32 v18, 0x3020104
	v_perm_b32 v20, s25, 0, v18
	v_cndmask_b32_e64 v18, 0, v20, s[18:19]
	v_perm_b32 v21, v18, s25, v8
	v_cndmask_b32_e64 v18, v18, v21, s[20:21]
	v_mov_b32_e32 v21, 0x7000504
	v_perm_b32 v22, v18, s25, v21
	v_cndmask_b32_e64 v18, v18, v22, s[14:15]
	v_mov_b32_e32 v22, 0x60504
	;; [unrolled: 3-line block ×3, first 2 shown]
	v_cndmask_b32_e64 v23, 0, v23, s[10:11]
	v_perm_b32 v24, v23, s25, v8
	v_cndmask_b32_e64 v23, v23, v24, s[12:13]
	v_perm_b32 v13, s25, v23, v13
	v_lshlrev_b32_e32 v13, 16, v13
	v_and_or_b32 v13, v23, s30, v13
	v_cndmask_b32_e64 v13, v23, v13, s[6:7]
	v_perm_b32 v19, v13, s25, v19
	v_lshlrev_b32_e32 v19, 16, v19
	v_and_or_b32 v19, v13, s30, v19
	v_cndmask_b32_e32 v13, v13, v19, vcc
	v_cndmask_b32_e64 v19, 0, v20, s[0:1]
	v_perm_b32 v8, v19, s25, v8
	v_cndmask_b32_e64 v8, v19, v8, s[2:3]
	v_perm_b32 v19, v8, s25, v21
	v_cndmask_b32_e64 v8, v8, v19, s[4:5]
	v_perm_b32 v19, v8, s25, v22
	v_cndmask_b32_e64 v8, v8, v19, s[16:17]
	v_lshrrev_b32_e32 v19, 8, v17
	v_add_u32_e32 v0, s28, v0
	v_cmp_gt_u32_e32 vcc, s24, v1
	global_store_byte v0, v19, s[26:27] offset:256
	s_and_b64 exec, exec, vcc
	s_cbranch_execz .LBB1_20
; %bb.6:
	v_mov_b32_e32 v1, s27
	v_add_co_u32_e32 v0, vcc, s26, v0
	v_addc_co_u32_e32 v1, vcc, 0, v1, vcc
	v_cmp_gt_u32_e32 vcc, s24, v16
	global_store_byte_d16_hi v[0:1], v17, off offset:512
	s_and_b64 exec, exec, vcc
	s_cbranch_execz .LBB1_20
; %bb.7:
	v_lshrrev_b32_e32 v16, 24, v17
	v_cmp_gt_u32_e32 vcc, s24, v15
	global_store_byte v[0:1], v16, off offset:768
	s_and_b64 exec, exec, vcc
	s_cbranch_execz .LBB1_20
; %bb.8:
	v_cmp_gt_u32_e32 vcc, s24, v14
	global_store_byte v[0:1], v18, off offset:1024
	s_and_b64 exec, exec, vcc
	s_cbranch_execz .LBB1_20
; %bb.9:
	v_lshrrev_b32_e32 v14, 8, v18
	v_cmp_gt_u32_e32 vcc, s24, v12
	global_store_byte v[0:1], v14, off offset:1280
	s_and_b64 exec, exec, vcc
	s_cbranch_execz .LBB1_20
; %bb.10:
	v_cmp_gt_u32_e32 vcc, s24, v11
	global_store_byte_d16_hi v[0:1], v18, off offset:1536
	s_and_b64 exec, exec, vcc
	s_cbranch_execz .LBB1_20
; %bb.11:
	v_lshrrev_b32_e32 v11, 24, v18
	v_cmp_gt_u32_e32 vcc, s24, v10
	global_store_byte v[0:1], v11, off offset:1792
	s_and_b64 exec, exec, vcc
	s_cbranch_execz .LBB1_20
; %bb.12:
	v_cmp_gt_u32_e32 vcc, s24, v9
	global_store_byte v[0:1], v13, off offset:2048
	s_and_b64 exec, exec, vcc
	s_cbranch_execz .LBB1_20
; %bb.13:
	v_lshrrev_b32_e32 v9, 8, v13
	v_cmp_gt_u32_e32 vcc, s24, v7
	global_store_byte v[0:1], v9, off offset:2304
	s_and_b64 exec, exec, vcc
	s_cbranch_execz .LBB1_20
; %bb.14:
	;; [unrolled: 22-line block ×3, first 2 shown]
	v_cmp_gt_u32_e32 vcc, s24, v2
	global_store_byte_d16_hi v[0:1], v8, off offset:3584
	s_and_b64 exec, exec, vcc
	s_cbranch_execz .LBB1_20
; %bb.19:
	v_lshrrev_b32_e32 v2, 24, v8
	global_store_byte v[0:1], v2, off offset:3840
.LBB1_20:
	s_endpgm
	.section	.rodata,"a",@progbits
	.p2align	6, 0x0
	.amdhsa_kernel _ZN2at6native29vectorized_elementwise_kernelILi8ENS0_11FillFunctorIhEESt5arrayIPcLm1EEEEviT0_T1_
		.amdhsa_group_segment_fixed_size 0
		.amdhsa_private_segment_fixed_size 0
		.amdhsa_kernarg_size 16
		.amdhsa_user_sgpr_count 6
		.amdhsa_user_sgpr_private_segment_buffer 1
		.amdhsa_user_sgpr_dispatch_ptr 0
		.amdhsa_user_sgpr_queue_ptr 0
		.amdhsa_user_sgpr_kernarg_segment_ptr 1
		.amdhsa_user_sgpr_dispatch_id 0
		.amdhsa_user_sgpr_flat_scratch_init 0
		.amdhsa_user_sgpr_private_segment_size 0
		.amdhsa_uses_dynamic_stack 0
		.amdhsa_system_sgpr_private_segment_wavefront_offset 0
		.amdhsa_system_sgpr_workgroup_id_x 1
		.amdhsa_system_sgpr_workgroup_id_y 0
		.amdhsa_system_sgpr_workgroup_id_z 0
		.amdhsa_system_sgpr_workgroup_info 0
		.amdhsa_system_vgpr_workitem_id 0
		.amdhsa_next_free_vgpr 25
		.amdhsa_next_free_sgpr 31
		.amdhsa_reserve_vcc 1
		.amdhsa_reserve_flat_scratch 0
		.amdhsa_float_round_mode_32 0
		.amdhsa_float_round_mode_16_64 0
		.amdhsa_float_denorm_mode_32 3
		.amdhsa_float_denorm_mode_16_64 3
		.amdhsa_dx10_clamp 1
		.amdhsa_ieee_mode 1
		.amdhsa_fp16_overflow 0
		.amdhsa_exception_fp_ieee_invalid_op 0
		.amdhsa_exception_fp_denorm_src 0
		.amdhsa_exception_fp_ieee_div_zero 0
		.amdhsa_exception_fp_ieee_overflow 0
		.amdhsa_exception_fp_ieee_underflow 0
		.amdhsa_exception_fp_ieee_inexact 0
		.amdhsa_exception_int_div_zero 0
	.end_amdhsa_kernel
	.section	.text._ZN2at6native29vectorized_elementwise_kernelILi8ENS0_11FillFunctorIhEESt5arrayIPcLm1EEEEviT0_T1_,"axG",@progbits,_ZN2at6native29vectorized_elementwise_kernelILi8ENS0_11FillFunctorIhEESt5arrayIPcLm1EEEEviT0_T1_,comdat
.Lfunc_end1:
	.size	_ZN2at6native29vectorized_elementwise_kernelILi8ENS0_11FillFunctorIhEESt5arrayIPcLm1EEEEviT0_T1_, .Lfunc_end1-_ZN2at6native29vectorized_elementwise_kernelILi8ENS0_11FillFunctorIhEESt5arrayIPcLm1EEEEviT0_T1_
                                        ; -- End function
	.set _ZN2at6native29vectorized_elementwise_kernelILi8ENS0_11FillFunctorIhEESt5arrayIPcLm1EEEEviT0_T1_.num_vgpr, 25
	.set _ZN2at6native29vectorized_elementwise_kernelILi8ENS0_11FillFunctorIhEESt5arrayIPcLm1EEEEviT0_T1_.num_agpr, 0
	.set _ZN2at6native29vectorized_elementwise_kernelILi8ENS0_11FillFunctorIhEESt5arrayIPcLm1EEEEviT0_T1_.numbered_sgpr, 31
	.set _ZN2at6native29vectorized_elementwise_kernelILi8ENS0_11FillFunctorIhEESt5arrayIPcLm1EEEEviT0_T1_.num_named_barrier, 0
	.set _ZN2at6native29vectorized_elementwise_kernelILi8ENS0_11FillFunctorIhEESt5arrayIPcLm1EEEEviT0_T1_.private_seg_size, 0
	.set _ZN2at6native29vectorized_elementwise_kernelILi8ENS0_11FillFunctorIhEESt5arrayIPcLm1EEEEviT0_T1_.uses_vcc, 1
	.set _ZN2at6native29vectorized_elementwise_kernelILi8ENS0_11FillFunctorIhEESt5arrayIPcLm1EEEEviT0_T1_.uses_flat_scratch, 0
	.set _ZN2at6native29vectorized_elementwise_kernelILi8ENS0_11FillFunctorIhEESt5arrayIPcLm1EEEEviT0_T1_.has_dyn_sized_stack, 0
	.set _ZN2at6native29vectorized_elementwise_kernelILi8ENS0_11FillFunctorIhEESt5arrayIPcLm1EEEEviT0_T1_.has_recursion, 0
	.set _ZN2at6native29vectorized_elementwise_kernelILi8ENS0_11FillFunctorIhEESt5arrayIPcLm1EEEEviT0_T1_.has_indirect_call, 0
	.section	.AMDGPU.csdata,"",@progbits
; Kernel info:
; codeLenInByte = 1056
; TotalNumSgprs: 35
; NumVgprs: 25
; ScratchSize: 0
; MemoryBound: 0
; FloatMode: 240
; IeeeMode: 1
; LDSByteSize: 0 bytes/workgroup (compile time only)
; SGPRBlocks: 4
; VGPRBlocks: 6
; NumSGPRsForWavesPerEU: 35
; NumVGPRsForWavesPerEU: 25
; Occupancy: 9
; WaveLimiterHint : 1
; COMPUTE_PGM_RSRC2:SCRATCH_EN: 0
; COMPUTE_PGM_RSRC2:USER_SGPR: 6
; COMPUTE_PGM_RSRC2:TRAP_HANDLER: 0
; COMPUTE_PGM_RSRC2:TGID_X_EN: 1
; COMPUTE_PGM_RSRC2:TGID_Y_EN: 0
; COMPUTE_PGM_RSRC2:TGID_Z_EN: 0
; COMPUTE_PGM_RSRC2:TIDIG_COMP_CNT: 0
	.section	.text._ZN2at6native29vectorized_elementwise_kernelILi4ENS0_11FillFunctorIhEESt5arrayIPcLm1EEEEviT0_T1_,"axG",@progbits,_ZN2at6native29vectorized_elementwise_kernelILi4ENS0_11FillFunctorIhEESt5arrayIPcLm1EEEEviT0_T1_,comdat
	.protected	_ZN2at6native29vectorized_elementwise_kernelILi4ENS0_11FillFunctorIhEESt5arrayIPcLm1EEEEviT0_T1_ ; -- Begin function _ZN2at6native29vectorized_elementwise_kernelILi4ENS0_11FillFunctorIhEESt5arrayIPcLm1EEEEviT0_T1_
	.globl	_ZN2at6native29vectorized_elementwise_kernelILi4ENS0_11FillFunctorIhEESt5arrayIPcLm1EEEEviT0_T1_
	.p2align	8
	.type	_ZN2at6native29vectorized_elementwise_kernelILi4ENS0_11FillFunctorIhEESt5arrayIPcLm1EEEEviT0_T1_,@function
_ZN2at6native29vectorized_elementwise_kernelILi4ENS0_11FillFunctorIhEESt5arrayIPcLm1EEEEviT0_T1_: ; @_ZN2at6native29vectorized_elementwise_kernelILi4ENS0_11FillFunctorIhEESt5arrayIPcLm1EEEEviT0_T1_
; %bb.0:
	s_load_dwordx4 s[24:27], s[4:5], 0x0
	s_lshl_b32 s28, s6, 12
	s_mov_b64 s[0:1], -1
	s_waitcnt lgkmcnt(0)
	s_sub_i32 s24, s24, s28
	s_cmpk_gt_i32 s24, 0xfff
	s_cbranch_scc0 .LBB2_2
; %bb.1:
	s_lshl_b32 s0, s25, 8
	s_and_b32 s1, s25, 0xff
	s_or_b32 s0, s1, s0
	s_and_b32 s1, s0, 0xffff
	s_lshl_b32 s0, s0, 16
	s_or_b32 s2, s1, s0
	s_ashr_i32 s1, s28, 31
	s_add_u32 s0, s26, s28
	s_addc_u32 s1, s27, s1
	v_lshlrev_b32_e32 v1, 2, v0
	v_mov_b32_e32 v2, s2
	global_store_dword v1, v2, s[0:1]
	global_store_dword v1, v2, s[0:1] offset:1024
	global_store_dword v1, v2, s[0:1] offset:2048
	;; [unrolled: 1-line block ×3, first 2 shown]
	s_mov_b64 s[0:1], 0
.LBB2_2:
	s_andn2_b64 vcc, exec, s[0:1]
	s_cbranch_vccnz .LBB2_20
; %bb.3:
	v_cmp_gt_i32_e32 vcc, s24, v0
	s_and_saveexec_b64 s[0:1], vcc
	s_cbranch_execz .LBB2_20
; %bb.4:
	s_and_b32 s29, s25, 0xff
	v_mov_b32_e32 v1, s29
	v_cndmask_b32_e32 v1, 0, v1, vcc
	v_mov_b32_e32 v8, 0x7060004
	v_or_b32_e32 v18, 0x100, v0
	v_perm_b32 v2, v1, s25, v8
	v_cmp_gt_i32_e32 vcc, s24, v18
	v_cndmask_b32_e32 v2, v1, v2, vcc
	v_mov_b32_e32 v13, 0xc0c0304
	v_perm_b32 v3, s25, v2, v13
	v_or_b32_e32 v1, 0x200, v0
	v_lshlrev_b32_e32 v3, 16, v3
	s_mov_b32 s30, 0xffff
	v_and_or_b32 v3, v2, s30, v3
	v_cmp_gt_i32_e32 vcc, s24, v1
	v_cndmask_b32_e32 v2, v2, v3, vcc
	v_mov_b32_e32 v19, 0xc0c0006
	v_perm_b32 v3, v2, s25, v19
	v_or_b32_e32 v16, 0x300, v0
	v_lshlrev_b32_e32 v3, 16, v3
	v_and_or_b32 v3, v2, s30, v3
	v_cmp_gt_i32_e32 vcc, s24, v16
	v_cndmask_b32_e32 v17, v2, v3, vcc
	v_or_b32_e32 v2, s28, v0
	v_or_b32_e32 v15, 0x400, v0
	v_or_b32_e32 v14, 0x500, v0
	v_or_b32_e32 v12, 0x600, v0
	v_or_b32_e32 v11, 0x700, v0
	v_or_b32_e32 v10, 0x800, v0
	v_or_b32_e32 v9, 0x900, v0
	v_or_b32_e32 v7, 0xa00, v0
	v_or_b32_e32 v6, 0xb00, v0
	v_or_b32_e32 v5, 0xc00, v0
	v_or_b32_e32 v4, 0xd00, v0
	v_or_b32_e32 v3, 0xe00, v0
	global_store_byte v2, v17, s[26:27]
	v_or_b32_e32 v2, 0xf00, v0
	v_cmp_gt_i32_e64 s[18:19], s24, v15
	v_cmp_gt_i32_e64 s[20:21], s24, v14
	;; [unrolled: 1-line block ×7, first 2 shown]
	v_cmp_gt_i32_e32 vcc, s24, v6
	v_cmp_gt_i32_e64 s[0:1], s24, v5
	v_cmp_gt_i32_e64 s[2:3], s24, v4
	v_cmp_gt_i32_e64 s[4:5], s24, v3
	v_cmp_gt_i32_e64 s[16:17], s24, v2
	v_cmp_gt_u32_e64 s[22:23], s24, v18
	s_and_b64 exec, exec, s[22:23]
	s_cbranch_execz .LBB2_20
; %bb.5:
	v_mov_b32_e32 v18, 0x3020104
	v_perm_b32 v20, s25, 0, v18
	v_cndmask_b32_e64 v18, 0, v20, s[18:19]
	v_perm_b32 v21, v18, s25, v8
	v_cndmask_b32_e64 v18, v18, v21, s[20:21]
	v_mov_b32_e32 v21, 0x7000504
	v_perm_b32 v22, v18, s25, v21
	v_cndmask_b32_e64 v18, v18, v22, s[14:15]
	v_mov_b32_e32 v22, 0x60504
	;; [unrolled: 3-line block ×3, first 2 shown]
	v_cndmask_b32_e64 v23, 0, v23, s[10:11]
	v_perm_b32 v24, v23, s25, v8
	v_cndmask_b32_e64 v23, v23, v24, s[12:13]
	v_perm_b32 v13, s25, v23, v13
	v_lshlrev_b32_e32 v13, 16, v13
	v_and_or_b32 v13, v23, s30, v13
	v_cndmask_b32_e64 v13, v23, v13, s[6:7]
	v_perm_b32 v19, v13, s25, v19
	v_lshlrev_b32_e32 v19, 16, v19
	v_and_or_b32 v19, v13, s30, v19
	v_cndmask_b32_e32 v13, v13, v19, vcc
	v_cndmask_b32_e64 v19, 0, v20, s[0:1]
	v_perm_b32 v8, v19, s25, v8
	v_cndmask_b32_e64 v8, v19, v8, s[2:3]
	v_perm_b32 v19, v8, s25, v21
	;; [unrolled: 2-line block ×3, first 2 shown]
	v_cndmask_b32_e64 v8, v8, v19, s[16:17]
	v_lshrrev_b32_e32 v19, 8, v17
	v_add_u32_e32 v0, s28, v0
	v_cmp_gt_u32_e32 vcc, s24, v1
	global_store_byte v0, v19, s[26:27] offset:256
	s_and_b64 exec, exec, vcc
	s_cbranch_execz .LBB2_20
; %bb.6:
	v_mov_b32_e32 v1, s27
	v_add_co_u32_e32 v0, vcc, s26, v0
	v_addc_co_u32_e32 v1, vcc, 0, v1, vcc
	v_cmp_gt_u32_e32 vcc, s24, v16
	global_store_byte_d16_hi v[0:1], v17, off offset:512
	s_and_b64 exec, exec, vcc
	s_cbranch_execz .LBB2_20
; %bb.7:
	v_lshrrev_b32_e32 v16, 24, v17
	v_cmp_gt_u32_e32 vcc, s24, v15
	global_store_byte v[0:1], v16, off offset:768
	s_and_b64 exec, exec, vcc
	s_cbranch_execz .LBB2_20
; %bb.8:
	v_cmp_gt_u32_e32 vcc, s24, v14
	global_store_byte v[0:1], v18, off offset:1024
	s_and_b64 exec, exec, vcc
	s_cbranch_execz .LBB2_20
; %bb.9:
	v_lshrrev_b32_e32 v14, 8, v18
	v_cmp_gt_u32_e32 vcc, s24, v12
	global_store_byte v[0:1], v14, off offset:1280
	s_and_b64 exec, exec, vcc
	s_cbranch_execz .LBB2_20
; %bb.10:
	v_cmp_gt_u32_e32 vcc, s24, v11
	global_store_byte_d16_hi v[0:1], v18, off offset:1536
	s_and_b64 exec, exec, vcc
	s_cbranch_execz .LBB2_20
; %bb.11:
	v_lshrrev_b32_e32 v11, 24, v18
	v_cmp_gt_u32_e32 vcc, s24, v10
	global_store_byte v[0:1], v11, off offset:1792
	s_and_b64 exec, exec, vcc
	s_cbranch_execz .LBB2_20
; %bb.12:
	v_cmp_gt_u32_e32 vcc, s24, v9
	global_store_byte v[0:1], v13, off offset:2048
	s_and_b64 exec, exec, vcc
	s_cbranch_execz .LBB2_20
; %bb.13:
	v_lshrrev_b32_e32 v9, 8, v13
	v_cmp_gt_u32_e32 vcc, s24, v7
	global_store_byte v[0:1], v9, off offset:2304
	s_and_b64 exec, exec, vcc
	s_cbranch_execz .LBB2_20
; %bb.14:
	;; [unrolled: 22-line block ×3, first 2 shown]
	v_cmp_gt_u32_e32 vcc, s24, v2
	global_store_byte_d16_hi v[0:1], v8, off offset:3584
	s_and_b64 exec, exec, vcc
	s_cbranch_execz .LBB2_20
; %bb.19:
	v_lshrrev_b32_e32 v2, 24, v8
	global_store_byte v[0:1], v2, off offset:3840
.LBB2_20:
	s_endpgm
	.section	.rodata,"a",@progbits
	.p2align	6, 0x0
	.amdhsa_kernel _ZN2at6native29vectorized_elementwise_kernelILi4ENS0_11FillFunctorIhEESt5arrayIPcLm1EEEEviT0_T1_
		.amdhsa_group_segment_fixed_size 0
		.amdhsa_private_segment_fixed_size 0
		.amdhsa_kernarg_size 16
		.amdhsa_user_sgpr_count 6
		.amdhsa_user_sgpr_private_segment_buffer 1
		.amdhsa_user_sgpr_dispatch_ptr 0
		.amdhsa_user_sgpr_queue_ptr 0
		.amdhsa_user_sgpr_kernarg_segment_ptr 1
		.amdhsa_user_sgpr_dispatch_id 0
		.amdhsa_user_sgpr_flat_scratch_init 0
		.amdhsa_user_sgpr_private_segment_size 0
		.amdhsa_uses_dynamic_stack 0
		.amdhsa_system_sgpr_private_segment_wavefront_offset 0
		.amdhsa_system_sgpr_workgroup_id_x 1
		.amdhsa_system_sgpr_workgroup_id_y 0
		.amdhsa_system_sgpr_workgroup_id_z 0
		.amdhsa_system_sgpr_workgroup_info 0
		.amdhsa_system_vgpr_workitem_id 0
		.amdhsa_next_free_vgpr 25
		.amdhsa_next_free_sgpr 31
		.amdhsa_reserve_vcc 1
		.amdhsa_reserve_flat_scratch 0
		.amdhsa_float_round_mode_32 0
		.amdhsa_float_round_mode_16_64 0
		.amdhsa_float_denorm_mode_32 3
		.amdhsa_float_denorm_mode_16_64 3
		.amdhsa_dx10_clamp 1
		.amdhsa_ieee_mode 1
		.amdhsa_fp16_overflow 0
		.amdhsa_exception_fp_ieee_invalid_op 0
		.amdhsa_exception_fp_denorm_src 0
		.amdhsa_exception_fp_ieee_div_zero 0
		.amdhsa_exception_fp_ieee_overflow 0
		.amdhsa_exception_fp_ieee_underflow 0
		.amdhsa_exception_fp_ieee_inexact 0
		.amdhsa_exception_int_div_zero 0
	.end_amdhsa_kernel
	.section	.text._ZN2at6native29vectorized_elementwise_kernelILi4ENS0_11FillFunctorIhEESt5arrayIPcLm1EEEEviT0_T1_,"axG",@progbits,_ZN2at6native29vectorized_elementwise_kernelILi4ENS0_11FillFunctorIhEESt5arrayIPcLm1EEEEviT0_T1_,comdat
.Lfunc_end2:
	.size	_ZN2at6native29vectorized_elementwise_kernelILi4ENS0_11FillFunctorIhEESt5arrayIPcLm1EEEEviT0_T1_, .Lfunc_end2-_ZN2at6native29vectorized_elementwise_kernelILi4ENS0_11FillFunctorIhEESt5arrayIPcLm1EEEEviT0_T1_
                                        ; -- End function
	.set _ZN2at6native29vectorized_elementwise_kernelILi4ENS0_11FillFunctorIhEESt5arrayIPcLm1EEEEviT0_T1_.num_vgpr, 25
	.set _ZN2at6native29vectorized_elementwise_kernelILi4ENS0_11FillFunctorIhEESt5arrayIPcLm1EEEEviT0_T1_.num_agpr, 0
	.set _ZN2at6native29vectorized_elementwise_kernelILi4ENS0_11FillFunctorIhEESt5arrayIPcLm1EEEEviT0_T1_.numbered_sgpr, 31
	.set _ZN2at6native29vectorized_elementwise_kernelILi4ENS0_11FillFunctorIhEESt5arrayIPcLm1EEEEviT0_T1_.num_named_barrier, 0
	.set _ZN2at6native29vectorized_elementwise_kernelILi4ENS0_11FillFunctorIhEESt5arrayIPcLm1EEEEviT0_T1_.private_seg_size, 0
	.set _ZN2at6native29vectorized_elementwise_kernelILi4ENS0_11FillFunctorIhEESt5arrayIPcLm1EEEEviT0_T1_.uses_vcc, 1
	.set _ZN2at6native29vectorized_elementwise_kernelILi4ENS0_11FillFunctorIhEESt5arrayIPcLm1EEEEviT0_T1_.uses_flat_scratch, 0
	.set _ZN2at6native29vectorized_elementwise_kernelILi4ENS0_11FillFunctorIhEESt5arrayIPcLm1EEEEviT0_T1_.has_dyn_sized_stack, 0
	.set _ZN2at6native29vectorized_elementwise_kernelILi4ENS0_11FillFunctorIhEESt5arrayIPcLm1EEEEviT0_T1_.has_recursion, 0
	.set _ZN2at6native29vectorized_elementwise_kernelILi4ENS0_11FillFunctorIhEESt5arrayIPcLm1EEEEviT0_T1_.has_indirect_call, 0
	.section	.AMDGPU.csdata,"",@progbits
; Kernel info:
; codeLenInByte = 1064
; TotalNumSgprs: 35
; NumVgprs: 25
; ScratchSize: 0
; MemoryBound: 0
; FloatMode: 240
; IeeeMode: 1
; LDSByteSize: 0 bytes/workgroup (compile time only)
; SGPRBlocks: 4
; VGPRBlocks: 6
; NumSGPRsForWavesPerEU: 35
; NumVGPRsForWavesPerEU: 25
; Occupancy: 9
; WaveLimiterHint : 1
; COMPUTE_PGM_RSRC2:SCRATCH_EN: 0
; COMPUTE_PGM_RSRC2:USER_SGPR: 6
; COMPUTE_PGM_RSRC2:TRAP_HANDLER: 0
; COMPUTE_PGM_RSRC2:TGID_X_EN: 1
; COMPUTE_PGM_RSRC2:TGID_Y_EN: 0
; COMPUTE_PGM_RSRC2:TGID_Z_EN: 0
; COMPUTE_PGM_RSRC2:TIDIG_COMP_CNT: 0
	.section	.text._ZN2at6native29vectorized_elementwise_kernelILi2ENS0_11FillFunctorIhEESt5arrayIPcLm1EEEEviT0_T1_,"axG",@progbits,_ZN2at6native29vectorized_elementwise_kernelILi2ENS0_11FillFunctorIhEESt5arrayIPcLm1EEEEviT0_T1_,comdat
	.protected	_ZN2at6native29vectorized_elementwise_kernelILi2ENS0_11FillFunctorIhEESt5arrayIPcLm1EEEEviT0_T1_ ; -- Begin function _ZN2at6native29vectorized_elementwise_kernelILi2ENS0_11FillFunctorIhEESt5arrayIPcLm1EEEEviT0_T1_
	.globl	_ZN2at6native29vectorized_elementwise_kernelILi2ENS0_11FillFunctorIhEESt5arrayIPcLm1EEEEviT0_T1_
	.p2align	8
	.type	_ZN2at6native29vectorized_elementwise_kernelILi2ENS0_11FillFunctorIhEESt5arrayIPcLm1EEEEviT0_T1_,@function
_ZN2at6native29vectorized_elementwise_kernelILi2ENS0_11FillFunctorIhEESt5arrayIPcLm1EEEEviT0_T1_: ; @_ZN2at6native29vectorized_elementwise_kernelILi2ENS0_11FillFunctorIhEESt5arrayIPcLm1EEEEviT0_T1_
; %bb.0:
	s_load_dwordx4 s[24:27], s[4:5], 0x0
	s_lshl_b32 s28, s6, 12
	s_mov_b64 s[0:1], -1
	s_waitcnt lgkmcnt(0)
	s_sub_i32 s24, s24, s28
	s_cmpk_gt_i32 s24, 0xfff
	s_cbranch_scc0 .LBB3_2
; %bb.1:
	s_lshl_b32 s0, s25, 8
	s_and_b32 s1, s25, 0xff
	s_or_b32 s2, s1, s0
	s_ashr_i32 s1, s28, 31
	s_add_u32 s0, s26, s28
	s_addc_u32 s1, s27, s1
	v_lshlrev_b32_e32 v1, 1, v0
	v_mov_b32_e32 v2, s2
	global_store_short v1, v2, s[0:1]
	global_store_short v1, v2, s[0:1] offset:512
	global_store_short v1, v2, s[0:1] offset:1024
	;; [unrolled: 1-line block ×7, first 2 shown]
	s_mov_b64 s[0:1], 0
.LBB3_2:
	s_andn2_b64 vcc, exec, s[0:1]
	s_cbranch_vccnz .LBB3_20
; %bb.3:
	v_cmp_gt_i32_e32 vcc, s24, v0
	s_and_saveexec_b64 s[0:1], vcc
	s_cbranch_execz .LBB3_20
; %bb.4:
	s_and_b32 s29, s25, 0xff
	v_mov_b32_e32 v1, s29
	v_cndmask_b32_e32 v1, 0, v1, vcc
	v_mov_b32_e32 v8, 0x7060004
	v_or_b32_e32 v18, 0x100, v0
	v_perm_b32 v2, v1, s25, v8
	v_cmp_gt_i32_e32 vcc, s24, v18
	v_cndmask_b32_e32 v2, v1, v2, vcc
	v_mov_b32_e32 v13, 0xc0c0304
	v_perm_b32 v3, s25, v2, v13
	v_or_b32_e32 v1, 0x200, v0
	v_lshlrev_b32_e32 v3, 16, v3
	s_mov_b32 s30, 0xffff
	v_and_or_b32 v3, v2, s30, v3
	v_cmp_gt_i32_e32 vcc, s24, v1
	v_cndmask_b32_e32 v2, v2, v3, vcc
	v_mov_b32_e32 v19, 0xc0c0006
	v_perm_b32 v3, v2, s25, v19
	v_or_b32_e32 v16, 0x300, v0
	v_lshlrev_b32_e32 v3, 16, v3
	v_and_or_b32 v3, v2, s30, v3
	v_cmp_gt_i32_e32 vcc, s24, v16
	v_cndmask_b32_e32 v17, v2, v3, vcc
	v_or_b32_e32 v2, s28, v0
	v_or_b32_e32 v15, 0x400, v0
	;; [unrolled: 1-line block ×12, first 2 shown]
	global_store_byte v2, v17, s[26:27]
	v_or_b32_e32 v2, 0xf00, v0
	v_cmp_gt_i32_e64 s[18:19], s24, v15
	v_cmp_gt_i32_e64 s[20:21], s24, v14
	;; [unrolled: 1-line block ×7, first 2 shown]
	v_cmp_gt_i32_e32 vcc, s24, v6
	v_cmp_gt_i32_e64 s[0:1], s24, v5
	v_cmp_gt_i32_e64 s[2:3], s24, v4
	;; [unrolled: 1-line block ×4, first 2 shown]
	v_cmp_gt_u32_e64 s[22:23], s24, v18
	s_and_b64 exec, exec, s[22:23]
	s_cbranch_execz .LBB3_20
; %bb.5:
	v_mov_b32_e32 v18, 0x3020104
	v_perm_b32 v20, s25, 0, v18
	v_cndmask_b32_e64 v18, 0, v20, s[18:19]
	v_perm_b32 v21, v18, s25, v8
	v_cndmask_b32_e64 v18, v18, v21, s[20:21]
	v_mov_b32_e32 v21, 0x7000504
	v_perm_b32 v22, v18, s25, v21
	v_cndmask_b32_e64 v18, v18, v22, s[14:15]
	v_mov_b32_e32 v22, 0x60504
	;; [unrolled: 3-line block ×3, first 2 shown]
	v_cndmask_b32_e64 v23, 0, v23, s[10:11]
	v_perm_b32 v24, v23, s25, v8
	v_cndmask_b32_e64 v23, v23, v24, s[12:13]
	v_perm_b32 v13, s25, v23, v13
	v_lshlrev_b32_e32 v13, 16, v13
	v_and_or_b32 v13, v23, s30, v13
	v_cndmask_b32_e64 v13, v23, v13, s[6:7]
	v_perm_b32 v19, v13, s25, v19
	v_lshlrev_b32_e32 v19, 16, v19
	v_and_or_b32 v19, v13, s30, v19
	v_cndmask_b32_e32 v13, v13, v19, vcc
	v_cndmask_b32_e64 v19, 0, v20, s[0:1]
	v_perm_b32 v8, v19, s25, v8
	v_cndmask_b32_e64 v8, v19, v8, s[2:3]
	v_perm_b32 v19, v8, s25, v21
	v_cndmask_b32_e64 v8, v8, v19, s[4:5]
	v_perm_b32 v19, v8, s25, v22
	v_cndmask_b32_e64 v8, v8, v19, s[16:17]
	v_lshrrev_b32_e32 v19, 8, v17
	v_add_u32_e32 v0, s28, v0
	v_cmp_gt_u32_e32 vcc, s24, v1
	global_store_byte v0, v19, s[26:27] offset:256
	s_and_b64 exec, exec, vcc
	s_cbranch_execz .LBB3_20
; %bb.6:
	v_mov_b32_e32 v1, s27
	v_add_co_u32_e32 v0, vcc, s26, v0
	v_addc_co_u32_e32 v1, vcc, 0, v1, vcc
	v_cmp_gt_u32_e32 vcc, s24, v16
	global_store_byte_d16_hi v[0:1], v17, off offset:512
	s_and_b64 exec, exec, vcc
	s_cbranch_execz .LBB3_20
; %bb.7:
	v_lshrrev_b32_e32 v16, 24, v17
	v_cmp_gt_u32_e32 vcc, s24, v15
	global_store_byte v[0:1], v16, off offset:768
	s_and_b64 exec, exec, vcc
	s_cbranch_execz .LBB3_20
; %bb.8:
	v_cmp_gt_u32_e32 vcc, s24, v14
	global_store_byte v[0:1], v18, off offset:1024
	s_and_b64 exec, exec, vcc
	s_cbranch_execz .LBB3_20
; %bb.9:
	v_lshrrev_b32_e32 v14, 8, v18
	v_cmp_gt_u32_e32 vcc, s24, v12
	global_store_byte v[0:1], v14, off offset:1280
	s_and_b64 exec, exec, vcc
	s_cbranch_execz .LBB3_20
; %bb.10:
	v_cmp_gt_u32_e32 vcc, s24, v11
	global_store_byte_d16_hi v[0:1], v18, off offset:1536
	s_and_b64 exec, exec, vcc
	s_cbranch_execz .LBB3_20
; %bb.11:
	v_lshrrev_b32_e32 v11, 24, v18
	v_cmp_gt_u32_e32 vcc, s24, v10
	global_store_byte v[0:1], v11, off offset:1792
	s_and_b64 exec, exec, vcc
	s_cbranch_execz .LBB3_20
; %bb.12:
	v_cmp_gt_u32_e32 vcc, s24, v9
	global_store_byte v[0:1], v13, off offset:2048
	s_and_b64 exec, exec, vcc
	s_cbranch_execz .LBB3_20
; %bb.13:
	v_lshrrev_b32_e32 v9, 8, v13
	v_cmp_gt_u32_e32 vcc, s24, v7
	global_store_byte v[0:1], v9, off offset:2304
	s_and_b64 exec, exec, vcc
	s_cbranch_execz .LBB3_20
; %bb.14:
	;; [unrolled: 22-line block ×3, first 2 shown]
	v_cmp_gt_u32_e32 vcc, s24, v2
	global_store_byte_d16_hi v[0:1], v8, off offset:3584
	s_and_b64 exec, exec, vcc
	s_cbranch_execz .LBB3_20
; %bb.19:
	v_lshrrev_b32_e32 v2, 24, v8
	global_store_byte v[0:1], v2, off offset:3840
.LBB3_20:
	s_endpgm
	.section	.rodata,"a",@progbits
	.p2align	6, 0x0
	.amdhsa_kernel _ZN2at6native29vectorized_elementwise_kernelILi2ENS0_11FillFunctorIhEESt5arrayIPcLm1EEEEviT0_T1_
		.amdhsa_group_segment_fixed_size 0
		.amdhsa_private_segment_fixed_size 0
		.amdhsa_kernarg_size 16
		.amdhsa_user_sgpr_count 6
		.amdhsa_user_sgpr_private_segment_buffer 1
		.amdhsa_user_sgpr_dispatch_ptr 0
		.amdhsa_user_sgpr_queue_ptr 0
		.amdhsa_user_sgpr_kernarg_segment_ptr 1
		.amdhsa_user_sgpr_dispatch_id 0
		.amdhsa_user_sgpr_flat_scratch_init 0
		.amdhsa_user_sgpr_private_segment_size 0
		.amdhsa_uses_dynamic_stack 0
		.amdhsa_system_sgpr_private_segment_wavefront_offset 0
		.amdhsa_system_sgpr_workgroup_id_x 1
		.amdhsa_system_sgpr_workgroup_id_y 0
		.amdhsa_system_sgpr_workgroup_id_z 0
		.amdhsa_system_sgpr_workgroup_info 0
		.amdhsa_system_vgpr_workitem_id 0
		.amdhsa_next_free_vgpr 25
		.amdhsa_next_free_sgpr 31
		.amdhsa_reserve_vcc 1
		.amdhsa_reserve_flat_scratch 0
		.amdhsa_float_round_mode_32 0
		.amdhsa_float_round_mode_16_64 0
		.amdhsa_float_denorm_mode_32 3
		.amdhsa_float_denorm_mode_16_64 3
		.amdhsa_dx10_clamp 1
		.amdhsa_ieee_mode 1
		.amdhsa_fp16_overflow 0
		.amdhsa_exception_fp_ieee_invalid_op 0
		.amdhsa_exception_fp_denorm_src 0
		.amdhsa_exception_fp_ieee_div_zero 0
		.amdhsa_exception_fp_ieee_overflow 0
		.amdhsa_exception_fp_ieee_underflow 0
		.amdhsa_exception_fp_ieee_inexact 0
		.amdhsa_exception_int_div_zero 0
	.end_amdhsa_kernel
	.section	.text._ZN2at6native29vectorized_elementwise_kernelILi2ENS0_11FillFunctorIhEESt5arrayIPcLm1EEEEviT0_T1_,"axG",@progbits,_ZN2at6native29vectorized_elementwise_kernelILi2ENS0_11FillFunctorIhEESt5arrayIPcLm1EEEEviT0_T1_,comdat
.Lfunc_end3:
	.size	_ZN2at6native29vectorized_elementwise_kernelILi2ENS0_11FillFunctorIhEESt5arrayIPcLm1EEEEviT0_T1_, .Lfunc_end3-_ZN2at6native29vectorized_elementwise_kernelILi2ENS0_11FillFunctorIhEESt5arrayIPcLm1EEEEviT0_T1_
                                        ; -- End function
	.set _ZN2at6native29vectorized_elementwise_kernelILi2ENS0_11FillFunctorIhEESt5arrayIPcLm1EEEEviT0_T1_.num_vgpr, 25
	.set _ZN2at6native29vectorized_elementwise_kernelILi2ENS0_11FillFunctorIhEESt5arrayIPcLm1EEEEviT0_T1_.num_agpr, 0
	.set _ZN2at6native29vectorized_elementwise_kernelILi2ENS0_11FillFunctorIhEESt5arrayIPcLm1EEEEviT0_T1_.numbered_sgpr, 31
	.set _ZN2at6native29vectorized_elementwise_kernelILi2ENS0_11FillFunctorIhEESt5arrayIPcLm1EEEEviT0_T1_.num_named_barrier, 0
	.set _ZN2at6native29vectorized_elementwise_kernelILi2ENS0_11FillFunctorIhEESt5arrayIPcLm1EEEEviT0_T1_.private_seg_size, 0
	.set _ZN2at6native29vectorized_elementwise_kernelILi2ENS0_11FillFunctorIhEESt5arrayIPcLm1EEEEviT0_T1_.uses_vcc, 1
	.set _ZN2at6native29vectorized_elementwise_kernelILi2ENS0_11FillFunctorIhEESt5arrayIPcLm1EEEEviT0_T1_.uses_flat_scratch, 0
	.set _ZN2at6native29vectorized_elementwise_kernelILi2ENS0_11FillFunctorIhEESt5arrayIPcLm1EEEEviT0_T1_.has_dyn_sized_stack, 0
	.set _ZN2at6native29vectorized_elementwise_kernelILi2ENS0_11FillFunctorIhEESt5arrayIPcLm1EEEEviT0_T1_.has_recursion, 0
	.set _ZN2at6native29vectorized_elementwise_kernelILi2ENS0_11FillFunctorIhEESt5arrayIPcLm1EEEEviT0_T1_.has_indirect_call, 0
	.section	.AMDGPU.csdata,"",@progbits
; Kernel info:
; codeLenInByte = 1080
; TotalNumSgprs: 35
; NumVgprs: 25
; ScratchSize: 0
; MemoryBound: 0
; FloatMode: 240
; IeeeMode: 1
; LDSByteSize: 0 bytes/workgroup (compile time only)
; SGPRBlocks: 4
; VGPRBlocks: 6
; NumSGPRsForWavesPerEU: 35
; NumVGPRsForWavesPerEU: 25
; Occupancy: 9
; WaveLimiterHint : 1
; COMPUTE_PGM_RSRC2:SCRATCH_EN: 0
; COMPUTE_PGM_RSRC2:USER_SGPR: 6
; COMPUTE_PGM_RSRC2:TRAP_HANDLER: 0
; COMPUTE_PGM_RSRC2:TGID_X_EN: 1
; COMPUTE_PGM_RSRC2:TGID_Y_EN: 0
; COMPUTE_PGM_RSRC2:TGID_Z_EN: 0
; COMPUTE_PGM_RSRC2:TIDIG_COMP_CNT: 0
	.section	.text._ZN2at6native27unrolled_elementwise_kernelINS0_11FillFunctorIhEESt5arrayIPcLm1EELi4E23TrivialOffsetCalculatorILi0EjES7_ILi1EjENS0_6memory15LoadWithoutCastENSA_16StoreWithoutCastEEEviT_T0_T2_T3_T4_T5_,"axG",@progbits,_ZN2at6native27unrolled_elementwise_kernelINS0_11FillFunctorIhEESt5arrayIPcLm1EELi4E23TrivialOffsetCalculatorILi0EjES7_ILi1EjENS0_6memory15LoadWithoutCastENSA_16StoreWithoutCastEEEviT_T0_T2_T3_T4_T5_,comdat
	.protected	_ZN2at6native27unrolled_elementwise_kernelINS0_11FillFunctorIhEESt5arrayIPcLm1EELi4E23TrivialOffsetCalculatorILi0EjES7_ILi1EjENS0_6memory15LoadWithoutCastENSA_16StoreWithoutCastEEEviT_T0_T2_T3_T4_T5_ ; -- Begin function _ZN2at6native27unrolled_elementwise_kernelINS0_11FillFunctorIhEESt5arrayIPcLm1EELi4E23TrivialOffsetCalculatorILi0EjES7_ILi1EjENS0_6memory15LoadWithoutCastENSA_16StoreWithoutCastEEEviT_T0_T2_T3_T4_T5_
	.globl	_ZN2at6native27unrolled_elementwise_kernelINS0_11FillFunctorIhEESt5arrayIPcLm1EELi4E23TrivialOffsetCalculatorILi0EjES7_ILi1EjENS0_6memory15LoadWithoutCastENSA_16StoreWithoutCastEEEviT_T0_T2_T3_T4_T5_
	.p2align	8
	.type	_ZN2at6native27unrolled_elementwise_kernelINS0_11FillFunctorIhEESt5arrayIPcLm1EELi4E23TrivialOffsetCalculatorILi0EjES7_ILi1EjENS0_6memory15LoadWithoutCastENSA_16StoreWithoutCastEEEviT_T0_T2_T3_T4_T5_,@function
_ZN2at6native27unrolled_elementwise_kernelINS0_11FillFunctorIhEESt5arrayIPcLm1EELi4E23TrivialOffsetCalculatorILi0EjES7_ILi1EjENS0_6memory15LoadWithoutCastENSA_16StoreWithoutCastEEEviT_T0_T2_T3_T4_T5_: ; @_ZN2at6native27unrolled_elementwise_kernelINS0_11FillFunctorIhEESt5arrayIPcLm1EELi4E23TrivialOffsetCalculatorILi0EjES7_ILi1EjENS0_6memory15LoadWithoutCastENSA_16StoreWithoutCastEEEviT_T0_T2_T3_T4_T5_
; %bb.0:
	s_load_dwordx2 s[2:3], s[4:5], 0x0
	s_lshl_b32 s6, s6, 10
	s_waitcnt lgkmcnt(0)
	s_sub_i32 s2, s2, s6
	v_cmp_gt_i32_e32 vcc, s2, v0
	s_and_saveexec_b64 s[0:1], vcc
	s_cbranch_execz .LBB4_5
; %bb.1:
	s_load_dwordx2 s[0:1], s[4:5], 0x8
	s_and_b32 s4, s3, 0xff
	v_mov_b32_e32 v1, s4
	v_cndmask_b32_e32 v1, 0, v1, vcc
	v_or_b32_e32 v3, 0x100, v0
	v_cmp_gt_i32_e32 vcc, s2, v3
	v_lshl_or_b32 v2, s3, 8, v1
	v_cndmask_b32_sdwa v1, v1, v2, vcc dst_sel:DWORD dst_unused:UNUSED_PAD src0_sel:DWORD src1_sel:WORD_0
	v_mov_b32_e32 v4, 0xc0c0304
	v_or_b32_e32 v2, 0x200, v0
	v_perm_b32 v4, s3, v1, v4
	v_lshl_or_b32 v4, v4, 16, v1
	v_cmp_gt_i32_e32 vcc, s2, v2
	v_cndmask_b32_e32 v4, v1, v4, vcc
	v_mov_b32_e32 v5, 0xc0c0006
	v_perm_b32 v5, v4, s3, v5
	s_mov_b32 s4, 0xffff
	v_or_b32_e32 v1, 0x300, v0
	v_lshlrev_b32_e32 v5, 16, v5
	v_and_or_b32 v5, v4, s4, v5
	v_cmp_gt_i32_e32 vcc, s2, v1
	v_cndmask_b32_e32 v4, v4, v5, vcc
	v_or_b32_e32 v0, s6, v0
	v_cmp_gt_u32_e32 vcc, s2, v3
	s_waitcnt lgkmcnt(0)
	global_store_byte v0, v4, s[0:1]
	s_and_b64 exec, exec, vcc
	s_cbranch_execz .LBB4_5
; %bb.2:
	v_add_u32_e32 v0, s6, v3
	v_lshrrev_b32_e32 v3, 8, v4
	v_cmp_gt_u32_e32 vcc, s2, v2
	global_store_byte v0, v3, s[0:1]
	s_and_b64 exec, exec, vcc
	s_cbranch_execz .LBB4_5
; %bb.3:
	v_add_u32_e32 v0, s6, v2
	v_cmp_gt_u32_e32 vcc, s2, v1
	global_store_byte_d16_hi v0, v4, s[0:1]
	s_and_b64 exec, exec, vcc
	s_cbranch_execz .LBB4_5
; %bb.4:
	v_lshrrev_b32_e32 v0, 24, v4
	v_add_u32_e32 v1, s6, v1
	global_store_byte v1, v0, s[0:1]
.LBB4_5:
	s_endpgm
	.section	.rodata,"a",@progbits
	.p2align	6, 0x0
	.amdhsa_kernel _ZN2at6native27unrolled_elementwise_kernelINS0_11FillFunctorIhEESt5arrayIPcLm1EELi4E23TrivialOffsetCalculatorILi0EjES7_ILi1EjENS0_6memory15LoadWithoutCastENSA_16StoreWithoutCastEEEviT_T0_T2_T3_T4_T5_
		.amdhsa_group_segment_fixed_size 0
		.amdhsa_private_segment_fixed_size 0
		.amdhsa_kernarg_size 20
		.amdhsa_user_sgpr_count 6
		.amdhsa_user_sgpr_private_segment_buffer 1
		.amdhsa_user_sgpr_dispatch_ptr 0
		.amdhsa_user_sgpr_queue_ptr 0
		.amdhsa_user_sgpr_kernarg_segment_ptr 1
		.amdhsa_user_sgpr_dispatch_id 0
		.amdhsa_user_sgpr_flat_scratch_init 0
		.amdhsa_user_sgpr_private_segment_size 0
		.amdhsa_uses_dynamic_stack 0
		.amdhsa_system_sgpr_private_segment_wavefront_offset 0
		.amdhsa_system_sgpr_workgroup_id_x 1
		.amdhsa_system_sgpr_workgroup_id_y 0
		.amdhsa_system_sgpr_workgroup_id_z 0
		.amdhsa_system_sgpr_workgroup_info 0
		.amdhsa_system_vgpr_workitem_id 0
		.amdhsa_next_free_vgpr 6
		.amdhsa_next_free_sgpr 7
		.amdhsa_reserve_vcc 1
		.amdhsa_reserve_flat_scratch 0
		.amdhsa_float_round_mode_32 0
		.amdhsa_float_round_mode_16_64 0
		.amdhsa_float_denorm_mode_32 3
		.amdhsa_float_denorm_mode_16_64 3
		.amdhsa_dx10_clamp 1
		.amdhsa_ieee_mode 1
		.amdhsa_fp16_overflow 0
		.amdhsa_exception_fp_ieee_invalid_op 0
		.amdhsa_exception_fp_denorm_src 0
		.amdhsa_exception_fp_ieee_div_zero 0
		.amdhsa_exception_fp_ieee_overflow 0
		.amdhsa_exception_fp_ieee_underflow 0
		.amdhsa_exception_fp_ieee_inexact 0
		.amdhsa_exception_int_div_zero 0
	.end_amdhsa_kernel
	.section	.text._ZN2at6native27unrolled_elementwise_kernelINS0_11FillFunctorIhEESt5arrayIPcLm1EELi4E23TrivialOffsetCalculatorILi0EjES7_ILi1EjENS0_6memory15LoadWithoutCastENSA_16StoreWithoutCastEEEviT_T0_T2_T3_T4_T5_,"axG",@progbits,_ZN2at6native27unrolled_elementwise_kernelINS0_11FillFunctorIhEESt5arrayIPcLm1EELi4E23TrivialOffsetCalculatorILi0EjES7_ILi1EjENS0_6memory15LoadWithoutCastENSA_16StoreWithoutCastEEEviT_T0_T2_T3_T4_T5_,comdat
.Lfunc_end4:
	.size	_ZN2at6native27unrolled_elementwise_kernelINS0_11FillFunctorIhEESt5arrayIPcLm1EELi4E23TrivialOffsetCalculatorILi0EjES7_ILi1EjENS0_6memory15LoadWithoutCastENSA_16StoreWithoutCastEEEviT_T0_T2_T3_T4_T5_, .Lfunc_end4-_ZN2at6native27unrolled_elementwise_kernelINS0_11FillFunctorIhEESt5arrayIPcLm1EELi4E23TrivialOffsetCalculatorILi0EjES7_ILi1EjENS0_6memory15LoadWithoutCastENSA_16StoreWithoutCastEEEviT_T0_T2_T3_T4_T5_
                                        ; -- End function
	.set _ZN2at6native27unrolled_elementwise_kernelINS0_11FillFunctorIhEESt5arrayIPcLm1EELi4E23TrivialOffsetCalculatorILi0EjES7_ILi1EjENS0_6memory15LoadWithoutCastENSA_16StoreWithoutCastEEEviT_T0_T2_T3_T4_T5_.num_vgpr, 6
	.set _ZN2at6native27unrolled_elementwise_kernelINS0_11FillFunctorIhEESt5arrayIPcLm1EELi4E23TrivialOffsetCalculatorILi0EjES7_ILi1EjENS0_6memory15LoadWithoutCastENSA_16StoreWithoutCastEEEviT_T0_T2_T3_T4_T5_.num_agpr, 0
	.set _ZN2at6native27unrolled_elementwise_kernelINS0_11FillFunctorIhEESt5arrayIPcLm1EELi4E23TrivialOffsetCalculatorILi0EjES7_ILi1EjENS0_6memory15LoadWithoutCastENSA_16StoreWithoutCastEEEviT_T0_T2_T3_T4_T5_.numbered_sgpr, 7
	.set _ZN2at6native27unrolled_elementwise_kernelINS0_11FillFunctorIhEESt5arrayIPcLm1EELi4E23TrivialOffsetCalculatorILi0EjES7_ILi1EjENS0_6memory15LoadWithoutCastENSA_16StoreWithoutCastEEEviT_T0_T2_T3_T4_T5_.num_named_barrier, 0
	.set _ZN2at6native27unrolled_elementwise_kernelINS0_11FillFunctorIhEESt5arrayIPcLm1EELi4E23TrivialOffsetCalculatorILi0EjES7_ILi1EjENS0_6memory15LoadWithoutCastENSA_16StoreWithoutCastEEEviT_T0_T2_T3_T4_T5_.private_seg_size, 0
	.set _ZN2at6native27unrolled_elementwise_kernelINS0_11FillFunctorIhEESt5arrayIPcLm1EELi4E23TrivialOffsetCalculatorILi0EjES7_ILi1EjENS0_6memory15LoadWithoutCastENSA_16StoreWithoutCastEEEviT_T0_T2_T3_T4_T5_.uses_vcc, 1
	.set _ZN2at6native27unrolled_elementwise_kernelINS0_11FillFunctorIhEESt5arrayIPcLm1EELi4E23TrivialOffsetCalculatorILi0EjES7_ILi1EjENS0_6memory15LoadWithoutCastENSA_16StoreWithoutCastEEEviT_T0_T2_T3_T4_T5_.uses_flat_scratch, 0
	.set _ZN2at6native27unrolled_elementwise_kernelINS0_11FillFunctorIhEESt5arrayIPcLm1EELi4E23TrivialOffsetCalculatorILi0EjES7_ILi1EjENS0_6memory15LoadWithoutCastENSA_16StoreWithoutCastEEEviT_T0_T2_T3_T4_T5_.has_dyn_sized_stack, 0
	.set _ZN2at6native27unrolled_elementwise_kernelINS0_11FillFunctorIhEESt5arrayIPcLm1EELi4E23TrivialOffsetCalculatorILi0EjES7_ILi1EjENS0_6memory15LoadWithoutCastENSA_16StoreWithoutCastEEEviT_T0_T2_T3_T4_T5_.has_recursion, 0
	.set _ZN2at6native27unrolled_elementwise_kernelINS0_11FillFunctorIhEESt5arrayIPcLm1EELi4E23TrivialOffsetCalculatorILi0EjES7_ILi1EjENS0_6memory15LoadWithoutCastENSA_16StoreWithoutCastEEEviT_T0_T2_T3_T4_T5_.has_indirect_call, 0
	.section	.AMDGPU.csdata,"",@progbits
; Kernel info:
; codeLenInByte = 276
; TotalNumSgprs: 11
; NumVgprs: 6
; ScratchSize: 0
; MemoryBound: 0
; FloatMode: 240
; IeeeMode: 1
; LDSByteSize: 0 bytes/workgroup (compile time only)
; SGPRBlocks: 1
; VGPRBlocks: 1
; NumSGPRsForWavesPerEU: 11
; NumVGPRsForWavesPerEU: 6
; Occupancy: 10
; WaveLimiterHint : 0
; COMPUTE_PGM_RSRC2:SCRATCH_EN: 0
; COMPUTE_PGM_RSRC2:USER_SGPR: 6
; COMPUTE_PGM_RSRC2:TRAP_HANDLER: 0
; COMPUTE_PGM_RSRC2:TGID_X_EN: 1
; COMPUTE_PGM_RSRC2:TGID_Y_EN: 0
; COMPUTE_PGM_RSRC2:TGID_Z_EN: 0
; COMPUTE_PGM_RSRC2:TIDIG_COMP_CNT: 0
	.section	.text._ZN2at6native32elementwise_kernel_manual_unrollILi128ELi8EZNS0_22gpu_kernel_impl_nocastINS0_11FillFunctorIhEEEEvRNS_18TensorIteratorBaseERKT_EUlibE_EEviT1_,"axG",@progbits,_ZN2at6native32elementwise_kernel_manual_unrollILi128ELi8EZNS0_22gpu_kernel_impl_nocastINS0_11FillFunctorIhEEEEvRNS_18TensorIteratorBaseERKT_EUlibE_EEviT1_,comdat
	.protected	_ZN2at6native32elementwise_kernel_manual_unrollILi128ELi8EZNS0_22gpu_kernel_impl_nocastINS0_11FillFunctorIhEEEEvRNS_18TensorIteratorBaseERKT_EUlibE_EEviT1_ ; -- Begin function _ZN2at6native32elementwise_kernel_manual_unrollILi128ELi8EZNS0_22gpu_kernel_impl_nocastINS0_11FillFunctorIhEEEEvRNS_18TensorIteratorBaseERKT_EUlibE_EEviT1_
	.globl	_ZN2at6native32elementwise_kernel_manual_unrollILi128ELi8EZNS0_22gpu_kernel_impl_nocastINS0_11FillFunctorIhEEEEvRNS_18TensorIteratorBaseERKT_EUlibE_EEviT1_
	.p2align	8
	.type	_ZN2at6native32elementwise_kernel_manual_unrollILi128ELi8EZNS0_22gpu_kernel_impl_nocastINS0_11FillFunctorIhEEEEvRNS_18TensorIteratorBaseERKT_EUlibE_EEviT1_,@function
_ZN2at6native32elementwise_kernel_manual_unrollILi128ELi8EZNS0_22gpu_kernel_impl_nocastINS0_11FillFunctorIhEEEEvRNS_18TensorIteratorBaseERKT_EUlibE_EEviT1_: ; @_ZN2at6native32elementwise_kernel_manual_unrollILi128ELi8EZNS0_22gpu_kernel_impl_nocastINS0_11FillFunctorIhEEEEvRNS_18TensorIteratorBaseERKT_EUlibE_EEviT1_
; %bb.0:
	s_load_dword s48, s[4:5], 0x0
	s_load_dword s33, s[4:5], 0x8
	s_add_u32 s20, s4, 8
	s_addc_u32 s21, s5, 0
	v_lshl_or_b32 v7, s6, 10, v0
	v_or_b32_e32 v9, 0x380, v7
	s_waitcnt lgkmcnt(0)
	s_add_i32 s46, s33, -1
	s_cmp_gt_u32 s46, 1
	v_cmp_le_i32_e32 vcc, s48, v9
	s_cselect_b64 s[22:23], -1, 0
	s_and_saveexec_b64 s[0:1], vcc
	s_xor_b64 s[24:25], exec, s[0:1]
	s_cbranch_execz .LBB5_7
; %bb.1:
	s_load_dwordx4 s[8:11], s[20:21], 0x4
	s_load_dwordx2 s[30:31], s[20:21], 0x14
	s_load_dwordx2 s[28:29], s[20:21], 0xc4
	;; [unrolled: 1-line block ×3, first 2 shown]
	s_load_dword s47, s[20:21], 0x110
	s_cmp_lg_u32 s33, 0
	s_cselect_b64 s[38:39], -1, 0
	s_add_u32 s36, s20, 0xc4
	s_addc_u32 s37, s21, 0
	s_min_u32 s49, s46, 15
	s_cmp_gt_u32 s33, 1
	s_cselect_b64 s[34:35], -1, 0
	v_cmp_gt_i32_e32 vcc, s48, v7
	s_and_saveexec_b64 s[40:41], vcc
	s_cbranch_execz .LBB5_14
; %bb.2:
	s_andn2_b64 vcc, exec, s[22:23]
	s_cbranch_vccnz .LBB5_21
; %bb.3:
	s_andn2_b64 vcc, exec, s[38:39]
	s_cbranch_vccnz .LBB5_129
; %bb.4:
	s_add_i32 s51, s49, 1
	s_cmp_eq_u32 s46, 2
	s_cbranch_scc1 .LBB5_131
; %bb.5:
	s_and_b32 s50, s51, 28
	s_mov_b32 s52, 0
	v_mov_b32_e32 v0, 0
	s_mov_b64 s[42:43], s[20:21]
	s_mov_b64 s[44:45], s[36:37]
	v_mov_b32_e32 v1, v7
.LBB5_6:                                ; =>This Inner Loop Header: Depth=1
	s_load_dwordx8 s[0:7], s[42:43], 0x4
	s_load_dwordx4 s[12:15], s[42:43], 0x24
	s_load_dwordx4 s[16:19], s[44:45], 0x0
	s_add_u32 s42, s42, 48
	s_addc_u32 s43, s43, 0
	s_waitcnt lgkmcnt(0)
	v_mul_hi_u32 v2, s1, v1
	s_add_i32 s52, s52, 4
	s_add_u32 s44, s44, 16
	s_addc_u32 s45, s45, 0
	v_add_u32_e32 v2, v1, v2
	v_lshrrev_b32_e32 v2, s2, v2
	v_mul_lo_u32 v3, v2, s0
	v_mul_hi_u32 v4, s4, v2
	s_cmp_lg_u32 s50, s52
	v_sub_u32_e32 v1, v1, v3
	v_add_u32_e32 v3, v2, v4
	v_lshrrev_b32_e32 v3, s5, v3
	v_mul_lo_u32 v4, v1, s16
	v_mul_hi_u32 v1, s7, v3
	v_mul_lo_u32 v6, v3, s3
	v_add_u32_e32 v1, v3, v1
	v_lshrrev_b32_e32 v5, s12, v1
	v_mul_hi_u32 v1, s14, v5
	v_sub_u32_e32 v2, v2, v6
	v_mul_lo_u32 v6, v5, s6
	v_mul_lo_u32 v2, v2, s17
	v_add_u32_e32 v1, v5, v1
	v_lshrrev_b32_e32 v1, s15, v1
	v_mul_lo_u32 v8, v1, s13
	v_sub_u32_e32 v3, v3, v6
	v_mul_lo_u32 v3, v3, s18
	v_add3_u32 v0, v4, v0, v2
	v_sub_u32_e32 v5, v5, v8
	v_mul_lo_u32 v5, v5, s19
	v_add3_u32 v0, v3, v0, v5
	s_cbranch_scc1 .LBB5_6
	s_branch .LBB5_132
.LBB5_7:
	s_andn2_saveexec_b64 s[0:1], s[24:25]
	s_cbranch_execz .LBB5_221
.LBB5_8:
	v_cndmask_b32_e64 v0, 0, 1, s[22:23]
	v_cmp_ne_u32_e64 s[0:1], 1, v0
	s_andn2_b64 vcc, exec, s[22:23]
	s_cbranch_vccnz .LBB5_20
; %bb.9:
	s_cmp_lg_u32 s33, 0
	s_mov_b32 s24, 0
	s_cbranch_scc0 .LBB5_23
; %bb.10:
	s_min_u32 s25, s46, 15
	s_add_i32 s25, s25, 1
	s_cmp_eq_u32 s46, 2
	s_cbranch_scc1 .LBB5_24
; %bb.11:
	s_and_b32 s24, s25, 28
	s_add_u32 s2, s20, 0xc4
	s_addc_u32 s3, s21, 0
	s_waitcnt lgkmcnt(0)
	s_mov_b32 s26, 0
	v_mov_b32_e32 v0, 0
	s_mov_b64 s[22:23], s[20:21]
	v_mov_b32_e32 v1, v7
.LBB5_12:                               ; =>This Inner Loop Header: Depth=1
	s_load_dwordx8 s[4:11], s[22:23], 0x4
	s_load_dwordx4 s[12:15], s[22:23], 0x24
	s_load_dwordx4 s[16:19], s[2:3], 0x0
	s_add_u32 s22, s22, 48
	s_addc_u32 s23, s23, 0
	s_waitcnt lgkmcnt(0)
	v_mul_hi_u32 v2, s5, v1
	s_add_i32 s26, s26, 4
	s_add_u32 s2, s2, 16
	s_addc_u32 s3, s3, 0
	v_add_u32_e32 v2, v1, v2
	v_lshrrev_b32_e32 v2, s6, v2
	v_mul_lo_u32 v3, v2, s4
	v_mul_hi_u32 v4, s8, v2
	s_cmp_lg_u32 s24, s26
	v_sub_u32_e32 v1, v1, v3
	v_add_u32_e32 v3, v2, v4
	v_lshrrev_b32_e32 v3, s9, v3
	v_mul_lo_u32 v4, v1, s16
	v_mul_hi_u32 v1, s11, v3
	v_mul_lo_u32 v6, v3, s7
	v_add_u32_e32 v1, v3, v1
	v_lshrrev_b32_e32 v5, s12, v1
	v_mul_hi_u32 v1, s14, v5
	v_sub_u32_e32 v2, v2, v6
	v_mul_lo_u32 v6, v5, s10
	v_mul_lo_u32 v2, v2, s17
	v_add_u32_e32 v1, v5, v1
	v_lshrrev_b32_e32 v1, s15, v1
	v_mul_lo_u32 v8, v1, s13
	v_sub_u32_e32 v3, v3, v6
	v_mul_lo_u32 v3, v3, s18
	v_add3_u32 v0, v4, v0, v2
	v_sub_u32_e32 v5, v5, v8
	v_mul_lo_u32 v5, v5, s19
	v_add3_u32 v0, v3, v0, v5
	s_cbranch_scc1 .LBB5_12
; %bb.13:
	s_and_b32 s6, s25, 3
	s_cmp_eq_u32 s6, 0
	s_cbranch_scc0 .LBB5_25
	s_branch .LBB5_27
.LBB5_14:
	s_or_b64 exec, exec, s[40:41]
	v_cmp_gt_i32_e32 vcc, s48, v7
	s_and_saveexec_b64 s[40:41], vcc
	s_cbranch_execz .LBB5_139
.LBB5_15:
	s_andn2_b64 vcc, exec, s[22:23]
	s_cbranch_vccnz .LBB5_22
; %bb.16:
	s_andn2_b64 vcc, exec, s[38:39]
	s_cbranch_vccnz .LBB5_130
; %bb.17:
	s_add_i32 s51, s49, 1
	s_cmp_eq_u32 s46, 2
	s_cbranch_scc1 .LBB5_147
; %bb.18:
	s_and_b32 s50, s51, 28
	s_mov_b32 s52, 0
	v_mov_b32_e32 v0, 0
	s_mov_b64 s[42:43], s[20:21]
	s_mov_b64 s[44:45], s[36:37]
	v_mov_b32_e32 v1, v7
.LBB5_19:                               ; =>This Inner Loop Header: Depth=1
	s_load_dwordx8 s[0:7], s[42:43], 0x4
	s_load_dwordx4 s[12:15], s[42:43], 0x24
	s_load_dwordx4 s[16:19], s[44:45], 0x0
	s_add_u32 s42, s42, 48
	s_addc_u32 s43, s43, 0
	s_waitcnt lgkmcnt(0)
	v_mul_hi_u32 v2, s1, v1
	s_add_i32 s52, s52, 4
	s_add_u32 s44, s44, 16
	s_addc_u32 s45, s45, 0
	v_add_u32_e32 v2, v1, v2
	v_lshrrev_b32_e32 v2, s2, v2
	v_mul_lo_u32 v3, v2, s0
	v_mul_hi_u32 v4, s4, v2
	s_cmp_eq_u32 s50, s52
	v_sub_u32_e32 v1, v1, v3
	v_add_u32_e32 v3, v2, v4
	v_lshrrev_b32_e32 v3, s5, v3
	v_mul_lo_u32 v4, v1, s16
	v_mul_hi_u32 v1, s7, v3
	v_mul_lo_u32 v6, v3, s3
	v_add_u32_e32 v1, v3, v1
	v_lshrrev_b32_e32 v5, s12, v1
	v_mul_hi_u32 v1, s14, v5
	v_sub_u32_e32 v2, v2, v6
	v_mul_lo_u32 v6, v5, s6
	v_mul_lo_u32 v2, v2, s17
	v_add_u32_e32 v1, v5, v1
	v_lshrrev_b32_e32 v1, s15, v1
	v_mul_lo_u32 v8, v1, s13
	v_sub_u32_e32 v3, v3, v6
	v_mul_lo_u32 v3, v3, s18
	v_add3_u32 v0, v4, v0, v2
	v_sub_u32_e32 v5, v5, v8
	v_mul_lo_u32 v5, v5, s19
	v_add3_u32 v0, v3, v0, v5
	s_cbranch_scc0 .LBB5_19
	s_branch .LBB5_148
.LBB5_20:
                                        ; implicit-def: $vgpr0
	s_branch .LBB5_28
.LBB5_21:
                                        ; implicit-def: $vgpr0
	s_branch .LBB5_136
.LBB5_22:
                                        ; implicit-def: $vgpr0
	s_branch .LBB5_152
.LBB5_23:
	v_mov_b32_e32 v0, 0
	s_branch .LBB5_27
.LBB5_24:
	v_mov_b32_e32 v0, 0
	v_mov_b32_e32 v1, v7
	s_and_b32 s6, s25, 3
	s_cmp_eq_u32 s6, 0
	s_cbranch_scc1 .LBB5_27
.LBB5_25:
	s_lshl_b32 s2, s24, 2
	s_add_u32 s2, s20, s2
	s_addc_u32 s3, s21, 0
	s_add_u32 s2, s2, 0xc4
	s_addc_u32 s3, s3, 0
	s_mul_i32 s4, s24, 12
	s_add_u32 s4, s20, s4
	s_addc_u32 s5, s21, 0
.LBB5_26:                               ; =>This Inner Loop Header: Depth=1
	s_waitcnt lgkmcnt(0)
	s_load_dwordx2 s[8:9], s[4:5], 0x4
	s_load_dword s7, s[4:5], 0xc
	s_add_u32 s4, s4, 12
	s_addc_u32 s5, s5, 0
	s_waitcnt lgkmcnt(0)
	v_mul_hi_u32 v2, s9, v1
	s_load_dword s9, s[2:3], 0x0
	s_add_u32 s2, s2, 4
	s_addc_u32 s3, s3, 0
	v_add_u32_e32 v2, v1, v2
	v_lshrrev_b32_e32 v2, s7, v2
	v_mul_lo_u32 v3, v2, s8
	s_add_i32 s6, s6, -1
	s_cmp_lg_u32 s6, 0
	v_sub_u32_e32 v1, v1, v3
	s_waitcnt lgkmcnt(0)
	v_mad_u64_u32 v[0:1], s[8:9], v1, s9, v[0:1]
	v_mov_b32_e32 v1, v2
	s_cbranch_scc1 .LBB5_26
.LBB5_27:
	s_cbranch_execnz .LBB5_30
.LBB5_28:
	s_load_dwordx4 s[4:7], s[20:21], 0x4
	s_load_dword s2, s[20:21], 0xc4
	s_cmp_lt_u32 s33, 2
	s_waitcnt lgkmcnt(0)
	v_mul_hi_u32 v0, s5, v7
	v_add_u32_e32 v0, v7, v0
	v_lshrrev_b32_e32 v1, s6, v0
	v_mul_lo_u32 v0, v1, s4
	v_sub_u32_e32 v0, v7, v0
	v_mul_lo_u32 v0, v0, s2
	s_cbranch_scc1 .LBB5_30
; %bb.29:
	s_load_dwordx4 s[4:7], s[20:21], 0x10
	s_load_dword s2, s[20:21], 0xc8
	s_waitcnt lgkmcnt(0)
	v_mul_hi_u32 v2, s5, v1
	v_add_u32_e32 v2, v1, v2
	v_lshrrev_b32_e32 v2, s6, v2
	v_mul_lo_u32 v2, v2, s4
	v_sub_u32_e32 v1, v1, v2
	v_mad_u64_u32 v[0:1], s[2:3], v1, s2, v[0:1]
.LBB5_30:
	s_and_b64 vcc, exec, s[0:1]
	v_add_u32_e32 v3, 0x80, v7
	s_cbranch_vccnz .LBB5_36
; %bb.31:
	s_cmp_lg_u32 s33, 0
	s_mov_b32 s24, 0
	s_cbranch_scc0 .LBB5_37
; %bb.32:
	s_min_u32 s25, s46, 15
	s_add_i32 s25, s25, 1
	s_cmp_eq_u32 s46, 2
	s_cbranch_scc1 .LBB5_38
; %bb.33:
	s_and_b32 s24, s25, 28
	s_add_u32 s2, s20, 0xc4
	s_addc_u32 s3, s21, 0
	s_waitcnt lgkmcnt(0)
	s_mov_b32 s26, 0
	v_mov_b32_e32 v1, 0
	s_mov_b64 s[22:23], s[20:21]
	v_mov_b32_e32 v2, v3
.LBB5_34:                               ; =>This Inner Loop Header: Depth=1
	s_load_dwordx8 s[4:11], s[22:23], 0x4
	s_load_dwordx4 s[12:15], s[22:23], 0x24
	s_load_dwordx4 s[16:19], s[2:3], 0x0
	s_add_u32 s22, s22, 48
	s_addc_u32 s23, s23, 0
	s_waitcnt lgkmcnt(0)
	v_mul_hi_u32 v4, s5, v2
	s_add_i32 s26, s26, 4
	s_add_u32 s2, s2, 16
	s_addc_u32 s3, s3, 0
	v_add_u32_e32 v4, v2, v4
	v_lshrrev_b32_e32 v4, s6, v4
	v_mul_lo_u32 v5, v4, s4
	v_mul_hi_u32 v6, s8, v4
	s_cmp_lg_u32 s24, s26
	v_sub_u32_e32 v2, v2, v5
	v_add_u32_e32 v5, v4, v6
	v_lshrrev_b32_e32 v5, s9, v5
	v_mul_lo_u32 v6, v2, s16
	v_mul_hi_u32 v2, s11, v5
	v_mul_lo_u32 v10, v5, s7
	v_add_u32_e32 v2, v5, v2
	v_lshrrev_b32_e32 v8, s12, v2
	v_mul_hi_u32 v2, s14, v8
	v_sub_u32_e32 v4, v4, v10
	v_mul_lo_u32 v10, v8, s10
	v_mul_lo_u32 v4, v4, s17
	v_add_u32_e32 v2, v8, v2
	v_lshrrev_b32_e32 v2, s15, v2
	v_mul_lo_u32 v11, v2, s13
	v_sub_u32_e32 v5, v5, v10
	v_mul_lo_u32 v5, v5, s18
	v_add3_u32 v1, v6, v1, v4
	v_sub_u32_e32 v8, v8, v11
	v_mul_lo_u32 v8, v8, s19
	v_add3_u32 v1, v5, v1, v8
	s_cbranch_scc1 .LBB5_34
; %bb.35:
	s_and_b32 s6, s25, 3
	s_cmp_eq_u32 s6, 0
	s_cbranch_scc0 .LBB5_39
	s_branch .LBB5_41
.LBB5_36:
                                        ; implicit-def: $vgpr1
	s_branch .LBB5_42
.LBB5_37:
	v_mov_b32_e32 v1, 0
	s_branch .LBB5_41
.LBB5_38:
	v_mov_b32_e32 v1, 0
	v_mov_b32_e32 v2, v3
	s_and_b32 s6, s25, 3
	s_cmp_eq_u32 s6, 0
	s_cbranch_scc1 .LBB5_41
.LBB5_39:
	s_lshl_b32 s2, s24, 2
	s_add_u32 s2, s20, s2
	s_addc_u32 s3, s21, 0
	s_add_u32 s2, s2, 0xc4
	s_addc_u32 s3, s3, 0
	s_mul_i32 s4, s24, 12
	s_add_u32 s4, s20, s4
	s_addc_u32 s5, s21, 0
.LBB5_40:                               ; =>This Inner Loop Header: Depth=1
	s_waitcnt lgkmcnt(0)
	s_load_dwordx2 s[8:9], s[4:5], 0x4
	s_load_dword s7, s[4:5], 0xc
	s_add_u32 s4, s4, 12
	s_addc_u32 s5, s5, 0
	s_waitcnt lgkmcnt(0)
	v_mul_hi_u32 v4, s9, v2
	s_load_dword s9, s[2:3], 0x0
	s_add_u32 s2, s2, 4
	s_addc_u32 s3, s3, 0
	v_add_u32_e32 v4, v2, v4
	v_lshrrev_b32_e32 v4, s7, v4
	v_mul_lo_u32 v5, v4, s8
	s_add_i32 s6, s6, -1
	s_cmp_lg_u32 s6, 0
	v_sub_u32_e32 v2, v2, v5
	s_waitcnt lgkmcnt(0)
	v_mad_u64_u32 v[1:2], s[8:9], v2, s9, v[1:2]
	v_mov_b32_e32 v2, v4
	s_cbranch_scc1 .LBB5_40
.LBB5_41:
	s_cbranch_execnz .LBB5_44
.LBB5_42:
	s_load_dwordx4 s[4:7], s[20:21], 0x4
	s_load_dword s2, s[20:21], 0xc4
	s_cmp_lt_u32 s33, 2
	s_waitcnt lgkmcnt(0)
	v_mul_hi_u32 v1, s5, v3
	v_add_u32_e32 v1, v3, v1
	v_lshrrev_b32_e32 v2, s6, v1
	v_mul_lo_u32 v1, v2, s4
	v_sub_u32_e32 v1, v3, v1
	v_mul_lo_u32 v1, v1, s2
	s_cbranch_scc1 .LBB5_44
; %bb.43:
	s_load_dwordx4 s[4:7], s[20:21], 0x10
	s_load_dword s2, s[20:21], 0xc8
	s_waitcnt lgkmcnt(0)
	v_mul_hi_u32 v3, s5, v2
	v_add_u32_e32 v3, v2, v3
	v_lshrrev_b32_e32 v3, s6, v3
	v_mul_lo_u32 v3, v3, s4
	v_sub_u32_e32 v2, v2, v3
	v_mad_u64_u32 v[1:2], s[2:3], v2, s2, v[1:2]
.LBB5_44:
	s_and_b64 vcc, exec, s[0:1]
	v_add_u32_e32 v4, 0x100, v7
	s_cbranch_vccnz .LBB5_50
; %bb.45:
	s_cmp_lg_u32 s33, 0
	s_mov_b32 s24, 0
	s_cbranch_scc0 .LBB5_51
; %bb.46:
	s_min_u32 s25, s46, 15
	s_add_i32 s25, s25, 1
	s_cmp_eq_u32 s46, 2
	s_cbranch_scc1 .LBB5_52
; %bb.47:
	s_and_b32 s24, s25, 28
	s_add_u32 s2, s20, 0xc4
	s_addc_u32 s3, s21, 0
	s_waitcnt lgkmcnt(0)
	s_mov_b32 s26, 0
	v_mov_b32_e32 v2, 0
	s_mov_b64 s[22:23], s[20:21]
	v_mov_b32_e32 v3, v4
.LBB5_48:                               ; =>This Inner Loop Header: Depth=1
	s_load_dwordx8 s[4:11], s[22:23], 0x4
	s_load_dwordx4 s[12:15], s[22:23], 0x24
	s_load_dwordx4 s[16:19], s[2:3], 0x0
	s_add_u32 s22, s22, 48
	s_addc_u32 s23, s23, 0
	s_waitcnt lgkmcnt(0)
	v_mul_hi_u32 v5, s5, v3
	s_add_i32 s26, s26, 4
	s_add_u32 s2, s2, 16
	s_addc_u32 s3, s3, 0
	v_add_u32_e32 v5, v3, v5
	v_lshrrev_b32_e32 v5, s6, v5
	v_mul_lo_u32 v6, v5, s4
	v_mul_hi_u32 v8, s8, v5
	s_cmp_lg_u32 s24, s26
	v_sub_u32_e32 v3, v3, v6
	v_add_u32_e32 v6, v5, v8
	v_lshrrev_b32_e32 v6, s9, v6
	v_mul_lo_u32 v8, v3, s16
	v_mul_hi_u32 v3, s11, v6
	v_mul_lo_u32 v11, v6, s7
	v_add_u32_e32 v3, v6, v3
	v_lshrrev_b32_e32 v10, s12, v3
	v_mul_hi_u32 v3, s14, v10
	v_sub_u32_e32 v5, v5, v11
	v_mul_lo_u32 v11, v10, s10
	v_mul_lo_u32 v5, v5, s17
	v_add_u32_e32 v3, v10, v3
	v_lshrrev_b32_e32 v3, s15, v3
	v_mul_lo_u32 v12, v3, s13
	v_sub_u32_e32 v6, v6, v11
	v_mul_lo_u32 v6, v6, s18
	v_add3_u32 v2, v8, v2, v5
	v_sub_u32_e32 v10, v10, v12
	v_mul_lo_u32 v10, v10, s19
	v_add3_u32 v2, v6, v2, v10
	s_cbranch_scc1 .LBB5_48
; %bb.49:
	s_and_b32 s6, s25, 3
	s_cmp_eq_u32 s6, 0
	s_cbranch_scc0 .LBB5_53
	s_branch .LBB5_55
.LBB5_50:
                                        ; implicit-def: $vgpr2
	s_branch .LBB5_56
.LBB5_51:
	v_mov_b32_e32 v2, 0
	s_branch .LBB5_55
.LBB5_52:
	v_mov_b32_e32 v2, 0
	v_mov_b32_e32 v3, v4
	s_and_b32 s6, s25, 3
	s_cmp_eq_u32 s6, 0
	s_cbranch_scc1 .LBB5_55
.LBB5_53:
	s_lshl_b32 s2, s24, 2
	s_add_u32 s2, s20, s2
	s_addc_u32 s3, s21, 0
	s_add_u32 s2, s2, 0xc4
	s_addc_u32 s3, s3, 0
	s_mul_i32 s4, s24, 12
	s_add_u32 s4, s20, s4
	s_addc_u32 s5, s21, 0
.LBB5_54:                               ; =>This Inner Loop Header: Depth=1
	s_waitcnt lgkmcnt(0)
	s_load_dwordx2 s[8:9], s[4:5], 0x4
	s_load_dword s7, s[4:5], 0xc
	s_add_u32 s4, s4, 12
	s_addc_u32 s5, s5, 0
	s_waitcnt lgkmcnt(0)
	v_mul_hi_u32 v5, s9, v3
	s_load_dword s9, s[2:3], 0x0
	s_add_u32 s2, s2, 4
	s_addc_u32 s3, s3, 0
	v_add_u32_e32 v5, v3, v5
	v_lshrrev_b32_e32 v5, s7, v5
	v_mul_lo_u32 v6, v5, s8
	s_add_i32 s6, s6, -1
	s_cmp_lg_u32 s6, 0
	v_sub_u32_e32 v3, v3, v6
	s_waitcnt lgkmcnt(0)
	v_mad_u64_u32 v[2:3], s[8:9], v3, s9, v[2:3]
	v_mov_b32_e32 v3, v5
	s_cbranch_scc1 .LBB5_54
.LBB5_55:
	s_cbranch_execnz .LBB5_58
.LBB5_56:
	s_load_dwordx4 s[4:7], s[20:21], 0x4
	s_load_dword s2, s[20:21], 0xc4
	s_cmp_lt_u32 s33, 2
	s_waitcnt lgkmcnt(0)
	v_mul_hi_u32 v2, s5, v4
	v_add_u32_e32 v2, v4, v2
	v_lshrrev_b32_e32 v3, s6, v2
	v_mul_lo_u32 v2, v3, s4
	v_sub_u32_e32 v2, v4, v2
	v_mul_lo_u32 v2, v2, s2
	s_cbranch_scc1 .LBB5_58
; %bb.57:
	s_load_dwordx4 s[4:7], s[20:21], 0x10
	s_load_dword s2, s[20:21], 0xc8
	s_waitcnt lgkmcnt(0)
	v_mul_hi_u32 v4, s5, v3
	v_add_u32_e32 v4, v3, v4
	v_lshrrev_b32_e32 v4, s6, v4
	v_mul_lo_u32 v4, v4, s4
	v_sub_u32_e32 v3, v3, v4
	v_mad_u64_u32 v[2:3], s[2:3], v3, s2, v[2:3]
.LBB5_58:
	s_and_b64 vcc, exec, s[0:1]
	v_add_u32_e32 v5, 0x180, v7
	s_cbranch_vccnz .LBB5_64
; %bb.59:
	s_cmp_lg_u32 s33, 0
	s_mov_b32 s24, 0
	s_cbranch_scc0 .LBB5_65
; %bb.60:
	s_min_u32 s25, s46, 15
	s_add_i32 s25, s25, 1
	s_cmp_eq_u32 s46, 2
	s_cbranch_scc1 .LBB5_66
; %bb.61:
	s_and_b32 s24, s25, 28
	s_add_u32 s2, s20, 0xc4
	s_addc_u32 s3, s21, 0
	s_waitcnt lgkmcnt(0)
	s_mov_b32 s26, 0
	v_mov_b32_e32 v3, 0
	s_mov_b64 s[22:23], s[20:21]
	v_mov_b32_e32 v4, v5
.LBB5_62:                               ; =>This Inner Loop Header: Depth=1
	s_load_dwordx8 s[4:11], s[22:23], 0x4
	s_load_dwordx4 s[12:15], s[22:23], 0x24
	s_load_dwordx4 s[16:19], s[2:3], 0x0
	s_add_u32 s22, s22, 48
	s_addc_u32 s23, s23, 0
	s_waitcnt lgkmcnt(0)
	v_mul_hi_u32 v6, s5, v4
	s_add_i32 s26, s26, 4
	s_add_u32 s2, s2, 16
	s_addc_u32 s3, s3, 0
	v_add_u32_e32 v6, v4, v6
	v_lshrrev_b32_e32 v6, s6, v6
	v_mul_lo_u32 v8, v6, s4
	v_mul_hi_u32 v10, s8, v6
	s_cmp_lg_u32 s24, s26
	v_sub_u32_e32 v4, v4, v8
	v_add_u32_e32 v8, v6, v10
	v_lshrrev_b32_e32 v8, s9, v8
	v_mul_lo_u32 v10, v4, s16
	v_mul_hi_u32 v4, s11, v8
	v_mul_lo_u32 v12, v8, s7
	v_add_u32_e32 v4, v8, v4
	v_lshrrev_b32_e32 v11, s12, v4
	v_mul_hi_u32 v4, s14, v11
	v_sub_u32_e32 v6, v6, v12
	v_mul_lo_u32 v12, v11, s10
	v_mul_lo_u32 v6, v6, s17
	v_add_u32_e32 v4, v11, v4
	v_lshrrev_b32_e32 v4, s15, v4
	v_mul_lo_u32 v13, v4, s13
	v_sub_u32_e32 v8, v8, v12
	v_mul_lo_u32 v8, v8, s18
	v_add3_u32 v3, v10, v3, v6
	v_sub_u32_e32 v11, v11, v13
	v_mul_lo_u32 v11, v11, s19
	v_add3_u32 v3, v8, v3, v11
	s_cbranch_scc1 .LBB5_62
; %bb.63:
	s_and_b32 s6, s25, 3
	s_cmp_eq_u32 s6, 0
	s_cbranch_scc0 .LBB5_67
	s_branch .LBB5_69
.LBB5_64:
                                        ; implicit-def: $vgpr3
	s_branch .LBB5_70
.LBB5_65:
	v_mov_b32_e32 v3, 0
	s_branch .LBB5_69
.LBB5_66:
	v_mov_b32_e32 v3, 0
	v_mov_b32_e32 v4, v5
	s_and_b32 s6, s25, 3
	s_cmp_eq_u32 s6, 0
	s_cbranch_scc1 .LBB5_69
.LBB5_67:
	s_lshl_b32 s2, s24, 2
	s_add_u32 s2, s20, s2
	s_addc_u32 s3, s21, 0
	s_add_u32 s2, s2, 0xc4
	s_addc_u32 s3, s3, 0
	s_mul_i32 s4, s24, 12
	s_add_u32 s4, s20, s4
	s_addc_u32 s5, s21, 0
.LBB5_68:                               ; =>This Inner Loop Header: Depth=1
	s_waitcnt lgkmcnt(0)
	s_load_dwordx2 s[8:9], s[4:5], 0x4
	s_load_dword s7, s[4:5], 0xc
	s_add_u32 s4, s4, 12
	s_addc_u32 s5, s5, 0
	s_waitcnt lgkmcnt(0)
	v_mul_hi_u32 v6, s9, v4
	s_load_dword s9, s[2:3], 0x0
	s_add_u32 s2, s2, 4
	s_addc_u32 s3, s3, 0
	v_add_u32_e32 v6, v4, v6
	v_lshrrev_b32_e32 v6, s7, v6
	v_mul_lo_u32 v8, v6, s8
	s_add_i32 s6, s6, -1
	s_cmp_lg_u32 s6, 0
	v_sub_u32_e32 v4, v4, v8
	s_waitcnt lgkmcnt(0)
	v_mad_u64_u32 v[3:4], s[8:9], v4, s9, v[3:4]
	v_mov_b32_e32 v4, v6
	s_cbranch_scc1 .LBB5_68
.LBB5_69:
	s_cbranch_execnz .LBB5_72
.LBB5_70:
	s_load_dwordx4 s[4:7], s[20:21], 0x4
	s_load_dword s2, s[20:21], 0xc4
	s_cmp_lt_u32 s33, 2
	s_waitcnt lgkmcnt(0)
	v_mul_hi_u32 v3, s5, v5
	v_add_u32_e32 v3, v5, v3
	v_lshrrev_b32_e32 v4, s6, v3
	v_mul_lo_u32 v3, v4, s4
	v_sub_u32_e32 v3, v5, v3
	v_mul_lo_u32 v3, v3, s2
	s_cbranch_scc1 .LBB5_72
; %bb.71:
	s_load_dwordx4 s[4:7], s[20:21], 0x10
	s_load_dword s2, s[20:21], 0xc8
	s_waitcnt lgkmcnt(0)
	v_mul_hi_u32 v5, s5, v4
	v_add_u32_e32 v5, v4, v5
	v_lshrrev_b32_e32 v5, s6, v5
	v_mul_lo_u32 v5, v5, s4
	v_sub_u32_e32 v4, v4, v5
	v_mad_u64_u32 v[3:4], s[2:3], v4, s2, v[3:4]
.LBB5_72:
	s_and_b64 vcc, exec, s[0:1]
	v_add_u32_e32 v6, 0x200, v7
	s_cbranch_vccnz .LBB5_78
; %bb.73:
	s_cmp_lg_u32 s33, 0
	s_mov_b32 s24, 0
	s_cbranch_scc0 .LBB5_79
; %bb.74:
	s_min_u32 s25, s46, 15
	s_add_i32 s25, s25, 1
	s_cmp_eq_u32 s46, 2
	s_cbranch_scc1 .LBB5_80
; %bb.75:
	s_and_b32 s24, s25, 28
	s_add_u32 s2, s20, 0xc4
	s_addc_u32 s3, s21, 0
	s_waitcnt lgkmcnt(0)
	s_mov_b32 s26, 0
	v_mov_b32_e32 v4, 0
	s_mov_b64 s[22:23], s[20:21]
	v_mov_b32_e32 v5, v6
.LBB5_76:                               ; =>This Inner Loop Header: Depth=1
	s_load_dwordx8 s[4:11], s[22:23], 0x4
	s_load_dwordx4 s[12:15], s[22:23], 0x24
	s_load_dwordx4 s[16:19], s[2:3], 0x0
	s_add_u32 s22, s22, 48
	s_addc_u32 s23, s23, 0
	s_waitcnt lgkmcnt(0)
	v_mul_hi_u32 v8, s5, v5
	s_add_i32 s26, s26, 4
	s_add_u32 s2, s2, 16
	s_addc_u32 s3, s3, 0
	v_add_u32_e32 v8, v5, v8
	v_lshrrev_b32_e32 v8, s6, v8
	v_mul_lo_u32 v10, v8, s4
	v_mul_hi_u32 v11, s8, v8
	s_cmp_lg_u32 s24, s26
	v_sub_u32_e32 v5, v5, v10
	v_add_u32_e32 v10, v8, v11
	v_lshrrev_b32_e32 v10, s9, v10
	v_mul_lo_u32 v11, v5, s16
	v_mul_hi_u32 v5, s11, v10
	v_mul_lo_u32 v13, v10, s7
	v_add_u32_e32 v5, v10, v5
	v_lshrrev_b32_e32 v12, s12, v5
	v_mul_hi_u32 v5, s14, v12
	v_sub_u32_e32 v8, v8, v13
	v_mul_lo_u32 v13, v12, s10
	v_mul_lo_u32 v8, v8, s17
	v_add_u32_e32 v5, v12, v5
	v_lshrrev_b32_e32 v5, s15, v5
	v_mul_lo_u32 v14, v5, s13
	v_sub_u32_e32 v10, v10, v13
	v_mul_lo_u32 v10, v10, s18
	v_add3_u32 v4, v11, v4, v8
	v_sub_u32_e32 v12, v12, v14
	v_mul_lo_u32 v12, v12, s19
	v_add3_u32 v4, v10, v4, v12
	s_cbranch_scc1 .LBB5_76
; %bb.77:
	s_and_b32 s6, s25, 3
	s_cmp_eq_u32 s6, 0
	s_cbranch_scc0 .LBB5_81
	s_branch .LBB5_83
.LBB5_78:
                                        ; implicit-def: $vgpr4
	s_branch .LBB5_84
.LBB5_79:
	v_mov_b32_e32 v4, 0
	s_branch .LBB5_83
.LBB5_80:
	v_mov_b32_e32 v4, 0
	v_mov_b32_e32 v5, v6
	s_and_b32 s6, s25, 3
	s_cmp_eq_u32 s6, 0
	s_cbranch_scc1 .LBB5_83
.LBB5_81:
	s_lshl_b32 s2, s24, 2
	s_add_u32 s2, s20, s2
	s_addc_u32 s3, s21, 0
	s_add_u32 s2, s2, 0xc4
	s_addc_u32 s3, s3, 0
	s_mul_i32 s4, s24, 12
	s_add_u32 s4, s20, s4
	s_addc_u32 s5, s21, 0
.LBB5_82:                               ; =>This Inner Loop Header: Depth=1
	s_waitcnt lgkmcnt(0)
	s_load_dwordx2 s[8:9], s[4:5], 0x4
	s_load_dword s7, s[4:5], 0xc
	s_add_u32 s4, s4, 12
	s_addc_u32 s5, s5, 0
	s_waitcnt lgkmcnt(0)
	v_mul_hi_u32 v8, s9, v5
	s_load_dword s9, s[2:3], 0x0
	s_add_u32 s2, s2, 4
	s_addc_u32 s3, s3, 0
	v_add_u32_e32 v8, v5, v8
	v_lshrrev_b32_e32 v8, s7, v8
	v_mul_lo_u32 v10, v8, s8
	s_add_i32 s6, s6, -1
	s_cmp_lg_u32 s6, 0
	v_sub_u32_e32 v5, v5, v10
	s_waitcnt lgkmcnt(0)
	v_mad_u64_u32 v[4:5], s[8:9], v5, s9, v[4:5]
	v_mov_b32_e32 v5, v8
	s_cbranch_scc1 .LBB5_82
.LBB5_83:
	s_cbranch_execnz .LBB5_86
.LBB5_84:
	s_load_dwordx4 s[4:7], s[20:21], 0x4
	s_load_dword s2, s[20:21], 0xc4
	s_cmp_lt_u32 s33, 2
	s_waitcnt lgkmcnt(0)
	v_mul_hi_u32 v4, s5, v6
	v_add_u32_e32 v4, v6, v4
	v_lshrrev_b32_e32 v5, s6, v4
	v_mul_lo_u32 v4, v5, s4
	v_sub_u32_e32 v4, v6, v4
	v_mul_lo_u32 v4, v4, s2
	s_cbranch_scc1 .LBB5_86
; %bb.85:
	s_load_dwordx4 s[4:7], s[20:21], 0x10
	s_load_dword s2, s[20:21], 0xc8
	s_waitcnt lgkmcnt(0)
	v_mul_hi_u32 v6, s5, v5
	v_add_u32_e32 v6, v5, v6
	v_lshrrev_b32_e32 v6, s6, v6
	v_mul_lo_u32 v6, v6, s4
	v_sub_u32_e32 v5, v5, v6
	v_mad_u64_u32 v[4:5], s[2:3], v5, s2, v[4:5]
.LBB5_86:
	s_and_b64 vcc, exec, s[0:1]
	v_add_u32_e32 v8, 0x280, v7
	s_cbranch_vccnz .LBB5_92
; %bb.87:
	s_cmp_lg_u32 s33, 0
	s_mov_b32 s24, 0
	s_cbranch_scc0 .LBB5_93
; %bb.88:
	s_min_u32 s25, s46, 15
	s_add_i32 s25, s25, 1
	s_cmp_eq_u32 s46, 2
	s_cbranch_scc1 .LBB5_94
; %bb.89:
	s_and_b32 s24, s25, 28
	s_add_u32 s2, s20, 0xc4
	s_addc_u32 s3, s21, 0
	s_waitcnt lgkmcnt(0)
	s_mov_b32 s26, 0
	v_mov_b32_e32 v5, 0
	s_mov_b64 s[22:23], s[20:21]
	v_mov_b32_e32 v6, v8
.LBB5_90:                               ; =>This Inner Loop Header: Depth=1
	s_load_dwordx8 s[4:11], s[22:23], 0x4
	s_load_dwordx4 s[12:15], s[22:23], 0x24
	s_load_dwordx4 s[16:19], s[2:3], 0x0
	s_add_u32 s22, s22, 48
	s_addc_u32 s23, s23, 0
	s_waitcnt lgkmcnt(0)
	v_mul_hi_u32 v10, s5, v6
	s_add_i32 s26, s26, 4
	s_add_u32 s2, s2, 16
	s_addc_u32 s3, s3, 0
	v_add_u32_e32 v10, v6, v10
	v_lshrrev_b32_e32 v10, s6, v10
	v_mul_lo_u32 v11, v10, s4
	v_mul_hi_u32 v12, s8, v10
	s_cmp_lg_u32 s24, s26
	v_sub_u32_e32 v6, v6, v11
	v_add_u32_e32 v11, v10, v12
	v_lshrrev_b32_e32 v11, s9, v11
	v_mul_lo_u32 v12, v6, s16
	v_mul_hi_u32 v6, s11, v11
	v_mul_lo_u32 v14, v11, s7
	v_add_u32_e32 v6, v11, v6
	v_lshrrev_b32_e32 v13, s12, v6
	v_mul_hi_u32 v6, s14, v13
	v_sub_u32_e32 v10, v10, v14
	v_mul_lo_u32 v14, v13, s10
	v_mul_lo_u32 v10, v10, s17
	v_add_u32_e32 v6, v13, v6
	v_lshrrev_b32_e32 v6, s15, v6
	v_mul_lo_u32 v15, v6, s13
	v_sub_u32_e32 v11, v11, v14
	v_mul_lo_u32 v11, v11, s18
	v_add3_u32 v5, v12, v5, v10
	v_sub_u32_e32 v13, v13, v15
	v_mul_lo_u32 v13, v13, s19
	v_add3_u32 v5, v11, v5, v13
	s_cbranch_scc1 .LBB5_90
; %bb.91:
	s_and_b32 s6, s25, 3
	s_cmp_eq_u32 s6, 0
	s_cbranch_scc0 .LBB5_95
	s_branch .LBB5_97
.LBB5_92:
                                        ; implicit-def: $vgpr5
	s_branch .LBB5_98
.LBB5_93:
	v_mov_b32_e32 v5, 0
	s_branch .LBB5_97
.LBB5_94:
	v_mov_b32_e32 v5, 0
	v_mov_b32_e32 v6, v8
	s_and_b32 s6, s25, 3
	s_cmp_eq_u32 s6, 0
	s_cbranch_scc1 .LBB5_97
.LBB5_95:
	s_lshl_b32 s2, s24, 2
	s_add_u32 s2, s20, s2
	s_addc_u32 s3, s21, 0
	s_add_u32 s2, s2, 0xc4
	s_addc_u32 s3, s3, 0
	s_mul_i32 s4, s24, 12
	s_add_u32 s4, s20, s4
	s_addc_u32 s5, s21, 0
.LBB5_96:                               ; =>This Inner Loop Header: Depth=1
	s_waitcnt lgkmcnt(0)
	s_load_dwordx2 s[8:9], s[4:5], 0x4
	s_load_dword s7, s[4:5], 0xc
	s_add_u32 s4, s4, 12
	s_addc_u32 s5, s5, 0
	s_waitcnt lgkmcnt(0)
	v_mul_hi_u32 v10, s9, v6
	s_load_dword s9, s[2:3], 0x0
	s_add_u32 s2, s2, 4
	s_addc_u32 s3, s3, 0
	v_add_u32_e32 v10, v6, v10
	v_lshrrev_b32_e32 v10, s7, v10
	v_mul_lo_u32 v11, v10, s8
	s_add_i32 s6, s6, -1
	s_cmp_lg_u32 s6, 0
	v_sub_u32_e32 v6, v6, v11
	s_waitcnt lgkmcnt(0)
	v_mad_u64_u32 v[5:6], s[8:9], v6, s9, v[5:6]
	v_mov_b32_e32 v6, v10
	s_cbranch_scc1 .LBB5_96
.LBB5_97:
	s_cbranch_execnz .LBB5_100
.LBB5_98:
	s_load_dwordx4 s[4:7], s[20:21], 0x4
	s_load_dword s2, s[20:21], 0xc4
	s_cmp_lt_u32 s33, 2
	s_waitcnt lgkmcnt(0)
	v_mul_hi_u32 v5, s5, v8
	v_add_u32_e32 v5, v8, v5
	v_lshrrev_b32_e32 v6, s6, v5
	v_mul_lo_u32 v5, v6, s4
	v_sub_u32_e32 v5, v8, v5
	v_mul_lo_u32 v5, v5, s2
	s_cbranch_scc1 .LBB5_100
; %bb.99:
	s_load_dwordx4 s[4:7], s[20:21], 0x10
	s_load_dword s2, s[20:21], 0xc8
	s_waitcnt lgkmcnt(0)
	v_mul_hi_u32 v8, s5, v6
	v_add_u32_e32 v8, v6, v8
	v_lshrrev_b32_e32 v8, s6, v8
	v_mul_lo_u32 v8, v8, s4
	v_sub_u32_e32 v6, v6, v8
	v_mad_u64_u32 v[5:6], s[2:3], v6, s2, v[5:6]
.LBB5_100:
	s_and_b64 vcc, exec, s[0:1]
	v_add_u32_e32 v8, 0x300, v7
	s_cbranch_vccnz .LBB5_106
; %bb.101:
	s_cmp_lg_u32 s33, 0
	s_mov_b32 s24, 0
	s_cbranch_scc0 .LBB5_107
; %bb.102:
	s_min_u32 s25, s46, 15
	s_add_i32 s25, s25, 1
	s_cmp_eq_u32 s46, 2
	s_cbranch_scc1 .LBB5_108
; %bb.103:
	s_and_b32 s24, s25, 28
	s_add_u32 s2, s20, 0xc4
	s_addc_u32 s3, s21, 0
	s_waitcnt lgkmcnt(0)
	s_mov_b32 s26, 0
	v_mov_b32_e32 v6, 0
	s_mov_b64 s[22:23], s[20:21]
	v_mov_b32_e32 v7, v8
.LBB5_104:                              ; =>This Inner Loop Header: Depth=1
	s_load_dwordx8 s[4:11], s[22:23], 0x4
	s_load_dwordx4 s[12:15], s[22:23], 0x24
	s_load_dwordx4 s[16:19], s[2:3], 0x0
	s_add_u32 s22, s22, 48
	s_addc_u32 s23, s23, 0
	s_waitcnt lgkmcnt(0)
	v_mul_hi_u32 v10, s5, v7
	s_add_i32 s26, s26, 4
	s_add_u32 s2, s2, 16
	s_addc_u32 s3, s3, 0
	v_add_u32_e32 v10, v7, v10
	v_lshrrev_b32_e32 v10, s6, v10
	v_mul_lo_u32 v11, v10, s4
	v_mul_hi_u32 v12, s8, v10
	s_cmp_lg_u32 s24, s26
	v_sub_u32_e32 v7, v7, v11
	v_add_u32_e32 v11, v10, v12
	v_lshrrev_b32_e32 v11, s9, v11
	v_mul_lo_u32 v12, v7, s16
	v_mul_hi_u32 v7, s11, v11
	v_mul_lo_u32 v14, v11, s7
	v_add_u32_e32 v7, v11, v7
	v_lshrrev_b32_e32 v13, s12, v7
	v_mul_hi_u32 v7, s14, v13
	v_sub_u32_e32 v10, v10, v14
	v_mul_lo_u32 v14, v13, s10
	v_mul_lo_u32 v10, v10, s17
	v_add_u32_e32 v7, v13, v7
	v_lshrrev_b32_e32 v7, s15, v7
	v_mul_lo_u32 v15, v7, s13
	v_sub_u32_e32 v11, v11, v14
	v_mul_lo_u32 v11, v11, s18
	v_add3_u32 v6, v12, v6, v10
	v_sub_u32_e32 v13, v13, v15
	v_mul_lo_u32 v13, v13, s19
	v_add3_u32 v6, v11, v6, v13
	s_cbranch_scc1 .LBB5_104
; %bb.105:
	s_and_b32 s6, s25, 3
	s_cmp_eq_u32 s6, 0
	s_cbranch_scc0 .LBB5_109
	s_branch .LBB5_111
.LBB5_106:
                                        ; implicit-def: $vgpr6
	s_branch .LBB5_112
.LBB5_107:
	v_mov_b32_e32 v6, 0
	s_branch .LBB5_111
.LBB5_108:
	v_mov_b32_e32 v6, 0
	v_mov_b32_e32 v7, v8
	s_and_b32 s6, s25, 3
	s_cmp_eq_u32 s6, 0
	s_cbranch_scc1 .LBB5_111
.LBB5_109:
	s_lshl_b32 s2, s24, 2
	s_add_u32 s2, s20, s2
	s_addc_u32 s3, s21, 0
	s_add_u32 s2, s2, 0xc4
	s_addc_u32 s3, s3, 0
	s_mul_i32 s4, s24, 12
	s_add_u32 s4, s20, s4
	s_addc_u32 s5, s21, 0
.LBB5_110:                              ; =>This Inner Loop Header: Depth=1
	s_waitcnt lgkmcnt(0)
	s_load_dwordx2 s[8:9], s[4:5], 0x4
	s_load_dword s7, s[4:5], 0xc
	s_add_u32 s4, s4, 12
	s_addc_u32 s5, s5, 0
	s_waitcnt lgkmcnt(0)
	v_mul_hi_u32 v10, s9, v7
	s_load_dword s9, s[2:3], 0x0
	s_add_u32 s2, s2, 4
	s_addc_u32 s3, s3, 0
	v_add_u32_e32 v10, v7, v10
	v_lshrrev_b32_e32 v10, s7, v10
	v_mul_lo_u32 v11, v10, s8
	s_add_i32 s6, s6, -1
	s_cmp_lg_u32 s6, 0
	v_sub_u32_e32 v7, v7, v11
	s_waitcnt lgkmcnt(0)
	v_mad_u64_u32 v[6:7], s[8:9], v7, s9, v[6:7]
	v_mov_b32_e32 v7, v10
	s_cbranch_scc1 .LBB5_110
.LBB5_111:
	s_cbranch_execnz .LBB5_114
.LBB5_112:
	s_load_dwordx4 s[4:7], s[20:21], 0x4
	s_load_dword s2, s[20:21], 0xc4
	s_cmp_lt_u32 s33, 2
	s_waitcnt lgkmcnt(0)
	v_mul_hi_u32 v6, s5, v8
	v_add_u32_e32 v6, v8, v6
	v_lshrrev_b32_e32 v7, s6, v6
	v_mul_lo_u32 v6, v7, s4
	v_sub_u32_e32 v6, v8, v6
	v_mul_lo_u32 v6, v6, s2
	s_cbranch_scc1 .LBB5_114
; %bb.113:
	s_load_dwordx4 s[4:7], s[20:21], 0x10
	s_load_dword s2, s[20:21], 0xc8
	s_waitcnt lgkmcnt(0)
	v_mul_hi_u32 v8, s5, v7
	v_add_u32_e32 v8, v7, v8
	v_lshrrev_b32_e32 v8, s6, v8
	v_mul_lo_u32 v8, v8, s4
	v_sub_u32_e32 v7, v7, v8
	v_mad_u64_u32 v[6:7], s[2:3], v7, s2, v[6:7]
.LBB5_114:
	s_and_b64 vcc, exec, s[0:1]
	s_cbranch_vccnz .LBB5_120
; %bb.115:
	s_cmp_lg_u32 s33, 0
	s_mov_b32 s22, 0
	s_cbranch_scc0 .LBB5_121
; %bb.116:
	s_min_u32 s23, s46, 15
	s_add_i32 s23, s23, 1
	s_cmp_eq_u32 s46, 2
	s_cbranch_scc1 .LBB5_122
; %bb.117:
	s_and_b32 s22, s23, 28
	s_add_u32 s16, s20, 0xc4
	s_addc_u32 s17, s21, 0
	s_mov_b32 s24, 0
	v_mov_b32_e32 v7, 0
	s_mov_b64 s[18:19], s[20:21]
	v_mov_b32_e32 v8, v9
.LBB5_118:                              ; =>This Inner Loop Header: Depth=1
	s_load_dwordx8 s[0:7], s[18:19], 0x4
	s_waitcnt lgkmcnt(0)
	s_load_dwordx4 s[8:11], s[18:19], 0x24
	s_load_dwordx4 s[12:15], s[16:17], 0x0
	s_add_u32 s18, s18, 48
	s_addc_u32 s19, s19, 0
	v_mul_hi_u32 v10, s1, v8
	s_add_i32 s24, s24, 4
	s_add_u32 s16, s16, 16
	s_addc_u32 s17, s17, 0
	v_add_u32_e32 v10, v8, v10
	v_lshrrev_b32_e32 v10, s2, v10
	v_mul_lo_u32 v11, v10, s0
	v_mul_hi_u32 v12, s4, v10
	s_cmp_lg_u32 s22, s24
	v_sub_u32_e32 v8, v8, v11
	v_add_u32_e32 v11, v10, v12
	v_lshrrev_b32_e32 v11, s5, v11
	s_waitcnt lgkmcnt(0)
	v_mul_lo_u32 v12, v8, s12
	v_mul_hi_u32 v8, s7, v11
	v_mul_lo_u32 v14, v11, s3
	v_add_u32_e32 v8, v11, v8
	v_lshrrev_b32_e32 v13, s8, v8
	v_mul_hi_u32 v8, s10, v13
	v_sub_u32_e32 v10, v10, v14
	v_mul_lo_u32 v14, v13, s6
	v_mul_lo_u32 v10, v10, s13
	v_add_u32_e32 v8, v13, v8
	v_lshrrev_b32_e32 v8, s11, v8
	v_mul_lo_u32 v15, v8, s9
	v_sub_u32_e32 v11, v11, v14
	v_mul_lo_u32 v11, v11, s14
	v_add3_u32 v7, v12, v7, v10
	v_sub_u32_e32 v13, v13, v15
	v_mul_lo_u32 v13, v13, s15
	v_add3_u32 v7, v11, v7, v13
	s_cbranch_scc1 .LBB5_118
; %bb.119:
	s_and_b32 s4, s23, 3
	s_cmp_eq_u32 s4, 0
	s_cbranch_scc0 .LBB5_123
	s_branch .LBB5_125
.LBB5_120:
                                        ; implicit-def: $vgpr7
	s_branch .LBB5_126
.LBB5_121:
	v_mov_b32_e32 v7, 0
	s_branch .LBB5_125
.LBB5_122:
	v_mov_b32_e32 v7, 0
	v_mov_b32_e32 v8, v9
	s_and_b32 s4, s23, 3
	s_cmp_eq_u32 s4, 0
	s_cbranch_scc1 .LBB5_125
.LBB5_123:
	s_lshl_b32 s0, s22, 2
	s_add_u32 s0, s20, s0
	s_addc_u32 s1, s21, 0
	s_add_u32 s0, s0, 0xc4
	s_addc_u32 s1, s1, 0
	s_mul_i32 s2, s22, 12
	s_add_u32 s2, s20, s2
	s_addc_u32 s3, s21, 0
.LBB5_124:                              ; =>This Inner Loop Header: Depth=1
	s_load_dwordx2 s[6:7], s[2:3], 0x4
	s_load_dword s5, s[2:3], 0xc
	s_add_u32 s2, s2, 12
	s_addc_u32 s3, s3, 0
	s_waitcnt lgkmcnt(0)
	v_mul_hi_u32 v10, s7, v8
	s_load_dword s7, s[0:1], 0x0
	s_add_u32 s0, s0, 4
	s_addc_u32 s1, s1, 0
	v_add_u32_e32 v10, v8, v10
	v_lshrrev_b32_e32 v10, s5, v10
	v_mul_lo_u32 v11, v10, s6
	s_add_i32 s4, s4, -1
	s_cmp_lg_u32 s4, 0
	v_sub_u32_e32 v8, v8, v11
	s_waitcnt lgkmcnt(0)
	v_mad_u64_u32 v[7:8], s[6:7], v8, s7, v[7:8]
	v_mov_b32_e32 v8, v10
	s_cbranch_scc1 .LBB5_124
.LBB5_125:
	s_cbranch_execnz .LBB5_128
.LBB5_126:
	s_load_dwordx4 s[0:3], s[20:21], 0x4
	s_waitcnt lgkmcnt(0)
	s_load_dword s3, s[20:21], 0xc4
	s_cmp_lt_u32 s33, 2
	v_mul_hi_u32 v7, s1, v9
	v_add_u32_e32 v7, v9, v7
	v_lshrrev_b32_e32 v8, s2, v7
	v_mul_lo_u32 v7, v8, s0
	v_sub_u32_e32 v7, v9, v7
	s_waitcnt lgkmcnt(0)
	v_mul_lo_u32 v7, v7, s3
	s_cbranch_scc1 .LBB5_128
; %bb.127:
	s_load_dwordx4 s[0:3], s[20:21], 0x10
	s_waitcnt lgkmcnt(0)
	s_load_dword s3, s[20:21], 0xc8
	v_mul_hi_u32 v9, s1, v8
	v_add_u32_e32 v9, v8, v9
	v_lshrrev_b32_e32 v9, s2, v9
	v_mul_lo_u32 v9, v9, s0
	v_sub_u32_e32 v8, v8, v9
	s_waitcnt lgkmcnt(0)
	v_mad_u64_u32 v[7:8], s[0:1], v8, s3, v[7:8]
.LBB5_128:
	s_load_dword s2, s[20:21], 0x110
	s_load_dwordx2 s[0:1], s[20:21], 0x108
	s_waitcnt lgkmcnt(0)
	v_mov_b32_e32 v8, s2
	s_nop 0
	global_store_byte v0, v8, s[0:1]
	global_store_byte v1, v8, s[0:1]
	;; [unrolled: 1-line block ×8, first 2 shown]
	s_endpgm
.LBB5_129:
	v_mov_b32_e32 v0, 0
	s_branch .LBB5_135
.LBB5_130:
	v_mov_b32_e32 v0, 0
	s_branch .LBB5_151
.LBB5_131:
	v_mov_b32_e32 v0, 0
	s_mov_b32 s50, 0
	v_mov_b32_e32 v1, v7
.LBB5_132:
	s_and_b32 s4, s51, 3
	s_cmp_eq_u32 s4, 0
	s_cbranch_scc1 .LBB5_135
; %bb.133:
	s_lshl_b32 s0, s50, 2
	s_add_u32 s0, s20, s0
	s_addc_u32 s1, s21, 0
	s_add_u32 s0, s0, 0xc4
	s_addc_u32 s1, s1, 0
	s_mul_i32 s2, s50, 12
	s_add_u32 s2, s20, s2
	s_addc_u32 s3, s21, 0
.LBB5_134:                              ; =>This Inner Loop Header: Depth=1
	s_load_dwordx2 s[6:7], s[2:3], 0x4
	s_load_dword s5, s[2:3], 0xc
	s_add_u32 s2, s2, 12
	s_addc_u32 s3, s3, 0
	s_waitcnt lgkmcnt(0)
	v_mul_hi_u32 v2, s7, v1
	s_load_dword s7, s[0:1], 0x0
	s_add_u32 s0, s0, 4
	s_addc_u32 s1, s1, 0
	v_add_u32_e32 v2, v1, v2
	v_lshrrev_b32_e32 v2, s5, v2
	v_mul_lo_u32 v3, v2, s6
	s_add_i32 s4, s4, -1
	s_cmp_lg_u32 s4, 0
	v_sub_u32_e32 v1, v1, v3
	s_waitcnt lgkmcnt(0)
	v_mad_u64_u32 v[0:1], s[6:7], v1, s7, v[0:1]
	v_mov_b32_e32 v1, v2
	s_cbranch_scc1 .LBB5_134
.LBB5_135:
	s_cbranch_execnz .LBB5_138
.LBB5_136:
	s_waitcnt lgkmcnt(0)
	v_mul_hi_u32 v0, s9, v7
	s_andn2_b64 vcc, exec, s[34:35]
	v_add_u32_e32 v0, v7, v0
	v_lshrrev_b32_e32 v1, s10, v0
	v_mul_lo_u32 v0, v1, s8
	v_sub_u32_e32 v0, v7, v0
	v_mul_lo_u32 v0, v0, s28
	s_cbranch_vccnz .LBB5_138
; %bb.137:
	v_mul_hi_u32 v2, s30, v1
	v_add_u32_e32 v2, v1, v2
	v_lshrrev_b32_e32 v2, s31, v2
	v_mul_lo_u32 v2, v2, s11
	v_sub_u32_e32 v1, v1, v2
	v_mad_u64_u32 v[0:1], s[0:1], v1, s29, v[0:1]
.LBB5_138:
	s_waitcnt lgkmcnt(0)
	v_mov_b32_e32 v1, s47
	v_add_u32_e32 v7, 0x80, v7
	global_store_byte v0, v1, s[26:27]
	s_or_b64 exec, exec, s[40:41]
	v_cmp_gt_i32_e32 vcc, s48, v7
	s_and_saveexec_b64 s[40:41], vcc
	s_cbranch_execnz .LBB5_15
.LBB5_139:
	s_or_b64 exec, exec, s[40:41]
	v_cmp_gt_i32_e32 vcc, s48, v7
	s_and_saveexec_b64 s[40:41], vcc
	s_cbranch_execz .LBB5_155
.LBB5_140:
	s_andn2_b64 vcc, exec, s[22:23]
	s_cbranch_vccnz .LBB5_145
; %bb.141:
	s_andn2_b64 vcc, exec, s[38:39]
	s_cbranch_vccnz .LBB5_146
; %bb.142:
	s_add_i32 s51, s49, 1
	s_cmp_eq_u32 s46, 2
	s_cbranch_scc1 .LBB5_163
; %bb.143:
	s_and_b32 s50, s51, 28
	s_mov_b32 s52, 0
	v_mov_b32_e32 v0, 0
	s_mov_b64 s[42:43], s[20:21]
	s_mov_b64 s[44:45], s[36:37]
	v_mov_b32_e32 v1, v7
.LBB5_144:                              ; =>This Inner Loop Header: Depth=1
	s_load_dwordx8 s[0:7], s[42:43], 0x4
	s_load_dwordx4 s[12:15], s[42:43], 0x24
	s_load_dwordx4 s[16:19], s[44:45], 0x0
	s_add_u32 s42, s42, 48
	s_addc_u32 s43, s43, 0
	s_waitcnt lgkmcnt(0)
	v_mul_hi_u32 v2, s1, v1
	s_add_i32 s52, s52, 4
	s_add_u32 s44, s44, 16
	s_addc_u32 s45, s45, 0
	v_add_u32_e32 v2, v1, v2
	v_lshrrev_b32_e32 v2, s2, v2
	v_mul_lo_u32 v3, v2, s0
	v_mul_hi_u32 v4, s4, v2
	s_cmp_eq_u32 s50, s52
	v_sub_u32_e32 v1, v1, v3
	v_add_u32_e32 v3, v2, v4
	v_lshrrev_b32_e32 v3, s5, v3
	v_mul_lo_u32 v4, v1, s16
	v_mul_hi_u32 v1, s7, v3
	v_mul_lo_u32 v6, v3, s3
	v_add_u32_e32 v1, v3, v1
	v_lshrrev_b32_e32 v5, s12, v1
	v_mul_hi_u32 v1, s14, v5
	v_sub_u32_e32 v2, v2, v6
	v_mul_lo_u32 v6, v5, s6
	v_mul_lo_u32 v2, v2, s17
	v_add_u32_e32 v1, v5, v1
	v_lshrrev_b32_e32 v1, s15, v1
	v_mul_lo_u32 v8, v1, s13
	v_sub_u32_e32 v3, v3, v6
	v_mul_lo_u32 v3, v3, s18
	v_add3_u32 v0, v4, v0, v2
	v_sub_u32_e32 v5, v5, v8
	v_mul_lo_u32 v5, v5, s19
	v_add3_u32 v0, v3, v0, v5
	s_cbranch_scc0 .LBB5_144
	s_branch .LBB5_164
.LBB5_145:
                                        ; implicit-def: $vgpr0
	s_branch .LBB5_168
.LBB5_146:
	v_mov_b32_e32 v0, 0
	s_branch .LBB5_167
.LBB5_147:
	v_mov_b32_e32 v0, 0
	s_mov_b32 s50, 0
	v_mov_b32_e32 v1, v7
.LBB5_148:
	s_and_b32 s4, s51, 3
	s_cmp_eq_u32 s4, 0
	s_cbranch_scc1 .LBB5_151
; %bb.149:
	s_lshl_b32 s0, s50, 2
	s_add_u32 s0, s20, s0
	s_addc_u32 s1, s21, 0
	s_add_u32 s0, s0, 0xc4
	s_addc_u32 s1, s1, 0
	s_mul_i32 s2, s50, 12
	s_add_u32 s2, s20, s2
	s_addc_u32 s3, s21, 0
.LBB5_150:                              ; =>This Inner Loop Header: Depth=1
	s_load_dwordx2 s[6:7], s[2:3], 0x4
	s_load_dword s5, s[2:3], 0xc
	s_add_u32 s2, s2, 12
	s_addc_u32 s3, s3, 0
	s_waitcnt lgkmcnt(0)
	v_mul_hi_u32 v2, s7, v1
	s_load_dword s7, s[0:1], 0x0
	s_add_u32 s0, s0, 4
	s_addc_u32 s1, s1, 0
	v_add_u32_e32 v2, v1, v2
	v_lshrrev_b32_e32 v2, s5, v2
	v_mul_lo_u32 v3, v2, s6
	s_add_i32 s4, s4, -1
	s_cmp_lg_u32 s4, 0
	v_sub_u32_e32 v1, v1, v3
	s_waitcnt lgkmcnt(0)
	v_mad_u64_u32 v[0:1], s[6:7], v1, s7, v[0:1]
	v_mov_b32_e32 v1, v2
	s_cbranch_scc1 .LBB5_150
.LBB5_151:
	s_cbranch_execnz .LBB5_154
.LBB5_152:
	s_waitcnt lgkmcnt(0)
	v_mul_hi_u32 v0, s9, v7
	s_andn2_b64 vcc, exec, s[34:35]
	v_add_u32_e32 v0, v7, v0
	v_lshrrev_b32_e32 v1, s10, v0
	v_mul_lo_u32 v0, v1, s8
	v_sub_u32_e32 v0, v7, v0
	v_mul_lo_u32 v0, v0, s28
	s_cbranch_vccnz .LBB5_154
; %bb.153:
	v_mul_hi_u32 v2, s30, v1
	v_add_u32_e32 v2, v1, v2
	v_lshrrev_b32_e32 v2, s31, v2
	v_mul_lo_u32 v2, v2, s11
	v_sub_u32_e32 v1, v1, v2
	v_mad_u64_u32 v[0:1], s[0:1], v1, s29, v[0:1]
.LBB5_154:
	s_waitcnt lgkmcnt(0)
	v_mov_b32_e32 v1, s47
	v_add_u32_e32 v7, 0x80, v7
	global_store_byte v0, v1, s[26:27]
	s_or_b64 exec, exec, s[40:41]
	v_cmp_gt_i32_e32 vcc, s48, v7
	s_and_saveexec_b64 s[40:41], vcc
	s_cbranch_execnz .LBB5_140
.LBB5_155:
	s_or_b64 exec, exec, s[40:41]
	v_cmp_gt_i32_e32 vcc, s48, v7
	s_and_saveexec_b64 s[40:41], vcc
	s_cbranch_execz .LBB5_171
.LBB5_156:
	s_andn2_b64 vcc, exec, s[22:23]
	s_cbranch_vccnz .LBB5_161
; %bb.157:
	s_andn2_b64 vcc, exec, s[38:39]
	s_cbranch_vccnz .LBB5_162
; %bb.158:
	s_add_i32 s51, s49, 1
	s_cmp_eq_u32 s46, 2
	s_cbranch_scc1 .LBB5_179
; %bb.159:
	s_and_b32 s50, s51, 28
	s_mov_b32 s52, 0
	v_mov_b32_e32 v0, 0
	s_mov_b64 s[42:43], s[20:21]
	s_mov_b64 s[44:45], s[36:37]
	v_mov_b32_e32 v1, v7
.LBB5_160:                              ; =>This Inner Loop Header: Depth=1
	s_load_dwordx8 s[0:7], s[42:43], 0x4
	s_load_dwordx4 s[12:15], s[42:43], 0x24
	s_load_dwordx4 s[16:19], s[44:45], 0x0
	s_add_u32 s42, s42, 48
	s_addc_u32 s43, s43, 0
	s_waitcnt lgkmcnt(0)
	v_mul_hi_u32 v2, s1, v1
	s_add_i32 s52, s52, 4
	s_add_u32 s44, s44, 16
	s_addc_u32 s45, s45, 0
	v_add_u32_e32 v2, v1, v2
	v_lshrrev_b32_e32 v2, s2, v2
	v_mul_lo_u32 v3, v2, s0
	v_mul_hi_u32 v4, s4, v2
	s_cmp_eq_u32 s50, s52
	v_sub_u32_e32 v1, v1, v3
	v_add_u32_e32 v3, v2, v4
	v_lshrrev_b32_e32 v3, s5, v3
	v_mul_lo_u32 v4, v1, s16
	v_mul_hi_u32 v1, s7, v3
	v_mul_lo_u32 v6, v3, s3
	v_add_u32_e32 v1, v3, v1
	v_lshrrev_b32_e32 v5, s12, v1
	v_mul_hi_u32 v1, s14, v5
	v_sub_u32_e32 v2, v2, v6
	v_mul_lo_u32 v6, v5, s6
	v_mul_lo_u32 v2, v2, s17
	v_add_u32_e32 v1, v5, v1
	v_lshrrev_b32_e32 v1, s15, v1
	v_mul_lo_u32 v8, v1, s13
	v_sub_u32_e32 v3, v3, v6
	v_mul_lo_u32 v3, v3, s18
	v_add3_u32 v0, v4, v0, v2
	v_sub_u32_e32 v5, v5, v8
	v_mul_lo_u32 v5, v5, s19
	v_add3_u32 v0, v3, v0, v5
	s_cbranch_scc0 .LBB5_160
	s_branch .LBB5_180
.LBB5_161:
                                        ; implicit-def: $vgpr0
	s_branch .LBB5_184
.LBB5_162:
	v_mov_b32_e32 v0, 0
	s_branch .LBB5_183
.LBB5_163:
	v_mov_b32_e32 v0, 0
	s_mov_b32 s50, 0
	v_mov_b32_e32 v1, v7
.LBB5_164:
	s_and_b32 s4, s51, 3
	s_cmp_eq_u32 s4, 0
	s_cbranch_scc1 .LBB5_167
; %bb.165:
	s_lshl_b32 s0, s50, 2
	s_add_u32 s0, s20, s0
	s_addc_u32 s1, s21, 0
	s_add_u32 s0, s0, 0xc4
	s_addc_u32 s1, s1, 0
	s_mul_i32 s2, s50, 12
	s_add_u32 s2, s20, s2
	s_addc_u32 s3, s21, 0
.LBB5_166:                              ; =>This Inner Loop Header: Depth=1
	s_load_dwordx2 s[6:7], s[2:3], 0x4
	s_load_dword s5, s[2:3], 0xc
	s_add_u32 s2, s2, 12
	s_addc_u32 s3, s3, 0
	s_waitcnt lgkmcnt(0)
	v_mul_hi_u32 v2, s7, v1
	s_load_dword s7, s[0:1], 0x0
	s_add_u32 s0, s0, 4
	s_addc_u32 s1, s1, 0
	v_add_u32_e32 v2, v1, v2
	v_lshrrev_b32_e32 v2, s5, v2
	v_mul_lo_u32 v3, v2, s6
	s_add_i32 s4, s4, -1
	s_cmp_lg_u32 s4, 0
	v_sub_u32_e32 v1, v1, v3
	s_waitcnt lgkmcnt(0)
	v_mad_u64_u32 v[0:1], s[6:7], v1, s7, v[0:1]
	v_mov_b32_e32 v1, v2
	s_cbranch_scc1 .LBB5_166
.LBB5_167:
	s_cbranch_execnz .LBB5_170
.LBB5_168:
	s_waitcnt lgkmcnt(0)
	v_mul_hi_u32 v0, s9, v7
	s_andn2_b64 vcc, exec, s[34:35]
	v_add_u32_e32 v0, v7, v0
	v_lshrrev_b32_e32 v1, s10, v0
	v_mul_lo_u32 v0, v1, s8
	v_sub_u32_e32 v0, v7, v0
	v_mul_lo_u32 v0, v0, s28
	s_cbranch_vccnz .LBB5_170
; %bb.169:
	v_mul_hi_u32 v2, s30, v1
	v_add_u32_e32 v2, v1, v2
	v_lshrrev_b32_e32 v2, s31, v2
	v_mul_lo_u32 v2, v2, s11
	v_sub_u32_e32 v1, v1, v2
	v_mad_u64_u32 v[0:1], s[0:1], v1, s29, v[0:1]
.LBB5_170:
	s_waitcnt lgkmcnt(0)
	v_mov_b32_e32 v1, s47
	v_add_u32_e32 v7, 0x80, v7
	global_store_byte v0, v1, s[26:27]
	s_or_b64 exec, exec, s[40:41]
	v_cmp_gt_i32_e32 vcc, s48, v7
	s_and_saveexec_b64 s[40:41], vcc
	s_cbranch_execnz .LBB5_156
.LBB5_171:
	s_or_b64 exec, exec, s[40:41]
	v_cmp_gt_i32_e32 vcc, s48, v7
	s_and_saveexec_b64 s[40:41], vcc
	s_cbranch_execz .LBB5_187
.LBB5_172:
	s_andn2_b64 vcc, exec, s[22:23]
	s_cbranch_vccnz .LBB5_177
; %bb.173:
	s_andn2_b64 vcc, exec, s[38:39]
	s_cbranch_vccnz .LBB5_178
; %bb.174:
	s_add_i32 s51, s49, 1
	s_cmp_eq_u32 s46, 2
	s_cbranch_scc1 .LBB5_195
; %bb.175:
	s_and_b32 s50, s51, 28
	s_mov_b32 s52, 0
	v_mov_b32_e32 v0, 0
	s_mov_b64 s[42:43], s[20:21]
	s_mov_b64 s[44:45], s[36:37]
	v_mov_b32_e32 v1, v7
.LBB5_176:                              ; =>This Inner Loop Header: Depth=1
	s_load_dwordx8 s[0:7], s[42:43], 0x4
	s_load_dwordx4 s[12:15], s[42:43], 0x24
	s_load_dwordx4 s[16:19], s[44:45], 0x0
	s_add_u32 s42, s42, 48
	s_addc_u32 s43, s43, 0
	s_waitcnt lgkmcnt(0)
	v_mul_hi_u32 v2, s1, v1
	s_add_i32 s52, s52, 4
	s_add_u32 s44, s44, 16
	s_addc_u32 s45, s45, 0
	v_add_u32_e32 v2, v1, v2
	v_lshrrev_b32_e32 v2, s2, v2
	v_mul_lo_u32 v3, v2, s0
	v_mul_hi_u32 v4, s4, v2
	s_cmp_eq_u32 s50, s52
	v_sub_u32_e32 v1, v1, v3
	v_add_u32_e32 v3, v2, v4
	v_lshrrev_b32_e32 v3, s5, v3
	v_mul_lo_u32 v4, v1, s16
	v_mul_hi_u32 v1, s7, v3
	v_mul_lo_u32 v6, v3, s3
	v_add_u32_e32 v1, v3, v1
	v_lshrrev_b32_e32 v5, s12, v1
	v_mul_hi_u32 v1, s14, v5
	v_sub_u32_e32 v2, v2, v6
	v_mul_lo_u32 v6, v5, s6
	v_mul_lo_u32 v2, v2, s17
	v_add_u32_e32 v1, v5, v1
	v_lshrrev_b32_e32 v1, s15, v1
	v_mul_lo_u32 v8, v1, s13
	v_sub_u32_e32 v3, v3, v6
	v_mul_lo_u32 v3, v3, s18
	v_add3_u32 v0, v4, v0, v2
	v_sub_u32_e32 v5, v5, v8
	v_mul_lo_u32 v5, v5, s19
	v_add3_u32 v0, v3, v0, v5
	s_cbranch_scc0 .LBB5_176
	s_branch .LBB5_196
.LBB5_177:
                                        ; implicit-def: $vgpr0
	s_branch .LBB5_200
.LBB5_178:
	v_mov_b32_e32 v0, 0
	s_branch .LBB5_199
.LBB5_179:
	v_mov_b32_e32 v0, 0
	s_mov_b32 s50, 0
	v_mov_b32_e32 v1, v7
.LBB5_180:
	s_and_b32 s4, s51, 3
	s_cmp_eq_u32 s4, 0
	s_cbranch_scc1 .LBB5_183
; %bb.181:
	s_lshl_b32 s0, s50, 2
	s_add_u32 s0, s20, s0
	s_addc_u32 s1, s21, 0
	s_add_u32 s0, s0, 0xc4
	s_addc_u32 s1, s1, 0
	s_mul_i32 s2, s50, 12
	s_add_u32 s2, s20, s2
	s_addc_u32 s3, s21, 0
.LBB5_182:                              ; =>This Inner Loop Header: Depth=1
	s_load_dwordx2 s[6:7], s[2:3], 0x4
	s_load_dword s5, s[2:3], 0xc
	s_add_u32 s2, s2, 12
	s_addc_u32 s3, s3, 0
	s_waitcnt lgkmcnt(0)
	v_mul_hi_u32 v2, s7, v1
	s_load_dword s7, s[0:1], 0x0
	s_add_u32 s0, s0, 4
	s_addc_u32 s1, s1, 0
	v_add_u32_e32 v2, v1, v2
	v_lshrrev_b32_e32 v2, s5, v2
	v_mul_lo_u32 v3, v2, s6
	s_add_i32 s4, s4, -1
	s_cmp_lg_u32 s4, 0
	v_sub_u32_e32 v1, v1, v3
	s_waitcnt lgkmcnt(0)
	v_mad_u64_u32 v[0:1], s[6:7], v1, s7, v[0:1]
	v_mov_b32_e32 v1, v2
	s_cbranch_scc1 .LBB5_182
.LBB5_183:
	s_cbranch_execnz .LBB5_186
.LBB5_184:
	s_waitcnt lgkmcnt(0)
	v_mul_hi_u32 v0, s9, v7
	s_andn2_b64 vcc, exec, s[34:35]
	v_add_u32_e32 v0, v7, v0
	v_lshrrev_b32_e32 v1, s10, v0
	v_mul_lo_u32 v0, v1, s8
	v_sub_u32_e32 v0, v7, v0
	v_mul_lo_u32 v0, v0, s28
	s_cbranch_vccnz .LBB5_186
; %bb.185:
	v_mul_hi_u32 v2, s30, v1
	v_add_u32_e32 v2, v1, v2
	v_lshrrev_b32_e32 v2, s31, v2
	v_mul_lo_u32 v2, v2, s11
	v_sub_u32_e32 v1, v1, v2
	v_mad_u64_u32 v[0:1], s[0:1], v1, s29, v[0:1]
.LBB5_186:
	s_waitcnt lgkmcnt(0)
	v_mov_b32_e32 v1, s47
	v_add_u32_e32 v7, 0x80, v7
	global_store_byte v0, v1, s[26:27]
	s_or_b64 exec, exec, s[40:41]
	v_cmp_gt_i32_e32 vcc, s48, v7
	s_and_saveexec_b64 s[40:41], vcc
	s_cbranch_execnz .LBB5_172
.LBB5_187:
	s_or_b64 exec, exec, s[40:41]
	v_cmp_gt_i32_e32 vcc, s48, v7
	s_and_saveexec_b64 s[40:41], vcc
	s_cbranch_execz .LBB5_203
.LBB5_188:
	s_andn2_b64 vcc, exec, s[22:23]
	s_cbranch_vccnz .LBB5_193
; %bb.189:
	s_andn2_b64 vcc, exec, s[38:39]
	s_cbranch_vccnz .LBB5_194
; %bb.190:
	s_add_i32 s51, s49, 1
	s_cmp_eq_u32 s46, 2
	s_cbranch_scc1 .LBB5_211
; %bb.191:
	s_and_b32 s50, s51, 28
	s_mov_b32 s52, 0
	v_mov_b32_e32 v0, 0
	s_mov_b64 s[42:43], s[20:21]
	s_mov_b64 s[44:45], s[36:37]
	v_mov_b32_e32 v1, v7
.LBB5_192:                              ; =>This Inner Loop Header: Depth=1
	s_load_dwordx8 s[0:7], s[42:43], 0x4
	s_load_dwordx4 s[12:15], s[42:43], 0x24
	s_load_dwordx4 s[16:19], s[44:45], 0x0
	s_add_u32 s42, s42, 48
	s_addc_u32 s43, s43, 0
	s_waitcnt lgkmcnt(0)
	v_mul_hi_u32 v2, s1, v1
	s_add_i32 s52, s52, 4
	s_add_u32 s44, s44, 16
	s_addc_u32 s45, s45, 0
	v_add_u32_e32 v2, v1, v2
	v_lshrrev_b32_e32 v2, s2, v2
	v_mul_lo_u32 v3, v2, s0
	v_mul_hi_u32 v4, s4, v2
	s_cmp_eq_u32 s50, s52
	v_sub_u32_e32 v1, v1, v3
	v_add_u32_e32 v3, v2, v4
	v_lshrrev_b32_e32 v3, s5, v3
	v_mul_lo_u32 v4, v1, s16
	v_mul_hi_u32 v1, s7, v3
	v_mul_lo_u32 v6, v3, s3
	v_add_u32_e32 v1, v3, v1
	v_lshrrev_b32_e32 v5, s12, v1
	v_mul_hi_u32 v1, s14, v5
	v_sub_u32_e32 v2, v2, v6
	v_mul_lo_u32 v6, v5, s6
	v_mul_lo_u32 v2, v2, s17
	v_add_u32_e32 v1, v5, v1
	v_lshrrev_b32_e32 v1, s15, v1
	v_mul_lo_u32 v8, v1, s13
	v_sub_u32_e32 v3, v3, v6
	v_mul_lo_u32 v3, v3, s18
	v_add3_u32 v0, v4, v0, v2
	v_sub_u32_e32 v5, v5, v8
	v_mul_lo_u32 v5, v5, s19
	v_add3_u32 v0, v3, v0, v5
	s_cbranch_scc0 .LBB5_192
	s_branch .LBB5_212
.LBB5_193:
                                        ; implicit-def: $vgpr0
	s_branch .LBB5_216
.LBB5_194:
	v_mov_b32_e32 v0, 0
	s_branch .LBB5_215
.LBB5_195:
	v_mov_b32_e32 v0, 0
	s_mov_b32 s50, 0
	v_mov_b32_e32 v1, v7
.LBB5_196:
	s_and_b32 s4, s51, 3
	s_cmp_eq_u32 s4, 0
	s_cbranch_scc1 .LBB5_199
; %bb.197:
	s_lshl_b32 s0, s50, 2
	s_add_u32 s0, s20, s0
	s_addc_u32 s1, s21, 0
	s_add_u32 s0, s0, 0xc4
	s_addc_u32 s1, s1, 0
	s_mul_i32 s2, s50, 12
	s_add_u32 s2, s20, s2
	s_addc_u32 s3, s21, 0
.LBB5_198:                              ; =>This Inner Loop Header: Depth=1
	s_load_dwordx2 s[6:7], s[2:3], 0x4
	s_load_dword s5, s[2:3], 0xc
	s_add_u32 s2, s2, 12
	s_addc_u32 s3, s3, 0
	s_waitcnt lgkmcnt(0)
	v_mul_hi_u32 v2, s7, v1
	s_load_dword s7, s[0:1], 0x0
	s_add_u32 s0, s0, 4
	s_addc_u32 s1, s1, 0
	v_add_u32_e32 v2, v1, v2
	v_lshrrev_b32_e32 v2, s5, v2
	v_mul_lo_u32 v3, v2, s6
	s_add_i32 s4, s4, -1
	s_cmp_lg_u32 s4, 0
	v_sub_u32_e32 v1, v1, v3
	s_waitcnt lgkmcnt(0)
	v_mad_u64_u32 v[0:1], s[6:7], v1, s7, v[0:1]
	v_mov_b32_e32 v1, v2
	s_cbranch_scc1 .LBB5_198
.LBB5_199:
	s_cbranch_execnz .LBB5_202
.LBB5_200:
	s_waitcnt lgkmcnt(0)
	v_mul_hi_u32 v0, s9, v7
	s_andn2_b64 vcc, exec, s[34:35]
	v_add_u32_e32 v0, v7, v0
	v_lshrrev_b32_e32 v1, s10, v0
	v_mul_lo_u32 v0, v1, s8
	v_sub_u32_e32 v0, v7, v0
	v_mul_lo_u32 v0, v0, s28
	s_cbranch_vccnz .LBB5_202
; %bb.201:
	v_mul_hi_u32 v2, s30, v1
	v_add_u32_e32 v2, v1, v2
	v_lshrrev_b32_e32 v2, s31, v2
	v_mul_lo_u32 v2, v2, s11
	v_sub_u32_e32 v1, v1, v2
	v_mad_u64_u32 v[0:1], s[0:1], v1, s29, v[0:1]
.LBB5_202:
	s_waitcnt lgkmcnt(0)
	v_mov_b32_e32 v1, s47
	v_add_u32_e32 v7, 0x80, v7
	global_store_byte v0, v1, s[26:27]
	s_or_b64 exec, exec, s[40:41]
	v_cmp_gt_i32_e32 vcc, s48, v7
	s_and_saveexec_b64 s[40:41], vcc
	s_cbranch_execnz .LBB5_188
.LBB5_203:
	s_or_b64 exec, exec, s[40:41]
	v_cmp_gt_i32_e32 vcc, s48, v7
	s_and_saveexec_b64 s[40:41], vcc
	s_cbranch_execz .LBB5_219
.LBB5_204:
	s_andn2_b64 vcc, exec, s[22:23]
	s_cbranch_vccnz .LBB5_209
; %bb.205:
	s_andn2_b64 vcc, exec, s[38:39]
	s_cbranch_vccnz .LBB5_210
; %bb.206:
	s_add_i32 s51, s49, 1
	s_cmp_eq_u32 s46, 2
	s_cbranch_scc1 .LBB5_222
; %bb.207:
	s_and_b32 s50, s51, 28
	s_mov_b32 s52, 0
	v_mov_b32_e32 v0, 0
	s_mov_b64 s[42:43], s[20:21]
	s_mov_b64 s[44:45], s[36:37]
	v_mov_b32_e32 v1, v7
.LBB5_208:                              ; =>This Inner Loop Header: Depth=1
	s_load_dwordx8 s[0:7], s[42:43], 0x4
	s_load_dwordx4 s[12:15], s[42:43], 0x24
	s_load_dwordx4 s[16:19], s[44:45], 0x0
	s_add_u32 s42, s42, 48
	s_addc_u32 s43, s43, 0
	s_waitcnt lgkmcnt(0)
	v_mul_hi_u32 v2, s1, v1
	s_add_i32 s52, s52, 4
	s_add_u32 s44, s44, 16
	s_addc_u32 s45, s45, 0
	v_add_u32_e32 v2, v1, v2
	v_lshrrev_b32_e32 v2, s2, v2
	v_mul_lo_u32 v3, v2, s0
	v_mul_hi_u32 v4, s4, v2
	s_cmp_eq_u32 s50, s52
	v_sub_u32_e32 v1, v1, v3
	v_add_u32_e32 v3, v2, v4
	v_lshrrev_b32_e32 v3, s5, v3
	v_mul_lo_u32 v4, v1, s16
	v_mul_hi_u32 v1, s7, v3
	v_mul_lo_u32 v6, v3, s3
	v_add_u32_e32 v1, v3, v1
	v_lshrrev_b32_e32 v5, s12, v1
	v_mul_hi_u32 v1, s14, v5
	v_sub_u32_e32 v2, v2, v6
	v_mul_lo_u32 v6, v5, s6
	v_mul_lo_u32 v2, v2, s17
	v_add_u32_e32 v1, v5, v1
	v_lshrrev_b32_e32 v1, s15, v1
	v_mul_lo_u32 v8, v1, s13
	v_sub_u32_e32 v3, v3, v6
	v_mul_lo_u32 v3, v3, s18
	v_add3_u32 v0, v4, v0, v2
	v_sub_u32_e32 v5, v5, v8
	v_mul_lo_u32 v5, v5, s19
	v_add3_u32 v0, v3, v0, v5
	s_cbranch_scc0 .LBB5_208
	s_branch .LBB5_223
.LBB5_209:
                                        ; implicit-def: $vgpr0
	s_branch .LBB5_227
.LBB5_210:
	v_mov_b32_e32 v0, 0
	s_branch .LBB5_226
.LBB5_211:
	v_mov_b32_e32 v0, 0
	s_mov_b32 s50, 0
	v_mov_b32_e32 v1, v7
.LBB5_212:
	s_and_b32 s4, s51, 3
	s_cmp_eq_u32 s4, 0
	s_cbranch_scc1 .LBB5_215
; %bb.213:
	s_lshl_b32 s0, s50, 2
	s_add_u32 s0, s20, s0
	s_addc_u32 s1, s21, 0
	s_add_u32 s0, s0, 0xc4
	s_addc_u32 s1, s1, 0
	s_mul_i32 s2, s50, 12
	s_add_u32 s2, s20, s2
	s_addc_u32 s3, s21, 0
.LBB5_214:                              ; =>This Inner Loop Header: Depth=1
	s_load_dwordx2 s[6:7], s[2:3], 0x4
	s_load_dword s5, s[2:3], 0xc
	s_add_u32 s2, s2, 12
	s_addc_u32 s3, s3, 0
	s_waitcnt lgkmcnt(0)
	v_mul_hi_u32 v2, s7, v1
	s_load_dword s7, s[0:1], 0x0
	s_add_u32 s0, s0, 4
	s_addc_u32 s1, s1, 0
	v_add_u32_e32 v2, v1, v2
	v_lshrrev_b32_e32 v2, s5, v2
	v_mul_lo_u32 v3, v2, s6
	s_add_i32 s4, s4, -1
	s_cmp_lg_u32 s4, 0
	v_sub_u32_e32 v1, v1, v3
	s_waitcnt lgkmcnt(0)
	v_mad_u64_u32 v[0:1], s[6:7], v1, s7, v[0:1]
	v_mov_b32_e32 v1, v2
	s_cbranch_scc1 .LBB5_214
.LBB5_215:
	s_cbranch_execnz .LBB5_218
.LBB5_216:
	s_waitcnt lgkmcnt(0)
	v_mul_hi_u32 v0, s9, v7
	s_andn2_b64 vcc, exec, s[34:35]
	v_add_u32_e32 v0, v7, v0
	v_lshrrev_b32_e32 v1, s10, v0
	v_mul_lo_u32 v0, v1, s8
	v_sub_u32_e32 v0, v7, v0
	v_mul_lo_u32 v0, v0, s28
	s_cbranch_vccnz .LBB5_218
; %bb.217:
	v_mul_hi_u32 v2, s30, v1
	v_add_u32_e32 v2, v1, v2
	v_lshrrev_b32_e32 v2, s31, v2
	v_mul_lo_u32 v2, v2, s11
	v_sub_u32_e32 v1, v1, v2
	v_mad_u64_u32 v[0:1], s[0:1], v1, s29, v[0:1]
.LBB5_218:
	s_waitcnt lgkmcnt(0)
	v_mov_b32_e32 v1, s47
	v_add_u32_e32 v7, 0x80, v7
	global_store_byte v0, v1, s[26:27]
	s_or_b64 exec, exec, s[40:41]
	v_cmp_gt_i32_e32 vcc, s48, v7
	s_and_saveexec_b64 s[40:41], vcc
	s_cbranch_execnz .LBB5_204
.LBB5_219:
	s_or_b64 exec, exec, s[40:41]
	v_cmp_gt_i32_e32 vcc, s48, v7
	s_and_saveexec_b64 s[40:41], vcc
	s_cbranch_execnz .LBB5_230
.LBB5_220:
	s_or_b64 exec, exec, s[40:41]
                                        ; implicit-def: $vgpr9
                                        ; implicit-def: $vgpr7
	s_andn2_saveexec_b64 s[0:1], s[24:25]
	s_cbranch_execnz .LBB5_8
.LBB5_221:
	s_endpgm
.LBB5_222:
	v_mov_b32_e32 v0, 0
	s_mov_b32 s50, 0
	v_mov_b32_e32 v1, v7
.LBB5_223:
	s_and_b32 s4, s51, 3
	s_cmp_eq_u32 s4, 0
	s_cbranch_scc1 .LBB5_226
; %bb.224:
	s_lshl_b32 s0, s50, 2
	s_add_u32 s0, s20, s0
	s_addc_u32 s1, s21, 0
	s_add_u32 s0, s0, 0xc4
	s_addc_u32 s1, s1, 0
	s_mul_i32 s2, s50, 12
	s_add_u32 s2, s20, s2
	s_addc_u32 s3, s21, 0
.LBB5_225:                              ; =>This Inner Loop Header: Depth=1
	s_load_dwordx2 s[6:7], s[2:3], 0x4
	s_load_dword s5, s[2:3], 0xc
	s_add_u32 s2, s2, 12
	s_addc_u32 s3, s3, 0
	s_waitcnt lgkmcnt(0)
	v_mul_hi_u32 v2, s7, v1
	s_load_dword s7, s[0:1], 0x0
	s_add_u32 s0, s0, 4
	s_addc_u32 s1, s1, 0
	v_add_u32_e32 v2, v1, v2
	v_lshrrev_b32_e32 v2, s5, v2
	v_mul_lo_u32 v3, v2, s6
	s_add_i32 s4, s4, -1
	s_cmp_lg_u32 s4, 0
	v_sub_u32_e32 v1, v1, v3
	s_waitcnt lgkmcnt(0)
	v_mad_u64_u32 v[0:1], s[6:7], v1, s7, v[0:1]
	v_mov_b32_e32 v1, v2
	s_cbranch_scc1 .LBB5_225
.LBB5_226:
	s_cbranch_execnz .LBB5_229
.LBB5_227:
	s_waitcnt lgkmcnt(0)
	v_mul_hi_u32 v0, s9, v7
	s_andn2_b64 vcc, exec, s[34:35]
	v_add_u32_e32 v0, v7, v0
	v_lshrrev_b32_e32 v1, s10, v0
	v_mul_lo_u32 v0, v1, s8
	v_sub_u32_e32 v0, v7, v0
	v_mul_lo_u32 v0, v0, s28
	s_cbranch_vccnz .LBB5_229
; %bb.228:
	v_mul_hi_u32 v2, s30, v1
	v_add_u32_e32 v2, v1, v2
	v_lshrrev_b32_e32 v2, s31, v2
	v_mul_lo_u32 v2, v2, s11
	v_sub_u32_e32 v1, v1, v2
	v_mad_u64_u32 v[0:1], s[0:1], v1, s29, v[0:1]
.LBB5_229:
	s_waitcnt lgkmcnt(0)
	v_mov_b32_e32 v1, s47
	v_add_u32_e32 v7, 0x80, v7
	global_store_byte v0, v1, s[26:27]
	s_or_b64 exec, exec, s[40:41]
	v_cmp_gt_i32_e32 vcc, s48, v7
	s_and_saveexec_b64 s[40:41], vcc
	s_cbranch_execz .LBB5_220
.LBB5_230:
	s_andn2_b64 vcc, exec, s[22:23]
	s_cbranch_vccnz .LBB5_235
; %bb.231:
	s_andn2_b64 vcc, exec, s[38:39]
	s_cbranch_vccnz .LBB5_236
; %bb.232:
	s_add_i32 s49, s49, 1
	s_cmp_eq_u32 s46, 2
	s_cbranch_scc1 .LBB5_237
; %bb.233:
	s_and_b32 s42, s49, 28
	s_mov_b32 s43, 0
	v_mov_b32_e32 v0, 0
	s_mov_b64 s[38:39], s[20:21]
	v_mov_b32_e32 v1, v7
.LBB5_234:                              ; =>This Inner Loop Header: Depth=1
	s_load_dwordx8 s[0:7], s[38:39], 0x4
	s_load_dwordx4 s[12:15], s[38:39], 0x24
	s_load_dwordx4 s[16:19], s[36:37], 0x0
	s_add_u32 s38, s38, 48
	s_addc_u32 s39, s39, 0
	s_waitcnt lgkmcnt(0)
	v_mul_hi_u32 v2, s1, v1
	s_add_i32 s43, s43, 4
	s_add_u32 s36, s36, 16
	s_addc_u32 s37, s37, 0
	v_add_u32_e32 v2, v1, v2
	v_lshrrev_b32_e32 v2, s2, v2
	v_mul_lo_u32 v3, v2, s0
	v_mul_hi_u32 v4, s4, v2
	s_cmp_eq_u32 s42, s43
	v_sub_u32_e32 v1, v1, v3
	v_add_u32_e32 v3, v2, v4
	v_lshrrev_b32_e32 v3, s5, v3
	v_mul_lo_u32 v4, v1, s16
	v_mul_hi_u32 v1, s7, v3
	v_mul_lo_u32 v6, v3, s3
	v_add_u32_e32 v1, v3, v1
	v_lshrrev_b32_e32 v5, s12, v1
	v_mul_hi_u32 v1, s14, v5
	v_sub_u32_e32 v2, v2, v6
	v_mul_lo_u32 v6, v5, s6
	v_mul_lo_u32 v2, v2, s17
	v_add_u32_e32 v1, v5, v1
	v_lshrrev_b32_e32 v1, s15, v1
	v_mul_lo_u32 v8, v1, s13
	v_sub_u32_e32 v3, v3, v6
	v_mul_lo_u32 v3, v3, s18
	v_add3_u32 v0, v4, v0, v2
	v_sub_u32_e32 v5, v5, v8
	v_mul_lo_u32 v5, v5, s19
	v_add3_u32 v0, v3, v0, v5
	s_cbranch_scc0 .LBB5_234
	s_branch .LBB5_238
.LBB5_235:
                                        ; implicit-def: $vgpr0
	s_branch .LBB5_242
.LBB5_236:
	v_mov_b32_e32 v0, 0
	s_branch .LBB5_241
.LBB5_237:
	v_mov_b32_e32 v0, 0
	s_mov_b32 s42, 0
	v_mov_b32_e32 v1, v7
.LBB5_238:
	s_and_b32 s4, s49, 3
	s_cmp_eq_u32 s4, 0
	s_cbranch_scc1 .LBB5_241
; %bb.239:
	s_lshl_b32 s0, s42, 2
	s_add_u32 s0, s20, s0
	s_addc_u32 s1, s21, 0
	s_add_u32 s0, s0, 0xc4
	s_addc_u32 s1, s1, 0
	s_mul_i32 s2, s42, 12
	s_add_u32 s2, s20, s2
	s_addc_u32 s3, s21, 0
.LBB5_240:                              ; =>This Inner Loop Header: Depth=1
	s_load_dwordx2 s[6:7], s[2:3], 0x4
	s_load_dword s5, s[2:3], 0xc
	s_add_u32 s2, s2, 12
	s_addc_u32 s3, s3, 0
	s_waitcnt lgkmcnt(0)
	v_mul_hi_u32 v2, s7, v1
	s_load_dword s7, s[0:1], 0x0
	s_add_u32 s0, s0, 4
	s_addc_u32 s1, s1, 0
	v_add_u32_e32 v2, v1, v2
	v_lshrrev_b32_e32 v2, s5, v2
	v_mul_lo_u32 v3, v2, s6
	s_add_i32 s4, s4, -1
	s_cmp_lg_u32 s4, 0
	v_sub_u32_e32 v1, v1, v3
	s_waitcnt lgkmcnt(0)
	v_mad_u64_u32 v[0:1], s[6:7], v1, s7, v[0:1]
	v_mov_b32_e32 v1, v2
	s_cbranch_scc1 .LBB5_240
.LBB5_241:
	s_cbranch_execnz .LBB5_244
.LBB5_242:
	s_waitcnt lgkmcnt(0)
	v_mul_hi_u32 v0, s9, v7
	s_andn2_b64 vcc, exec, s[34:35]
	v_add_u32_e32 v0, v7, v0
	v_lshrrev_b32_e32 v1, s10, v0
	v_mul_lo_u32 v0, v1, s8
	v_sub_u32_e32 v0, v7, v0
	v_mul_lo_u32 v0, v0, s28
	s_cbranch_vccnz .LBB5_244
; %bb.243:
	v_mul_hi_u32 v2, s30, v1
	v_add_u32_e32 v2, v1, v2
	v_lshrrev_b32_e32 v2, s31, v2
	v_mul_lo_u32 v2, v2, s11
	v_sub_u32_e32 v1, v1, v2
	v_mad_u64_u32 v[0:1], s[0:1], v1, s29, v[0:1]
.LBB5_244:
	s_waitcnt lgkmcnt(0)
	v_mov_b32_e32 v1, s47
	global_store_byte v0, v1, s[26:27]
	s_or_b64 exec, exec, s[40:41]
                                        ; implicit-def: $vgpr9
                                        ; implicit-def: $vgpr7
	s_andn2_saveexec_b64 s[0:1], s[24:25]
	s_cbranch_execz .LBB5_221
	s_branch .LBB5_8
	.section	.rodata,"a",@progbits
	.p2align	6, 0x0
	.amdhsa_kernel _ZN2at6native32elementwise_kernel_manual_unrollILi128ELi8EZNS0_22gpu_kernel_impl_nocastINS0_11FillFunctorIhEEEEvRNS_18TensorIteratorBaseERKT_EUlibE_EEviT1_
		.amdhsa_group_segment_fixed_size 0
		.amdhsa_private_segment_fixed_size 0
		.amdhsa_kernarg_size 288
		.amdhsa_user_sgpr_count 6
		.amdhsa_user_sgpr_private_segment_buffer 1
		.amdhsa_user_sgpr_dispatch_ptr 0
		.amdhsa_user_sgpr_queue_ptr 0
		.amdhsa_user_sgpr_kernarg_segment_ptr 1
		.amdhsa_user_sgpr_dispatch_id 0
		.amdhsa_user_sgpr_flat_scratch_init 0
		.amdhsa_user_sgpr_private_segment_size 0
		.amdhsa_uses_dynamic_stack 0
		.amdhsa_system_sgpr_private_segment_wavefront_offset 0
		.amdhsa_system_sgpr_workgroup_id_x 1
		.amdhsa_system_sgpr_workgroup_id_y 0
		.amdhsa_system_sgpr_workgroup_id_z 0
		.amdhsa_system_sgpr_workgroup_info 0
		.amdhsa_system_vgpr_workitem_id 0
		.amdhsa_next_free_vgpr 16
		.amdhsa_next_free_sgpr 53
		.amdhsa_reserve_vcc 1
		.amdhsa_reserve_flat_scratch 0
		.amdhsa_float_round_mode_32 0
		.amdhsa_float_round_mode_16_64 0
		.amdhsa_float_denorm_mode_32 3
		.amdhsa_float_denorm_mode_16_64 3
		.amdhsa_dx10_clamp 1
		.amdhsa_ieee_mode 1
		.amdhsa_fp16_overflow 0
		.amdhsa_exception_fp_ieee_invalid_op 0
		.amdhsa_exception_fp_denorm_src 0
		.amdhsa_exception_fp_ieee_div_zero 0
		.amdhsa_exception_fp_ieee_overflow 0
		.amdhsa_exception_fp_ieee_underflow 0
		.amdhsa_exception_fp_ieee_inexact 0
		.amdhsa_exception_int_div_zero 0
	.end_amdhsa_kernel
	.section	.text._ZN2at6native32elementwise_kernel_manual_unrollILi128ELi8EZNS0_22gpu_kernel_impl_nocastINS0_11FillFunctorIhEEEEvRNS_18TensorIteratorBaseERKT_EUlibE_EEviT1_,"axG",@progbits,_ZN2at6native32elementwise_kernel_manual_unrollILi128ELi8EZNS0_22gpu_kernel_impl_nocastINS0_11FillFunctorIhEEEEvRNS_18TensorIteratorBaseERKT_EUlibE_EEviT1_,comdat
.Lfunc_end5:
	.size	_ZN2at6native32elementwise_kernel_manual_unrollILi128ELi8EZNS0_22gpu_kernel_impl_nocastINS0_11FillFunctorIhEEEEvRNS_18TensorIteratorBaseERKT_EUlibE_EEviT1_, .Lfunc_end5-_ZN2at6native32elementwise_kernel_manual_unrollILi128ELi8EZNS0_22gpu_kernel_impl_nocastINS0_11FillFunctorIhEEEEvRNS_18TensorIteratorBaseERKT_EUlibE_EEviT1_
                                        ; -- End function
	.set _ZN2at6native32elementwise_kernel_manual_unrollILi128ELi8EZNS0_22gpu_kernel_impl_nocastINS0_11FillFunctorIhEEEEvRNS_18TensorIteratorBaseERKT_EUlibE_EEviT1_.num_vgpr, 16
	.set _ZN2at6native32elementwise_kernel_manual_unrollILi128ELi8EZNS0_22gpu_kernel_impl_nocastINS0_11FillFunctorIhEEEEvRNS_18TensorIteratorBaseERKT_EUlibE_EEviT1_.num_agpr, 0
	.set _ZN2at6native32elementwise_kernel_manual_unrollILi128ELi8EZNS0_22gpu_kernel_impl_nocastINS0_11FillFunctorIhEEEEvRNS_18TensorIteratorBaseERKT_EUlibE_EEviT1_.numbered_sgpr, 53
	.set _ZN2at6native32elementwise_kernel_manual_unrollILi128ELi8EZNS0_22gpu_kernel_impl_nocastINS0_11FillFunctorIhEEEEvRNS_18TensorIteratorBaseERKT_EUlibE_EEviT1_.num_named_barrier, 0
	.set _ZN2at6native32elementwise_kernel_manual_unrollILi128ELi8EZNS0_22gpu_kernel_impl_nocastINS0_11FillFunctorIhEEEEvRNS_18TensorIteratorBaseERKT_EUlibE_EEviT1_.private_seg_size, 0
	.set _ZN2at6native32elementwise_kernel_manual_unrollILi128ELi8EZNS0_22gpu_kernel_impl_nocastINS0_11FillFunctorIhEEEEvRNS_18TensorIteratorBaseERKT_EUlibE_EEviT1_.uses_vcc, 1
	.set _ZN2at6native32elementwise_kernel_manual_unrollILi128ELi8EZNS0_22gpu_kernel_impl_nocastINS0_11FillFunctorIhEEEEvRNS_18TensorIteratorBaseERKT_EUlibE_EEviT1_.uses_flat_scratch, 0
	.set _ZN2at6native32elementwise_kernel_manual_unrollILi128ELi8EZNS0_22gpu_kernel_impl_nocastINS0_11FillFunctorIhEEEEvRNS_18TensorIteratorBaseERKT_EUlibE_EEviT1_.has_dyn_sized_stack, 0
	.set _ZN2at6native32elementwise_kernel_manual_unrollILi128ELi8EZNS0_22gpu_kernel_impl_nocastINS0_11FillFunctorIhEEEEvRNS_18TensorIteratorBaseERKT_EUlibE_EEviT1_.has_recursion, 0
	.set _ZN2at6native32elementwise_kernel_manual_unrollILi128ELi8EZNS0_22gpu_kernel_impl_nocastINS0_11FillFunctorIhEEEEvRNS_18TensorIteratorBaseERKT_EUlibE_EEviT1_.has_indirect_call, 0
	.section	.AMDGPU.csdata,"",@progbits
; Kernel info:
; codeLenInByte = 9820
; TotalNumSgprs: 57
; NumVgprs: 16
; ScratchSize: 0
; MemoryBound: 0
; FloatMode: 240
; IeeeMode: 1
; LDSByteSize: 0 bytes/workgroup (compile time only)
; SGPRBlocks: 7
; VGPRBlocks: 3
; NumSGPRsForWavesPerEU: 57
; NumVGPRsForWavesPerEU: 16
; Occupancy: 10
; WaveLimiterHint : 1
; COMPUTE_PGM_RSRC2:SCRATCH_EN: 0
; COMPUTE_PGM_RSRC2:USER_SGPR: 6
; COMPUTE_PGM_RSRC2:TRAP_HANDLER: 0
; COMPUTE_PGM_RSRC2:TGID_X_EN: 1
; COMPUTE_PGM_RSRC2:TGID_Y_EN: 0
; COMPUTE_PGM_RSRC2:TGID_Z_EN: 0
; COMPUTE_PGM_RSRC2:TIDIG_COMP_CNT: 0
	.section	.text._ZN2at6native32elementwise_kernel_manual_unrollILi128ELi4EZNS0_15gpu_kernel_implINS0_11FillFunctorIhEEEEvRNS_18TensorIteratorBaseERKT_EUlibE_EEviT1_,"axG",@progbits,_ZN2at6native32elementwise_kernel_manual_unrollILi128ELi4EZNS0_15gpu_kernel_implINS0_11FillFunctorIhEEEEvRNS_18TensorIteratorBaseERKT_EUlibE_EEviT1_,comdat
	.protected	_ZN2at6native32elementwise_kernel_manual_unrollILi128ELi4EZNS0_15gpu_kernel_implINS0_11FillFunctorIhEEEEvRNS_18TensorIteratorBaseERKT_EUlibE_EEviT1_ ; -- Begin function _ZN2at6native32elementwise_kernel_manual_unrollILi128ELi4EZNS0_15gpu_kernel_implINS0_11FillFunctorIhEEEEvRNS_18TensorIteratorBaseERKT_EUlibE_EEviT1_
	.globl	_ZN2at6native32elementwise_kernel_manual_unrollILi128ELi4EZNS0_15gpu_kernel_implINS0_11FillFunctorIhEEEEvRNS_18TensorIteratorBaseERKT_EUlibE_EEviT1_
	.p2align	8
	.type	_ZN2at6native32elementwise_kernel_manual_unrollILi128ELi4EZNS0_15gpu_kernel_implINS0_11FillFunctorIhEEEEvRNS_18TensorIteratorBaseERKT_EUlibE_EEviT1_,@function
_ZN2at6native32elementwise_kernel_manual_unrollILi128ELi4EZNS0_15gpu_kernel_implINS0_11FillFunctorIhEEEEvRNS_18TensorIteratorBaseERKT_EUlibE_EEviT1_: ; @_ZN2at6native32elementwise_kernel_manual_unrollILi128ELi4EZNS0_15gpu_kernel_implINS0_11FillFunctorIhEEEEvRNS_18TensorIteratorBaseERKT_EUlibE_EEviT1_
; %bb.0:
	s_load_dwordx4 s[20:23], s[4:5], 0x8
	s_load_dword s50, s[4:5], 0x0
	v_lshl_or_b32 v22, s6, 9, v0
	v_or_b32_e32 v0, 0x180, v22
	s_mov_b64 s[18:19], 0
	s_waitcnt lgkmcnt(0)
	s_bfe_u32 s33, s23, 0x80008
	v_cmp_le_i32_e32 vcc, s50, v0
	s_mov_b64 s[0:1], 0
	s_and_saveexec_b64 s[2:3], vcc
	s_xor_b64 s[24:25], exec, s[2:3]
	s_cbranch_execz .LBB6_404
; %bb.1:
	v_cvt_f32_ubyte0_e32 v4, s23
	v_and_b32_e32 v1, 0x400000, v4
	v_lshrrev_b32_e32 v0, 23, v4
	v_cmp_ne_u32_e32 vcc, 0, v1
	v_and_b32_e32 v1, 0x3fffff, v4
	s_movk_i32 s0, 0xff
	v_or_b32_e32 v1, v0, v1
	v_cmp_eq_u32_e64 s[16:17], s0, v0
	v_cmp_ne_u32_e64 s[0:1], 0, v1
	s_and_b64 s[0:1], vcc, s[0:1]
	v_cndmask_b32_e64 v1, 0, 1, s[0:1]
	s_mov_b32 s0, 0x43800000
	v_cmp_gt_u32_e64 s[14:15], s0, v4
	s_mov_b32 s0, 0x3bffffff
	v_add_f32_e32 v20, 0x46000000, v4
	v_add_u32_e32 v21, v0, v1
	v_cmp_lt_u32_e64 s[12:13], s0, v4
	v_bfe_u32 v0, v4, 20, 1
	v_readfirstlane_b32 s0, v20
	s_mov_b32 s2, 0x47800000
	s_and_b32 s26, s23, 0xff
	v_add_u32_e32 v0, v4, v0
	s_and_b32 s0, s0, 0xff
	v_cmp_gt_u32_e64 s[10:11], s2, v4
	s_mov_b32 s2, 0x37ffffff
	v_add_f32_e32 v17, 0x42800000, v4
	v_add_u32_e32 v1, 0x487ffff, v0
	s_cmp_lg_u32 s0, 0
	v_cmp_lt_u32_e64 s[8:9], s2, v4
	v_readfirstlane_b32 s2, v17
	v_lshrrev_b32_e32 v19, 20, v1
	s_cselect_b64 s[30:31], -1, 0
	v_bfe_u32 v1, v4, 21, 1
	s_and_b32 s2, s2, 0xff
	v_add_u32_e32 v1, v4, v1
	s_cmp_lg_u32 s2, 0
	s_mov_b32 s2, 0x43efffff
	v_add_u32_e32 v2, 0x88fffff, v1
	v_cmp_lt_u32_e64 s[4:5], s2, v4
	s_mov_b32 s2, 0x3c800000
	v_add_u32_e32 v0, 0x407ffff, v0
	v_lshrrev_b32_e32 v16, 21, v2
	v_cmp_gt_u32_e64 s[6:7], s2, v4
	v_lshrrev_b32_e32 v2, 20, v0
	v_and_b32_e32 v0, 0xff00000, v0
	s_mov_b32 s2, 0x7f00000
	v_mov_b32_e32 v3, 0x7e
	v_cmp_ne_u32_e32 vcc, s2, v0
	v_add_u32_e32 v0, 0x80fffff, v1
	s_mov_b32 s34, 0x7f800000
	v_cndmask_b32_e32 v14, v3, v2, vcc
	v_lshrrev_b32_e32 v11, 21, v0
	v_mov_b32_e32 v0, 0x7f
	v_cmp_lt_u32_e32 vcc, s34, v4
	v_mov_b32_e32 v1, 0x7c
	v_cndmask_b32_e32 v18, v3, v0, vcc
	v_cndmask_b32_e32 v13, v1, v0, vcc
	v_bfe_u32 v0, v4, 16, 1
	v_add_u32_e32 v0, v4, v0
	v_add_u32_e32 v0, 0x7fff, v0
	v_lshrrev_b32_e32 v10, 16, v0
	v_cvt_f64_u32_e32 v[0:1], s26
	s_cselect_b64 s[28:29], -1, 0
	s_cmp_lg_u32 s26, 0
	s_mov_b32 s0, 0x477fffff
	s_mov_b32 s2, 0x38800000
	s_cselect_b64 s[34:35], -1, 0
	s_mov_b32 s27, 0
	v_cmp_lt_u32_e64 s[0:1], s0, v4
	v_add_f32_e32 v15, 0x46800000, v4
	v_cmp_gt_u32_e64 s[2:3], s2, v4
	v_add_f32_e32 v12, 0x43000000, v4
	v_cndmask_b32_e64 v9, 0, 1, s[34:35]
	v_cmp_gt_i32_e32 vcc, s50, v22
	s_mov_b64 s[38:39], -1
	s_mov_b64 s[40:41], 0
	s_mov_b64 s[34:35], 0
	v_cvt_f16_u16_e32 v8, s26
	s_and_saveexec_b64 s[36:37], vcc
	s_cbranch_execz .LBB6_100
; %bb.2:
	v_mul_lo_u32 v2, v22, s22
	v_mov_b32_e32 v3, s21
	s_and_b32 s44, 0xffff, s33
	s_cmp_lt_i32 s44, 11
	v_ashrrev_i32_e32 v5, 31, v2
	v_add_co_u32_e32 v6, vcc, s20, v2
	v_addc_co_u32_e32 v7, vcc, v3, v5, vcc
	s_cbranch_scc1 .LBB6_9
; %bb.3:
	s_cmp_gt_i32 s44, 25
	s_cbranch_scc0 .LBB6_12
; %bb.4:
	s_cmp_gt_i32 s44, 28
	s_cbranch_scc0 .LBB6_13
; %bb.5:
	s_cmp_gt_i32 s44, 43
	s_cbranch_scc0 .LBB6_14
; %bb.6:
	s_cmp_gt_i32 s44, 45
	s_cbranch_scc0 .LBB6_15
; %bb.7:
	s_mov_b64 s[42:43], 0
	s_mov_b64 s[34:35], -1
	s_cmp_eq_u32 s44, 46
	s_mov_b64 s[38:39], 0
	s_cbranch_scc0 .LBB6_16
; %bb.8:
	global_store_dword v[6:7], v10, off
	s_mov_b64 s[38:39], -1
	s_mov_b64 s[34:35], 0
	s_branch .LBB6_16
.LBB6_9:
	s_mov_b64 s[38:39], 0
	s_cbranch_execnz .LBB6_60
.LBB6_10:
	s_andn2_b64 vcc, exec, s[38:39]
	s_cbranch_vccnz .LBB6_98
.LBB6_11:
	v_add_u32_e32 v22, 0x80, v22
	s_mov_b64 s[38:39], -1
	s_branch .LBB6_99
.LBB6_12:
	s_mov_b64 s[38:39], 0
	s_cbranch_execnz .LBB6_38
	s_branch .LBB6_59
.LBB6_13:
	s_mov_b64 s[42:43], -1
	s_mov_b64 s[38:39], 0
	s_branch .LBB6_24
.LBB6_14:
	s_mov_b64 s[42:43], -1
	s_mov_b64 s[38:39], 0
	s_branch .LBB6_20
.LBB6_15:
	s_mov_b64 s[42:43], -1
	s_mov_b64 s[38:39], 0
.LBB6_16:
	s_and_b64 vcc, exec, s[42:43]
	s_cbranch_vccz .LBB6_19
; %bb.17:
	s_cmp_eq_u32 s44, 44
	s_mov_b64 s[34:35], -1
	s_cbranch_scc0 .LBB6_19
; %bb.18:
	v_mov_b32_e32 v2, 0xffff
	v_cndmask_b32_e64 v2, v21, v2, s[16:17]
	global_store_byte v[6:7], v2, off
	s_mov_b64 s[38:39], -1
	s_mov_b64 s[34:35], 0
.LBB6_19:
	s_mov_b64 s[42:43], 0
.LBB6_20:
	s_and_b64 vcc, exec, s[42:43]
	s_cbranch_vccz .LBB6_23
; %bb.21:
	s_cmp_eq_u32 s44, 29
	s_mov_b64 s[34:35], -1
	s_cbranch_scc0 .LBB6_23
; %bb.22:
	v_mov_b32_e32 v2, s26
	v_mov_b32_e32 v3, s27
	global_store_dwordx2 v[6:7], v[2:3], off
	s_mov_b64 s[38:39], -1
	s_mov_b64 s[34:35], 0
.LBB6_23:
	s_mov_b64 s[42:43], 0
.LBB6_24:
	s_and_b64 vcc, exec, s[42:43]
	s_cbranch_vccz .LBB6_37
; %bb.25:
	s_cmp_lt_i32 s44, 27
	s_mov_b64 s[38:39], -1
	s_cbranch_scc1 .LBB6_31
; %bb.26:
	s_cmp_gt_i32 s44, 27
	s_cbranch_scc0 .LBB6_28
; %bb.27:
	v_mov_b32_e32 v2, s26
	s_mov_b64 s[38:39], 0
	global_store_dword v[6:7], v2, off
.LBB6_28:
	s_andn2_b64 vcc, exec, s[38:39]
	s_cbranch_vccnz .LBB6_30
; %bb.29:
	v_mov_b32_e32 v2, s26
	global_store_short v[6:7], v2, off
.LBB6_30:
	s_mov_b64 s[38:39], 0
.LBB6_31:
	s_andn2_b64 vcc, exec, s[38:39]
	s_cbranch_vccnz .LBB6_36
; %bb.32:
	s_andn2_b64 vcc, exec, s[14:15]
	v_mov_b32_e32 v2, 0x80
	s_cbranch_vccnz .LBB6_35
; %bb.33:
	s_or_b64 s[38:39], s[12:13], s[30:31]
	s_andn2_b64 vcc, exec, s[38:39]
	v_mov_b32_e32 v2, 0
	s_cbranch_vccnz .LBB6_35
; %bb.34:
	v_cndmask_b32_e64 v2, v20, v19, s[12:13]
.LBB6_35:
	global_store_byte v[6:7], v2, off
.LBB6_36:
	s_mov_b64 s[38:39], -1
.LBB6_37:
	s_branch .LBB6_59
.LBB6_38:
	s_cmp_gt_i32 s44, 22
	s_mov_b64 s[42:43], -1
	s_cbranch_scc0 .LBB6_51
; %bb.39:
	s_cmp_lt_i32 s44, 24
	s_mov_b64 s[38:39], -1
	s_cbranch_scc1 .LBB6_48
; %bb.40:
	s_cmp_gt_i32 s44, 24
	s_cbranch_scc0 .LBB6_45
; %bb.41:
	s_andn2_b64 vcc, exec, s[10:11]
	v_mov_b32_e32 v2, 0x80
	s_cbranch_vccnz .LBB6_44
; %bb.42:
	s_or_b64 s[38:39], s[8:9], s[28:29]
	s_andn2_b64 vcc, exec, s[38:39]
	v_mov_b32_e32 v2, 0
	s_cbranch_vccnz .LBB6_44
; %bb.43:
	v_cndmask_b32_e64 v2, v17, v16, s[8:9]
.LBB6_44:
	s_mov_b64 s[38:39], 0
	global_store_byte v[6:7], v2, off
.LBB6_45:
	s_and_b64 vcc, exec, s[38:39]
	s_cbranch_vccz .LBB6_47
; %bb.46:
	v_cndmask_b32_e64 v2, v14, v15, s[6:7]
	v_cndmask_b32_e64 v2, v2, v18, s[4:5]
	global_store_byte v[6:7], v2, off
.LBB6_47:
	s_mov_b64 s[38:39], 0
.LBB6_48:
	s_andn2_b64 vcc, exec, s[38:39]
	s_cbranch_vccnz .LBB6_50
; %bb.49:
	v_cndmask_b32_e64 v2, v11, v12, s[2:3]
	v_cndmask_b32_e64 v2, v2, v13, s[0:1]
	global_store_byte v[6:7], v2, off
.LBB6_50:
	s_mov_b64 s[42:43], 0
	s_mov_b64 s[38:39], -1
.LBB6_51:
	s_andn2_b64 vcc, exec, s[42:43]
	s_cbranch_vccnz .LBB6_59
; %bb.52:
	s_cmp_gt_i32 s44, 14
	s_mov_b64 s[42:43], -1
	s_cbranch_scc0 .LBB6_56
; %bb.53:
	s_cmp_eq_u32 s44, 15
	s_mov_b64 s[34:35], -1
	s_cbranch_scc0 .LBB6_55
; %bb.54:
	global_store_short v[6:7], v10, off
	s_mov_b64 s[38:39], -1
	s_mov_b64 s[34:35], 0
.LBB6_55:
	s_mov_b64 s[42:43], 0
.LBB6_56:
	s_and_b64 vcc, exec, s[42:43]
	s_cbranch_vccz .LBB6_59
; %bb.57:
	s_cmp_eq_u32 s44, 11
	s_mov_b64 s[34:35], -1
	s_cbranch_scc0 .LBB6_59
; %bb.58:
	s_mov_b64 s[38:39], -1
	s_mov_b64 s[34:35], 0
	global_store_byte v[6:7], v9, off
.LBB6_59:
	s_branch .LBB6_10
.LBB6_60:
	s_cmp_lt_i32 s44, 5
	s_mov_b64 s[38:39], -1
	s_cbranch_scc1 .LBB6_81
; %bb.61:
	s_cmp_lt_i32 s44, 8
	s_cbranch_scc1 .LBB6_71
; %bb.62:
	s_cmp_lt_i32 s44, 9
	s_cbranch_scc1 .LBB6_68
; %bb.63:
	s_cmp_gt_i32 s44, 9
	s_cbranch_scc0 .LBB6_65
; %bb.64:
	v_mov_b32_e32 v2, 0
	v_mov_b32_e32 v3, v2
	global_store_dwordx4 v[6:7], v[0:3], off
	s_mov_b64 s[38:39], 0
.LBB6_65:
	s_andn2_b64 vcc, exec, s[38:39]
	s_cbranch_vccnz .LBB6_67
; %bb.66:
	v_mov_b32_e32 v5, 0
	global_store_dwordx2 v[6:7], v[4:5], off
.LBB6_67:
	s_mov_b64 s[38:39], 0
.LBB6_68:
	s_andn2_b64 vcc, exec, s[38:39]
	s_cbranch_vccnz .LBB6_70
; %bb.69:
	global_store_dword v[6:7], v8, off
.LBB6_70:
	s_mov_b64 s[38:39], 0
.LBB6_71:
	s_andn2_b64 vcc, exec, s[38:39]
	s_cbranch_vccnz .LBB6_80
; %bb.72:
	s_cmp_lt_i32 s44, 6
	s_mov_b64 s[38:39], -1
	s_cbranch_scc1 .LBB6_78
; %bb.73:
	s_cmp_gt_i32 s44, 6
	s_cbranch_scc0 .LBB6_75
; %bb.74:
	global_store_dwordx2 v[6:7], v[0:1], off
	s_mov_b64 s[38:39], 0
.LBB6_75:
	s_andn2_b64 vcc, exec, s[38:39]
	s_cbranch_vccnz .LBB6_77
; %bb.76:
	global_store_dword v[6:7], v4, off
.LBB6_77:
	s_mov_b64 s[38:39], 0
.LBB6_78:
	s_andn2_b64 vcc, exec, s[38:39]
	s_cbranch_vccnz .LBB6_80
; %bb.79:
	global_store_short v[6:7], v8, off
.LBB6_80:
	s_mov_b64 s[38:39], 0
.LBB6_81:
	s_andn2_b64 vcc, exec, s[38:39]
	s_cbranch_vccnz .LBB6_97
; %bb.82:
	s_cmp_lt_i32 s44, 2
	s_mov_b64 s[38:39], -1
	s_cbranch_scc1 .LBB6_92
; %bb.83:
	s_cmp_lt_i32 s44, 3
	s_cbranch_scc1 .LBB6_89
; %bb.84:
	s_cmp_gt_i32 s44, 3
	s_cbranch_scc0 .LBB6_86
; %bb.85:
	v_mov_b32_e32 v2, s26
	v_mov_b32_e32 v3, s27
	global_store_dwordx2 v[6:7], v[2:3], off
	s_mov_b64 s[38:39], 0
.LBB6_86:
	s_andn2_b64 vcc, exec, s[38:39]
	s_cbranch_vccnz .LBB6_88
; %bb.87:
	v_mov_b32_e32 v2, s26
	global_store_dword v[6:7], v2, off
.LBB6_88:
	s_mov_b64 s[38:39], 0
.LBB6_89:
	s_andn2_b64 vcc, exec, s[38:39]
	s_cbranch_vccnz .LBB6_91
; %bb.90:
	v_mov_b32_e32 v2, s26
	global_store_short v[6:7], v2, off
.LBB6_91:
	s_mov_b64 s[38:39], 0
.LBB6_92:
	s_andn2_b64 vcc, exec, s[38:39]
	s_cbranch_vccnz .LBB6_97
; %bb.93:
	s_cmp_gt_i32 s44, 0
	s_mov_b64 s[38:39], -1
	s_cbranch_scc0 .LBB6_95
; %bb.94:
	v_mov_b32_e32 v2, s23
	global_store_byte v[6:7], v2, off
	s_mov_b64 s[38:39], 0
.LBB6_95:
	s_andn2_b64 vcc, exec, s[38:39]
	s_cbranch_vccnz .LBB6_97
; %bb.96:
	v_mov_b32_e32 v2, s23
	global_store_byte v[6:7], v2, off
.LBB6_97:
	s_branch .LBB6_11
.LBB6_98:
	s_mov_b64 s[38:39], 0
                                        ; implicit-def: $vgpr22
.LBB6_99:
	s_and_b64 s[34:35], s[34:35], exec
	s_orn2_b64 s[38:39], s[38:39], exec
.LBB6_100:
	s_or_b64 exec, exec, s[36:37]
	s_mov_b64 s[42:43], 0
                                        ; implicit-def: $vgpr6_vgpr7
	s_and_saveexec_b64 s[36:37], s[38:39]
	s_cbranch_execz .LBB6_109
; %bb.101:
	v_cmp_gt_i32_e32 vcc, s50, v22
	s_mov_b64 s[44:45], -1
	s_mov_b64 s[38:39], s[34:35]
	s_and_saveexec_b64 s[40:41], vcc
	s_cbranch_execz .LBB6_204
; %bb.102:
	v_mul_lo_u32 v2, v22, s22
	v_mov_b32_e32 v3, s21
	s_and_b32 s46, 0xffff, s33
	s_cmp_lt_i32 s46, 11
	v_ashrrev_i32_e32 v5, 31, v2
	v_add_co_u32_e32 v6, vcc, s20, v2
	v_addc_co_u32_e32 v7, vcc, v3, v5, vcc
	s_cbranch_scc1 .LBB6_112
; %bb.103:
	s_cmp_gt_i32 s46, 25
	s_cbranch_scc0 .LBB6_115
; %bb.104:
	s_cmp_gt_i32 s46, 28
	s_cbranch_scc0 .LBB6_116
	;; [unrolled: 3-line block ×4, first 2 shown]
; %bb.107:
	s_mov_b64 s[44:45], 0
	s_mov_b64 s[38:39], -1
	s_cmp_eq_u32 s46, 46
	s_cbranch_scc0 .LBB6_119
; %bb.108:
	global_store_dword v[6:7], v10, off
	s_mov_b64 s[42:43], -1
	s_mov_b64 s[38:39], 0
	s_branch .LBB6_119
.LBB6_109:
	s_or_b64 exec, exec, s[36:37]
	s_mov_b64 s[0:1], 0
	s_and_saveexec_b64 s[2:3], s[34:35]
	s_cbranch_execnz .LBB6_364
.LBB6_110:
	s_or_b64 exec, exec, s[2:3]
	s_and_saveexec_b64 s[2:3], s[40:41]
	s_xor_b64 s[2:3], exec, s[2:3]
	s_cbranch_execz .LBB6_365
.LBB6_111:
	global_store_byte v[6:7], v9, off
	s_or_b64 exec, exec, s[2:3]
	s_and_saveexec_b64 s[2:3], s[42:43]
	s_xor_b64 s[2:3], exec, s[2:3]
	s_cbranch_execz .LBB6_403
	s_branch .LBB6_366
.LBB6_112:
	s_mov_b64 s[38:39], s[34:35]
	s_and_b64 vcc, exec, s[44:45]
	s_cbranch_vccnz .LBB6_164
.LBB6_113:
	s_andn2_b64 vcc, exec, s[42:43]
	s_cbranch_vccnz .LBB6_202
.LBB6_114:
	v_add_u32_e32 v22, 0x80, v22
	s_mov_b64 s[42:43], -1
	s_branch .LBB6_203
.LBB6_115:
	s_mov_b64 s[38:39], s[34:35]
	s_branch .LBB6_141
.LBB6_116:
	s_mov_b64 s[38:39], s[34:35]
	s_branch .LBB6_127
.LBB6_117:
	s_mov_b64 s[38:39], s[34:35]
	s_branch .LBB6_123
.LBB6_118:
	s_mov_b64 s[38:39], s[34:35]
.LBB6_119:
	s_and_b64 vcc, exec, s[44:45]
	s_cbranch_vccz .LBB6_122
; %bb.120:
	s_cmp_eq_u32 s46, 44
	s_mov_b64 s[38:39], -1
	s_cbranch_scc0 .LBB6_122
; %bb.121:
	v_mov_b32_e32 v2, 0xffff
	v_cndmask_b32_e64 v2, v21, v2, s[16:17]
	s_mov_b64 s[42:43], -1
	s_mov_b64 s[38:39], 0
	global_store_byte v[6:7], v2, off
.LBB6_122:
	s_mov_b64 s[44:45], 0
.LBB6_123:
	s_and_b64 vcc, exec, s[44:45]
	s_cbranch_vccz .LBB6_126
; %bb.124:
	s_cmp_eq_u32 s46, 29
	s_mov_b64 s[38:39], -1
	s_cbranch_scc0 .LBB6_126
; %bb.125:
	v_mov_b32_e32 v2, s26
	v_mov_b32_e32 v3, s27
	global_store_dwordx2 v[6:7], v[2:3], off
	s_mov_b64 s[42:43], -1
	s_mov_b64 s[38:39], 0
.LBB6_126:
	s_mov_b64 s[44:45], 0
.LBB6_127:
	s_and_b64 vcc, exec, s[44:45]
	s_cbranch_vccz .LBB6_140
; %bb.128:
	s_cmp_lt_i32 s46, 27
	s_mov_b64 s[42:43], -1
	s_cbranch_scc1 .LBB6_134
; %bb.129:
	s_cmp_gt_i32 s46, 27
	s_cbranch_scc0 .LBB6_131
; %bb.130:
	v_mov_b32_e32 v2, s26
	s_mov_b64 s[42:43], 0
	global_store_dword v[6:7], v2, off
.LBB6_131:
	s_andn2_b64 vcc, exec, s[42:43]
	s_cbranch_vccnz .LBB6_133
; %bb.132:
	v_mov_b32_e32 v2, s26
	global_store_short v[6:7], v2, off
.LBB6_133:
	s_mov_b64 s[42:43], 0
.LBB6_134:
	s_andn2_b64 vcc, exec, s[42:43]
	s_cbranch_vccnz .LBB6_139
; %bb.135:
	s_andn2_b64 vcc, exec, s[14:15]
	v_mov_b32_e32 v2, 0x80
	s_cbranch_vccnz .LBB6_138
; %bb.136:
	s_or_b64 s[42:43], s[12:13], s[30:31]
	s_andn2_b64 vcc, exec, s[42:43]
	v_mov_b32_e32 v2, 0
	s_cbranch_vccnz .LBB6_138
; %bb.137:
	v_cndmask_b32_e64 v2, v20, v19, s[12:13]
.LBB6_138:
	global_store_byte v[6:7], v2, off
.LBB6_139:
	s_mov_b64 s[42:43], -1
.LBB6_140:
	s_mov_b64 s[44:45], 0
.LBB6_141:
	s_and_b64 vcc, exec, s[44:45]
	s_cbranch_vccz .LBB6_163
; %bb.142:
	s_cmp_gt_i32 s46, 22
	s_mov_b64 s[44:45], -1
	s_cbranch_scc0 .LBB6_155
; %bb.143:
	s_cmp_lt_i32 s46, 24
	s_mov_b64 s[42:43], -1
	s_cbranch_scc1 .LBB6_152
; %bb.144:
	s_cmp_gt_i32 s46, 24
	s_cbranch_scc0 .LBB6_149
; %bb.145:
	s_andn2_b64 vcc, exec, s[10:11]
	v_mov_b32_e32 v2, 0x80
	s_cbranch_vccnz .LBB6_148
; %bb.146:
	s_or_b64 s[42:43], s[8:9], s[28:29]
	s_andn2_b64 vcc, exec, s[42:43]
	v_mov_b32_e32 v2, 0
	s_cbranch_vccnz .LBB6_148
; %bb.147:
	v_cndmask_b32_e64 v2, v17, v16, s[8:9]
.LBB6_148:
	s_mov_b64 s[42:43], 0
	global_store_byte v[6:7], v2, off
.LBB6_149:
	s_and_b64 vcc, exec, s[42:43]
	s_cbranch_vccz .LBB6_151
; %bb.150:
	v_cndmask_b32_e64 v2, v14, v15, s[6:7]
	v_cndmask_b32_e64 v2, v2, v18, s[4:5]
	global_store_byte v[6:7], v2, off
.LBB6_151:
	s_mov_b64 s[42:43], 0
.LBB6_152:
	s_andn2_b64 vcc, exec, s[42:43]
	s_cbranch_vccnz .LBB6_154
; %bb.153:
	v_cndmask_b32_e64 v2, v11, v12, s[2:3]
	v_cndmask_b32_e64 v2, v2, v13, s[0:1]
	global_store_byte v[6:7], v2, off
.LBB6_154:
	s_mov_b64 s[44:45], 0
	s_mov_b64 s[42:43], -1
.LBB6_155:
	s_andn2_b64 vcc, exec, s[44:45]
	s_cbranch_vccnz .LBB6_163
; %bb.156:
	s_cmp_gt_i32 s46, 14
	s_mov_b64 s[44:45], -1
	s_cbranch_scc0 .LBB6_160
; %bb.157:
	s_cmp_eq_u32 s46, 15
	s_mov_b64 s[38:39], -1
	s_cbranch_scc0 .LBB6_159
; %bb.158:
	global_store_short v[6:7], v10, off
	s_mov_b64 s[42:43], -1
	s_mov_b64 s[38:39], 0
.LBB6_159:
	s_mov_b64 s[44:45], 0
.LBB6_160:
	s_and_b64 vcc, exec, s[44:45]
	s_cbranch_vccz .LBB6_163
; %bb.161:
	s_cmp_eq_u32 s46, 11
	s_mov_b64 s[38:39], -1
	s_cbranch_scc0 .LBB6_163
; %bb.162:
	s_mov_b64 s[42:43], -1
	s_mov_b64 s[38:39], 0
	global_store_byte v[6:7], v9, off
.LBB6_163:
	s_branch .LBB6_113
.LBB6_164:
	s_cmp_lt_i32 s46, 5
	s_mov_b64 s[42:43], -1
	s_cbranch_scc1 .LBB6_185
; %bb.165:
	s_cmp_lt_i32 s46, 8
	s_cbranch_scc1 .LBB6_175
; %bb.166:
	s_cmp_lt_i32 s46, 9
	s_cbranch_scc1 .LBB6_172
; %bb.167:
	s_cmp_gt_i32 s46, 9
	s_cbranch_scc0 .LBB6_169
; %bb.168:
	v_mov_b32_e32 v2, 0
	v_mov_b32_e32 v3, v2
	s_mov_b64 s[42:43], 0
	global_store_dwordx4 v[6:7], v[0:3], off
.LBB6_169:
	s_andn2_b64 vcc, exec, s[42:43]
	s_cbranch_vccnz .LBB6_171
; %bb.170:
	v_mov_b32_e32 v5, 0
	global_store_dwordx2 v[6:7], v[4:5], off
.LBB6_171:
	s_mov_b64 s[42:43], 0
.LBB6_172:
	s_andn2_b64 vcc, exec, s[42:43]
	s_cbranch_vccnz .LBB6_174
; %bb.173:
	global_store_dword v[6:7], v8, off
.LBB6_174:
	s_mov_b64 s[42:43], 0
.LBB6_175:
	s_andn2_b64 vcc, exec, s[42:43]
	s_cbranch_vccnz .LBB6_184
; %bb.176:
	s_cmp_lt_i32 s46, 6
	s_mov_b64 s[42:43], -1
	s_cbranch_scc1 .LBB6_182
; %bb.177:
	s_cmp_gt_i32 s46, 6
	s_cbranch_scc0 .LBB6_179
; %bb.178:
	s_mov_b64 s[42:43], 0
	global_store_dwordx2 v[6:7], v[0:1], off
.LBB6_179:
	s_andn2_b64 vcc, exec, s[42:43]
	s_cbranch_vccnz .LBB6_181
; %bb.180:
	global_store_dword v[6:7], v4, off
.LBB6_181:
	s_mov_b64 s[42:43], 0
.LBB6_182:
	s_andn2_b64 vcc, exec, s[42:43]
	s_cbranch_vccnz .LBB6_184
; %bb.183:
	global_store_short v[6:7], v8, off
.LBB6_184:
	s_mov_b64 s[42:43], 0
.LBB6_185:
	s_andn2_b64 vcc, exec, s[42:43]
	s_cbranch_vccnz .LBB6_201
; %bb.186:
	s_cmp_lt_i32 s46, 2
	s_mov_b64 s[42:43], -1
	s_cbranch_scc1 .LBB6_196
; %bb.187:
	s_cmp_lt_i32 s46, 3
	s_cbranch_scc1 .LBB6_193
; %bb.188:
	s_cmp_gt_i32 s46, 3
	s_cbranch_scc0 .LBB6_190
; %bb.189:
	v_mov_b32_e32 v2, s26
	v_mov_b32_e32 v3, s27
	s_mov_b64 s[42:43], 0
	global_store_dwordx2 v[6:7], v[2:3], off
.LBB6_190:
	s_andn2_b64 vcc, exec, s[42:43]
	s_cbranch_vccnz .LBB6_192
; %bb.191:
	v_mov_b32_e32 v2, s26
	global_store_dword v[6:7], v2, off
.LBB6_192:
	s_mov_b64 s[42:43], 0
.LBB6_193:
	s_andn2_b64 vcc, exec, s[42:43]
	s_cbranch_vccnz .LBB6_195
; %bb.194:
	v_mov_b32_e32 v2, s26
	global_store_short v[6:7], v2, off
.LBB6_195:
	s_mov_b64 s[42:43], 0
.LBB6_196:
	s_andn2_b64 vcc, exec, s[42:43]
	s_cbranch_vccnz .LBB6_201
; %bb.197:
	s_cmp_gt_i32 s46, 0
	s_mov_b64 s[42:43], -1
	s_cbranch_scc0 .LBB6_199
; %bb.198:
	v_mov_b32_e32 v2, s23
	s_mov_b64 s[42:43], 0
	global_store_byte v[6:7], v2, off
.LBB6_199:
	s_andn2_b64 vcc, exec, s[42:43]
	s_cbranch_vccnz .LBB6_201
; %bb.200:
	v_mov_b32_e32 v2, s23
	global_store_byte v[6:7], v2, off
.LBB6_201:
	s_branch .LBB6_114
.LBB6_202:
	s_mov_b64 s[42:43], 0
                                        ; implicit-def: $vgpr22
.LBB6_203:
	s_andn2_b64 s[44:45], s[34:35], exec
	s_and_b64 s[38:39], s[38:39], exec
	s_or_b64 s[38:39], s[44:45], s[38:39]
	s_orn2_b64 s[44:45], s[42:43], exec
.LBB6_204:
	s_or_b64 exec, exec, s[40:41]
	s_mov_b64 s[46:47], 0
	s_mov_b64 s[42:43], 0
                                        ; implicit-def: $vgpr6_vgpr7
	s_and_saveexec_b64 s[40:41], s[44:45]
	s_cbranch_execz .LBB6_363
; %bb.205:
	v_cmp_gt_i32_e32 vcc, s50, v22
	s_mov_b64 s[48:49], -1
	s_mov_b64 s[44:45], s[38:39]
	s_and_saveexec_b64 s[42:43], vcc
	s_cbranch_execz .LBB6_306
; %bb.206:
	v_mul_lo_u32 v2, v22, s22
	v_mov_b32_e32 v3, s21
	s_and_b32 s51, 0xffff, s33
	s_cmp_lt_i32 s51, 11
	v_ashrrev_i32_e32 v5, 31, v2
	v_add_co_u32_e32 v6, vcc, s20, v2
	v_addc_co_u32_e32 v7, vcc, v3, v5, vcc
	s_cbranch_scc1 .LBB6_213
; %bb.207:
	s_cmp_gt_i32 s51, 25
	s_cbranch_scc0 .LBB6_214
; %bb.208:
	s_cmp_gt_i32 s51, 28
	s_cbranch_scc0 .LBB6_215
	;; [unrolled: 3-line block ×4, first 2 shown]
; %bb.211:
	s_mov_b64 s[48:49], 0
	s_mov_b64 s[44:45], -1
	s_cmp_eq_u32 s51, 46
	s_cbranch_scc0 .LBB6_218
; %bb.212:
	global_store_dword v[6:7], v10, off
	s_mov_b64 s[46:47], -1
	s_mov_b64 s[44:45], 0
	s_branch .LBB6_218
.LBB6_213:
	s_mov_b64 s[44:45], s[38:39]
	s_branch .LBB6_263
.LBB6_214:
	s_mov_b64 s[44:45], s[38:39]
	s_branch .LBB6_240
.LBB6_215:
	s_mov_b64 s[44:45], s[38:39]
	s_branch .LBB6_226
.LBB6_216:
	s_mov_b64 s[44:45], s[38:39]
	s_branch .LBB6_222
.LBB6_217:
	s_mov_b64 s[44:45], s[38:39]
.LBB6_218:
	s_and_b64 vcc, exec, s[48:49]
	s_cbranch_vccz .LBB6_221
; %bb.219:
	s_cmp_eq_u32 s51, 44
	s_mov_b64 s[44:45], -1
	s_cbranch_scc0 .LBB6_221
; %bb.220:
	v_mov_b32_e32 v2, 0xffff
	v_cndmask_b32_e64 v2, v21, v2, s[16:17]
	s_mov_b64 s[46:47], -1
	s_mov_b64 s[44:45], 0
	global_store_byte v[6:7], v2, off
.LBB6_221:
	s_mov_b64 s[48:49], 0
.LBB6_222:
	s_and_b64 vcc, exec, s[48:49]
	s_cbranch_vccz .LBB6_225
; %bb.223:
	s_cmp_eq_u32 s51, 29
	s_mov_b64 s[44:45], -1
	s_cbranch_scc0 .LBB6_225
; %bb.224:
	v_mov_b32_e32 v2, s26
	v_mov_b32_e32 v3, s27
	global_store_dwordx2 v[6:7], v[2:3], off
	s_mov_b64 s[46:47], -1
	s_mov_b64 s[44:45], 0
.LBB6_225:
	s_mov_b64 s[48:49], 0
.LBB6_226:
	s_and_b64 vcc, exec, s[48:49]
	s_cbranch_vccz .LBB6_239
; %bb.227:
	s_cmp_lt_i32 s51, 27
	s_mov_b64 s[46:47], -1
	s_cbranch_scc1 .LBB6_233
; %bb.228:
	s_cmp_gt_i32 s51, 27
	s_cbranch_scc0 .LBB6_230
; %bb.229:
	v_mov_b32_e32 v2, s26
	s_mov_b64 s[46:47], 0
	global_store_dword v[6:7], v2, off
.LBB6_230:
	s_andn2_b64 vcc, exec, s[46:47]
	s_cbranch_vccnz .LBB6_232
; %bb.231:
	v_mov_b32_e32 v2, s26
	global_store_short v[6:7], v2, off
.LBB6_232:
	s_mov_b64 s[46:47], 0
.LBB6_233:
	s_andn2_b64 vcc, exec, s[46:47]
	s_cbranch_vccnz .LBB6_238
; %bb.234:
	s_andn2_b64 vcc, exec, s[14:15]
	v_mov_b32_e32 v2, 0x80
	s_cbranch_vccnz .LBB6_237
; %bb.235:
	s_or_b64 s[46:47], s[12:13], s[30:31]
	s_andn2_b64 vcc, exec, s[46:47]
	v_mov_b32_e32 v2, 0
	s_cbranch_vccnz .LBB6_237
; %bb.236:
	v_cndmask_b32_e64 v2, v20, v19, s[12:13]
.LBB6_237:
	global_store_byte v[6:7], v2, off
.LBB6_238:
	s_mov_b64 s[46:47], -1
.LBB6_239:
	s_mov_b64 s[48:49], 0
.LBB6_240:
	s_and_b64 vcc, exec, s[48:49]
	s_cbranch_vccz .LBB6_262
; %bb.241:
	s_cmp_gt_i32 s51, 22
	s_mov_b64 s[48:49], -1
	s_cbranch_scc0 .LBB6_254
; %bb.242:
	s_cmp_lt_i32 s51, 24
	s_mov_b64 s[46:47], -1
	s_cbranch_scc1 .LBB6_251
; %bb.243:
	s_cmp_gt_i32 s51, 24
	s_cbranch_scc0 .LBB6_248
; %bb.244:
	s_andn2_b64 vcc, exec, s[10:11]
	v_mov_b32_e32 v2, 0x80
	s_cbranch_vccnz .LBB6_247
; %bb.245:
	s_or_b64 s[46:47], s[8:9], s[28:29]
	s_andn2_b64 vcc, exec, s[46:47]
	v_mov_b32_e32 v2, 0
	s_cbranch_vccnz .LBB6_247
; %bb.246:
	v_cndmask_b32_e64 v2, v17, v16, s[8:9]
.LBB6_247:
	s_mov_b64 s[46:47], 0
	global_store_byte v[6:7], v2, off
.LBB6_248:
	s_and_b64 vcc, exec, s[46:47]
	s_cbranch_vccz .LBB6_250
; %bb.249:
	v_cndmask_b32_e64 v2, v14, v15, s[6:7]
	v_cndmask_b32_e64 v2, v2, v18, s[4:5]
	global_store_byte v[6:7], v2, off
.LBB6_250:
	s_mov_b64 s[46:47], 0
.LBB6_251:
	s_andn2_b64 vcc, exec, s[46:47]
	s_cbranch_vccnz .LBB6_253
; %bb.252:
	v_cndmask_b32_e64 v2, v11, v12, s[2:3]
	v_cndmask_b32_e64 v2, v2, v13, s[0:1]
	global_store_byte v[6:7], v2, off
.LBB6_253:
	s_mov_b64 s[48:49], 0
	s_mov_b64 s[46:47], -1
.LBB6_254:
	s_andn2_b64 vcc, exec, s[48:49]
	s_cbranch_vccnz .LBB6_262
; %bb.255:
	s_cmp_gt_i32 s51, 14
	s_mov_b64 s[48:49], -1
	s_cbranch_scc0 .LBB6_259
; %bb.256:
	s_cmp_eq_u32 s51, 15
	s_mov_b64 s[44:45], -1
	s_cbranch_scc0 .LBB6_258
; %bb.257:
	global_store_short v[6:7], v10, off
	s_mov_b64 s[46:47], -1
	s_mov_b64 s[44:45], 0
.LBB6_258:
	s_mov_b64 s[48:49], 0
.LBB6_259:
	s_and_b64 vcc, exec, s[48:49]
	s_cbranch_vccz .LBB6_262
; %bb.260:
	s_cmp_eq_u32 s51, 11
	s_mov_b64 s[44:45], -1
	s_cbranch_scc0 .LBB6_262
; %bb.261:
	s_mov_b64 s[46:47], -1
	s_mov_b64 s[44:45], 0
	global_store_byte v[6:7], v9, off
.LBB6_262:
	s_mov_b64 s[48:49], 0
.LBB6_263:
	s_and_b64 vcc, exec, s[48:49]
	s_cbranch_vccz .LBB6_302
; %bb.264:
	s_cmp_lt_i32 s51, 5
	s_mov_b64 s[46:47], -1
	s_cbranch_scc1 .LBB6_285
; %bb.265:
	s_cmp_lt_i32 s51, 8
	s_cbranch_scc1 .LBB6_275
; %bb.266:
	s_cmp_lt_i32 s51, 9
	s_cbranch_scc1 .LBB6_272
; %bb.267:
	s_cmp_gt_i32 s51, 9
	s_cbranch_scc0 .LBB6_269
; %bb.268:
	v_mov_b32_e32 v2, 0
	v_mov_b32_e32 v3, v2
	s_mov_b64 s[46:47], 0
	global_store_dwordx4 v[6:7], v[0:3], off
.LBB6_269:
	s_andn2_b64 vcc, exec, s[46:47]
	s_cbranch_vccnz .LBB6_271
; %bb.270:
	v_mov_b32_e32 v5, 0
	global_store_dwordx2 v[6:7], v[4:5], off
.LBB6_271:
	s_mov_b64 s[46:47], 0
.LBB6_272:
	s_andn2_b64 vcc, exec, s[46:47]
	s_cbranch_vccnz .LBB6_274
; %bb.273:
	global_store_dword v[6:7], v8, off
.LBB6_274:
	s_mov_b64 s[46:47], 0
.LBB6_275:
	s_andn2_b64 vcc, exec, s[46:47]
	s_cbranch_vccnz .LBB6_284
; %bb.276:
	s_cmp_lt_i32 s51, 6
	s_mov_b64 s[46:47], -1
	s_cbranch_scc1 .LBB6_282
; %bb.277:
	s_cmp_gt_i32 s51, 6
	s_cbranch_scc0 .LBB6_279
; %bb.278:
	s_mov_b64 s[46:47], 0
	global_store_dwordx2 v[6:7], v[0:1], off
.LBB6_279:
	s_andn2_b64 vcc, exec, s[46:47]
	s_cbranch_vccnz .LBB6_281
; %bb.280:
	global_store_dword v[6:7], v4, off
.LBB6_281:
	s_mov_b64 s[46:47], 0
.LBB6_282:
	s_andn2_b64 vcc, exec, s[46:47]
	s_cbranch_vccnz .LBB6_284
; %bb.283:
	global_store_short v[6:7], v8, off
.LBB6_284:
	s_mov_b64 s[46:47], 0
.LBB6_285:
	s_andn2_b64 vcc, exec, s[46:47]
	s_cbranch_vccnz .LBB6_301
; %bb.286:
	s_cmp_lt_i32 s51, 2
	s_mov_b64 s[46:47], -1
	s_cbranch_scc1 .LBB6_296
; %bb.287:
	s_cmp_lt_i32 s51, 3
	s_cbranch_scc1 .LBB6_293
; %bb.288:
	s_cmp_gt_i32 s51, 3
	s_cbranch_scc0 .LBB6_290
; %bb.289:
	v_mov_b32_e32 v2, s26
	v_mov_b32_e32 v3, s27
	s_mov_b64 s[46:47], 0
	global_store_dwordx2 v[6:7], v[2:3], off
.LBB6_290:
	s_andn2_b64 vcc, exec, s[46:47]
	s_cbranch_vccnz .LBB6_292
; %bb.291:
	v_mov_b32_e32 v2, s26
	global_store_dword v[6:7], v2, off
.LBB6_292:
	s_mov_b64 s[46:47], 0
.LBB6_293:
	s_andn2_b64 vcc, exec, s[46:47]
	s_cbranch_vccnz .LBB6_295
; %bb.294:
	v_mov_b32_e32 v2, s26
	global_store_short v[6:7], v2, off
.LBB6_295:
	s_mov_b64 s[46:47], 0
.LBB6_296:
	s_andn2_b64 vcc, exec, s[46:47]
	s_cbranch_vccnz .LBB6_301
; %bb.297:
	s_cmp_gt_i32 s51, 0
	s_mov_b64 s[46:47], -1
	s_cbranch_scc0 .LBB6_299
; %bb.298:
	v_mov_b32_e32 v2, s23
	s_mov_b64 s[46:47], 0
	global_store_byte v[6:7], v2, off
.LBB6_299:
	s_andn2_b64 vcc, exec, s[46:47]
	s_cbranch_vccnz .LBB6_301
; %bb.300:
	v_mov_b32_e32 v2, s23
	global_store_byte v[6:7], v2, off
.LBB6_301:
	s_mov_b64 s[46:47], -1
.LBB6_302:
	s_andn2_b64 vcc, exec, s[46:47]
	s_cbranch_vccnz .LBB6_304
; %bb.303:
	v_add_u32_e32 v22, 0x80, v22
	s_mov_b64 s[46:47], -1
	s_branch .LBB6_305
.LBB6_304:
	s_mov_b64 s[46:47], 0
                                        ; implicit-def: $vgpr22
.LBB6_305:
	s_andn2_b64 s[48:49], s[38:39], exec
	s_and_b64 s[44:45], s[44:45], exec
	s_or_b64 s[44:45], s[48:49], s[44:45]
	s_orn2_b64 s[48:49], s[46:47], exec
.LBB6_306:
	s_or_b64 exec, exec, s[42:43]
	s_mov_b64 s[46:47], 0
	s_mov_b64 s[52:53], 0
                                        ; implicit-def: $vgpr6_vgpr7
	s_and_saveexec_b64 s[42:43], s[48:49]
	s_cbranch_execz .LBB6_362
; %bb.307:
	v_cmp_gt_i32_e32 vcc, s50, v22
	s_mov_b64 s[50:51], 0
	s_mov_b64 s[48:49], s[44:45]
                                        ; implicit-def: $vgpr6_vgpr7
	s_and_saveexec_b64 s[46:47], vcc
	s_cbranch_execz .LBB6_361
; %bb.308:
	v_mul_lo_u32 v2, v22, s22
	v_mov_b32_e32 v3, s21
	s_and_b32 s52, 0xffff, s33
	s_cmp_lt_i32 s52, 11
	v_ashrrev_i32_e32 v5, 31, v2
	v_add_co_u32_e32 v6, vcc, s20, v2
	v_addc_co_u32_e32 v7, vcc, v3, v5, vcc
	s_cbranch_scc1 .LBB6_358
; %bb.309:
	s_mov_b64 s[50:51], -1
	s_cmp_gt_i32 s52, 25
	s_mov_b64 s[48:49], s[44:45]
	s_cbranch_scc0 .LBB6_337
; %bb.310:
	s_cmp_gt_i32 s52, 28
	s_mov_b64 s[48:49], s[44:45]
	s_cbranch_scc0 .LBB6_324
; %bb.311:
	;; [unrolled: 4-line block ×4, first 2 shown]
	s_cmp_eq_u32 s52, 46
	s_mov_b64 s[48:49], -1
	s_cbranch_scc0 .LBB6_315
; %bb.314:
	global_store_dword v[6:7], v10, off
	s_mov_b64 s[48:49], 0
.LBB6_315:
	s_mov_b64 s[50:51], 0
.LBB6_316:
	s_and_b64 vcc, exec, s[50:51]
	s_cbranch_vccz .LBB6_319
; %bb.317:
	s_cmp_eq_u32 s52, 44
	s_mov_b64 s[48:49], -1
	s_cbranch_scc0 .LBB6_319
; %bb.318:
	v_mov_b32_e32 v2, 0xffff
	v_cndmask_b32_e64 v2, v21, v2, s[16:17]
	global_store_byte v[6:7], v2, off
	s_mov_b64 s[48:49], 0
.LBB6_319:
	s_mov_b64 s[50:51], 0
.LBB6_320:
	s_and_b64 vcc, exec, s[50:51]
	s_cbranch_vccz .LBB6_323
; %bb.321:
	s_cmp_eq_u32 s52, 29
	s_mov_b64 s[48:49], -1
	s_cbranch_scc0 .LBB6_323
; %bb.322:
	v_mov_b32_e32 v2, s26
	v_mov_b32_e32 v3, s27
	global_store_dwordx2 v[6:7], v[2:3], off
	s_mov_b64 s[48:49], 0
.LBB6_323:
	s_mov_b64 s[50:51], 0
.LBB6_324:
	s_and_b64 vcc, exec, s[50:51]
	s_cbranch_vccz .LBB6_336
; %bb.325:
	s_cmp_lt_i32 s52, 27
	s_mov_b64 s[16:17], -1
	s_cbranch_scc1 .LBB6_331
; %bb.326:
	s_cmp_gt_i32 s52, 27
	s_cbranch_scc0 .LBB6_328
; %bb.327:
	v_mov_b32_e32 v2, s26
	s_mov_b64 s[16:17], 0
	global_store_dword v[6:7], v2, off
.LBB6_328:
	s_andn2_b64 vcc, exec, s[16:17]
	s_cbranch_vccnz .LBB6_330
; %bb.329:
	v_mov_b32_e32 v2, s26
	global_store_short v[6:7], v2, off
.LBB6_330:
	s_mov_b64 s[16:17], 0
.LBB6_331:
	s_andn2_b64 vcc, exec, s[16:17]
	s_cbranch_vccnz .LBB6_336
; %bb.332:
	s_andn2_b64 vcc, exec, s[14:15]
	v_mov_b32_e32 v2, 0x80
	s_cbranch_vccnz .LBB6_335
; %bb.333:
	s_or_b64 s[14:15], s[12:13], s[30:31]
	s_andn2_b64 vcc, exec, s[14:15]
	v_mov_b32_e32 v2, 0
	s_cbranch_vccnz .LBB6_335
; %bb.334:
	v_cndmask_b32_e64 v2, v20, v19, s[12:13]
.LBB6_335:
	global_store_byte v[6:7], v2, off
.LBB6_336:
	s_mov_b64 s[50:51], 0
.LBB6_337:
	s_mov_b64 s[12:13], 0
	s_and_b64 vcc, exec, s[50:51]
	s_cbranch_vccz .LBB6_359
; %bb.338:
	s_cmp_gt_i32 s52, 22
	s_mov_b64 s[14:15], -1
	s_cbranch_scc0 .LBB6_351
; %bb.339:
	s_cmp_lt_i32 s52, 24
	s_cbranch_scc1 .LBB6_348
; %bb.340:
	s_cmp_gt_i32 s52, 24
	s_cbranch_scc0 .LBB6_345
; %bb.341:
	s_andn2_b64 vcc, exec, s[10:11]
	v_mov_b32_e32 v2, 0x80
	s_cbranch_vccnz .LBB6_344
; %bb.342:
	s_or_b64 s[10:11], s[8:9], s[28:29]
	s_andn2_b64 vcc, exec, s[10:11]
	v_mov_b32_e32 v2, 0
	s_cbranch_vccnz .LBB6_344
; %bb.343:
	v_cndmask_b32_e64 v2, v17, v16, s[8:9]
.LBB6_344:
	s_mov_b64 s[14:15], 0
	global_store_byte v[6:7], v2, off
.LBB6_345:
	s_and_b64 vcc, exec, s[14:15]
	s_cbranch_vccz .LBB6_347
; %bb.346:
	v_cndmask_b32_e64 v2, v14, v15, s[6:7]
	v_cndmask_b32_e64 v2, v2, v18, s[4:5]
	global_store_byte v[6:7], v2, off
.LBB6_347:
	s_mov_b64 s[14:15], 0
.LBB6_348:
	s_andn2_b64 vcc, exec, s[14:15]
	s_cbranch_vccnz .LBB6_350
; %bb.349:
	v_cndmask_b32_e64 v2, v11, v12, s[2:3]
	v_cndmask_b32_e64 v2, v2, v13, s[0:1]
	global_store_byte v[6:7], v2, off
.LBB6_350:
	s_mov_b64 s[14:15], 0
.LBB6_351:
	s_andn2_b64 vcc, exec, s[14:15]
	s_mov_b64 s[0:1], 0
	s_cbranch_vccnz .LBB6_360
; %bb.352:
	s_cmp_gt_i32 s52, 14
	s_mov_b64 s[2:3], -1
	s_cbranch_scc0 .LBB6_356
; %bb.353:
	s_cmp_eq_u32 s52, 15
	s_mov_b64 s[48:49], -1
	s_cbranch_scc0 .LBB6_355
; %bb.354:
	global_store_short v[6:7], v10, off
	s_mov_b64 s[48:49], 0
.LBB6_355:
	s_mov_b64 s[2:3], 0
.LBB6_356:
	s_and_b64 vcc, exec, s[2:3]
	s_cbranch_vccz .LBB6_360
; %bb.357:
	s_cmp_lg_u32 s52, 11
	s_cselect_b64 s[2:3], -1, 0
	s_andn2_b64 s[4:5], s[48:49], exec
	s_and_b64 s[2:3], s[2:3], exec
	s_mov_b64 s[0:1], -1
	s_or_b64 s[48:49], s[4:5], s[2:3]
	s_branch .LBB6_360
.LBB6_358:
	s_mov_b64 s[0:1], 0
	s_mov_b64 s[12:13], -1
	s_mov_b64 s[48:49], s[44:45]
	s_branch .LBB6_360
.LBB6_359:
	s_mov_b64 s[0:1], 0
.LBB6_360:
	s_and_b64 s[50:51], s[0:1], exec
	s_andn2_b64 s[0:1], s[44:45], exec
	s_and_b64 s[2:3], s[48:49], exec
	s_and_b64 s[52:53], s[12:13], exec
	s_or_b64 s[48:49], s[0:1], s[2:3]
.LBB6_361:
	s_or_b64 exec, exec, s[46:47]
	s_andn2_b64 s[0:1], s[44:45], exec
	s_and_b64 s[2:3], s[48:49], exec
	s_and_b64 s[52:53], s[52:53], exec
	;; [unrolled: 1-line block ×3, first 2 shown]
	s_or_b64 s[44:45], s[0:1], s[2:3]
.LBB6_362:
	s_or_b64 exec, exec, s[42:43]
	s_andn2_b64 s[0:1], s[38:39], exec
	s_and_b64 s[2:3], s[44:45], exec
	s_and_b64 s[42:43], s[52:53], exec
	;; [unrolled: 1-line block ×3, first 2 shown]
	s_or_b64 s[38:39], s[0:1], s[2:3]
.LBB6_363:
	s_or_b64 exec, exec, s[40:41]
	s_andn2_b64 s[0:1], s[34:35], exec
	s_and_b64 s[2:3], s[38:39], exec
	s_and_b64 s[42:43], s[42:43], exec
	;; [unrolled: 1-line block ×3, first 2 shown]
	s_or_b64 s[34:35], s[0:1], s[2:3]
	s_or_b64 exec, exec, s[36:37]
	s_mov_b64 s[0:1], 0
	s_and_saveexec_b64 s[2:3], s[34:35]
	s_cbranch_execz .LBB6_110
.LBB6_364:
	s_mov_b64 s[0:1], exec
	s_andn2_b64 s[40:41], s[40:41], exec
	s_trap 2
	s_or_b64 exec, exec, s[2:3]
	s_and_saveexec_b64 s[2:3], s[40:41]
	s_xor_b64 s[2:3], exec, s[2:3]
	s_cbranch_execnz .LBB6_111
.LBB6_365:
	s_or_b64 exec, exec, s[2:3]
	s_and_saveexec_b64 s[2:3], s[42:43]
	s_xor_b64 s[2:3], exec, s[2:3]
	s_cbranch_execz .LBB6_403
.LBB6_366:
	s_sext_i32_i16 s6, s33
	s_cmp_lt_i32 s6, 5
	s_mov_b64 s[4:5], -1
	s_cbranch_scc1 .LBB6_387
; %bb.367:
	s_cmp_lt_i32 s6, 8
	s_cbranch_scc1 .LBB6_377
; %bb.368:
	s_cmp_lt_i32 s6, 9
	s_cbranch_scc1 .LBB6_374
; %bb.369:
	s_cmp_gt_i32 s6, 9
	s_cbranch_scc0 .LBB6_371
; %bb.370:
	v_mov_b32_e32 v2, 0
	v_mov_b32_e32 v3, v2
	s_mov_b64 s[4:5], 0
	global_store_dwordx4 v[6:7], v[0:3], off
.LBB6_371:
	s_andn2_b64 vcc, exec, s[4:5]
	s_cbranch_vccnz .LBB6_373
; %bb.372:
	v_mov_b32_e32 v5, 0
	global_store_dwordx2 v[6:7], v[4:5], off
.LBB6_373:
	s_mov_b64 s[4:5], 0
.LBB6_374:
	s_andn2_b64 vcc, exec, s[4:5]
	s_cbranch_vccnz .LBB6_376
; %bb.375:
	global_store_dword v[6:7], v8, off
.LBB6_376:
	s_mov_b64 s[4:5], 0
.LBB6_377:
	s_andn2_b64 vcc, exec, s[4:5]
	s_cbranch_vccnz .LBB6_386
; %bb.378:
	s_sext_i32_i16 s6, s33
	s_cmp_lt_i32 s6, 6
	s_mov_b64 s[4:5], -1
	s_cbranch_scc1 .LBB6_384
; %bb.379:
	s_cmp_gt_i32 s6, 6
	s_cbranch_scc0 .LBB6_381
; %bb.380:
	s_mov_b64 s[4:5], 0
	global_store_dwordx2 v[6:7], v[0:1], off
.LBB6_381:
	s_andn2_b64 vcc, exec, s[4:5]
	s_cbranch_vccnz .LBB6_383
; %bb.382:
	global_store_dword v[6:7], v4, off
.LBB6_383:
	s_mov_b64 s[4:5], 0
.LBB6_384:
	s_andn2_b64 vcc, exec, s[4:5]
	s_cbranch_vccnz .LBB6_386
; %bb.385:
	global_store_short v[6:7], v8, off
.LBB6_386:
	s_mov_b64 s[4:5], 0
.LBB6_387:
	s_andn2_b64 vcc, exec, s[4:5]
	s_cbranch_vccnz .LBB6_403
; %bb.388:
	s_sext_i32_i16 s6, s33
	s_cmp_lt_i32 s6, 2
	s_mov_b64 s[4:5], -1
	s_cbranch_scc1 .LBB6_398
; %bb.389:
	s_cmp_lt_i32 s6, 3
	s_cbranch_scc1 .LBB6_395
; %bb.390:
	s_cmp_gt_i32 s6, 3
	s_cbranch_scc0 .LBB6_392
; %bb.391:
	v_mov_b32_e32 v0, s26
	v_mov_b32_e32 v1, s27
	s_mov_b64 s[4:5], 0
	global_store_dwordx2 v[6:7], v[0:1], off
.LBB6_392:
	s_andn2_b64 vcc, exec, s[4:5]
	s_cbranch_vccnz .LBB6_394
; %bb.393:
	v_mov_b32_e32 v0, s26
	global_store_dword v[6:7], v0, off
.LBB6_394:
	s_mov_b64 s[4:5], 0
.LBB6_395:
	s_andn2_b64 vcc, exec, s[4:5]
	s_cbranch_vccnz .LBB6_397
; %bb.396:
	v_mov_b32_e32 v0, s26
	global_store_short v[6:7], v0, off
.LBB6_397:
	s_mov_b64 s[4:5], 0
.LBB6_398:
	s_andn2_b64 vcc, exec, s[4:5]
	s_cbranch_vccnz .LBB6_403
; %bb.399:
	s_sext_i32_i16 s4, s33
	s_cmp_gt_i32 s4, 0
	s_mov_b64 s[4:5], -1
	s_cbranch_scc0 .LBB6_401
; %bb.400:
	v_mov_b32_e32 v0, s23
	s_mov_b64 s[4:5], 0
	global_store_byte v[6:7], v0, off
.LBB6_401:
	s_andn2_b64 vcc, exec, s[4:5]
	s_cbranch_vccnz .LBB6_403
; %bb.402:
	v_mov_b32_e32 v0, s23
	global_store_byte v[6:7], v0, off
.LBB6_403:
	s_or_b64 exec, exec, s[2:3]
	s_and_b64 s[0:1], s[0:1], exec
                                        ; implicit-def: $vgpr22
.LBB6_404:
	s_or_saveexec_b64 s[2:3], s[24:25]
	s_mov_b64 s[6:7], 0
                                        ; implicit-def: $vgpr0_vgpr1
	s_xor_b64 exec, exec, s[2:3]
	s_cbranch_execz .LBB6_433
; %bb.405:
	v_mul_lo_u32 v2, s22, v22
	v_mov_b32_e32 v1, s21
	s_and_b32 s14, 0xffff, s33
	s_cmp_lt_i32 s14, 11
	v_ashrrev_i32_e32 v3, 31, v2
	v_add_co_u32_e32 v0, vcc, s20, v2
	v_addc_co_u32_e32 v1, vcc, v1, v3, vcc
	s_cbranch_scc1 .LBB6_436
; %bb.406:
	s_mov_b64 s[10:11], -1
	s_cmp_gt_i32 s14, 25
	s_mov_b64 s[8:9], 0
	s_mov_b64 s[4:5], 0
	s_cbranch_scc0 .LBB6_446
; %bb.407:
	s_cmp_gt_i32 s14, 28
	s_cbranch_scc0 .LBB6_422
; %bb.408:
	s_cmp_gt_i32 s14, 43
	;; [unrolled: 3-line block ×3, first 2 shown]
	s_cbranch_scc0 .LBB6_412
; %bb.410:
	s_mov_b64 s[4:5], -1
	s_mov_b64 s[10:11], 0
	s_cmp_eq_u32 s14, 46
	s_cbranch_scc0 .LBB6_412
; %bb.411:
	v_cvt_f32_ubyte0_e32 v3, s23
	v_bfe_u32 v4, v3, 16, 1
	v_add_u32_e32 v3, v3, v4
	v_add_u32_e32 v3, 0x7fff, v3
	v_lshrrev_b32_e32 v3, 16, v3
	global_store_dword v[0:1], v3, off
	s_mov_b64 s[4:5], 0
	s_mov_b64 s[8:9], -1
.LBB6_412:
	s_and_b64 vcc, exec, s[10:11]
	s_cbranch_vccz .LBB6_417
; %bb.413:
	s_cmp_eq_u32 s14, 44
	s_mov_b64 s[4:5], -1
	s_cbranch_scc0 .LBB6_417
; %bb.414:
	v_cvt_f32_ubyte0_e32 v3, s23
	v_readfirstlane_b32 s5, v3
	s_lshr_b32 s4, s5, 23
	s_cmpk_eq_i32 s4, 0xff
	v_mov_b32_e32 v3, 0xff
	s_cbranch_scc1 .LBB6_416
; %bb.415:
	s_bitcmp1_b32 s5, 22
	s_cselect_b64 s[8:9], -1, 0
	s_and_b32 s5, s5, 0x3fffff
	s_or_b32 s5, s4, s5
	s_cmp_lg_u32 s5, 0
	s_cselect_b64 s[10:11], -1, 0
	s_and_b64 s[8:9], s[8:9], s[10:11]
	v_cndmask_b32_e64 v3, 0, 1, s[8:9]
	v_add_u32_e32 v3, s4, v3
.LBB6_416:
	s_mov_b64 s[4:5], 0
	s_mov_b64 s[8:9], -1
	global_store_byte v[0:1], v3, off
.LBB6_417:
	s_mov_b64 s[10:11], 0
.LBB6_418:
	s_and_b64 vcc, exec, s[10:11]
	s_cbranch_vccz .LBB6_421
; %bb.419:
	s_cmp_eq_u32 s14, 29
	s_mov_b64 s[4:5], -1
	s_cbranch_scc0 .LBB6_421
; %bb.420:
	s_and_b32 s4, s23, 0xff
	v_mov_b32_e32 v3, s4
	v_mov_b32_e32 v4, 0
	global_store_dwordx2 v[0:1], v[3:4], off
	s_mov_b64 s[4:5], 0
	s_mov_b64 s[8:9], -1
.LBB6_421:
	s_mov_b64 s[10:11], 0
.LBB6_422:
	s_and_b64 vcc, exec, s[10:11]
	s_cbranch_vccz .LBB6_445
; %bb.423:
	s_cmp_lt_i32 s14, 27
	s_mov_b64 s[8:9], -1
	s_cbranch_scc1 .LBB6_429
; %bb.424:
	s_cmp_gt_i32 s14, 27
	s_cbranch_scc0 .LBB6_426
; %bb.425:
	s_and_b32 s8, s23, 0xff
	v_mov_b32_e32 v3, s8
	s_mov_b64 s[8:9], 0
	global_store_dword v[0:1], v3, off
.LBB6_426:
	s_andn2_b64 vcc, exec, s[8:9]
	s_cbranch_vccnz .LBB6_428
; %bb.427:
	s_and_b32 s8, s23, 0xff
	v_mov_b32_e32 v3, s8
	global_store_short v[0:1], v3, off
.LBB6_428:
	s_mov_b64 s[8:9], 0
.LBB6_429:
	s_andn2_b64 vcc, exec, s[8:9]
	s_cbranch_vccnz .LBB6_444
; %bb.430:
	v_cvt_f32_ubyte0_e32 v3, s23
	s_mov_b32 s9, 0x437fffff
	v_cmp_lt_u32_e32 vcc, s9, v3
	v_readfirstlane_b32 s8, v3
	v_mov_b32_e32 v5, 0x80
	s_cbranch_vccnz .LBB6_443
; %bb.431:
	s_cmp_gt_u32 s8, 0x3bffffff
	s_cbranch_scc0 .LBB6_438
; %bb.432:
	s_bfe_u32 s9, s8, 0x10014
	s_add_i32 s8, s8, s9
	s_add_i32 s8, s8, 0x487ffff
	s_lshr_b32 s12, s8, 20
	s_mov_b64 s[10:11], 0
	s_mov_b64 s[8:9], -1
	s_branch .LBB6_439
.LBB6_433:
	s_or_b64 exec, exec, s[2:3]
	s_and_saveexec_b64 s[2:3], s[0:1]
	s_cbranch_execz .LBB6_834
.LBB6_434:
	; divergent unreachable
	s_or_b64 exec, exec, s[2:3]
	s_and_saveexec_b64 s[0:1], s[18:19]
	s_xor_b64 s[0:1], exec, s[0:1]
	s_cbranch_execnz .LBB6_835
.LBB6_435:
	s_or_b64 exec, exec, s[0:1]
	s_and_saveexec_b64 s[0:1], s[6:7]
	s_cbranch_execnz .LBB6_836
	s_branch .LBB6_873
.LBB6_436:
	s_mov_b64 s[8:9], 0
	s_mov_b64 s[4:5], s[0:1]
	s_cbranch_execnz .LBB6_496
.LBB6_437:
	s_andn2_b64 vcc, exec, s[8:9]
	s_cbranch_vccz .LBB6_534
	s_branch .LBB6_832
.LBB6_438:
	s_mov_b64 s[10:11], -1
	s_mov_b64 s[8:9], 0
                                        ; implicit-def: $sgpr12
.LBB6_439:
	s_andn2_b64 vcc, exec, s[10:11]
	v_mov_b32_e32 v4, s12
	s_cbranch_vccnz .LBB6_441
; %bb.440:
	v_add_f32_e32 v3, 0x46000000, v3
	v_and_b32_e32 v4, 0xff, v3
	v_cmp_ne_u32_e64 s[8:9], 0, v4
.LBB6_441:
	s_andn2_b64 vcc, exec, s[8:9]
	v_mov_b32_e32 v5, 0
	s_cbranch_vccnz .LBB6_443
; %bb.442:
	v_mov_b32_e32 v5, v4
.LBB6_443:
	global_store_byte v[0:1], v5, off
.LBB6_444:
	s_mov_b64 s[8:9], -1
.LBB6_445:
	s_mov_b64 s[10:11], 0
.LBB6_446:
	s_and_b64 vcc, exec, s[10:11]
	s_cbranch_vccz .LBB6_492
; %bb.447:
	s_cmp_gt_i32 s14, 22
	s_mov_b64 s[6:7], -1
	s_cbranch_scc0 .LBB6_485
; %bb.448:
	s_cmp_lt_i32 s14, 24
	s_cbranch_scc1 .LBB6_472
; %bb.449:
	s_cmp_gt_i32 s14, 24
	s_cbranch_scc0 .LBB6_459
; %bb.450:
	v_cvt_f32_ubyte0_e32 v3, s23
	s_mov_b32 s7, 0x477fffff
	v_cmp_lt_u32_e32 vcc, s7, v3
	v_readfirstlane_b32 s6, v3
	v_mov_b32_e32 v5, 0x80
	s_cbranch_vccnz .LBB6_458
; %bb.451:
	s_cmp_gt_u32 s6, 0x37ffffff
	s_cbranch_scc0 .LBB6_453
; %bb.452:
	s_bfe_u32 s7, s6, 0x10015
	s_add_i32 s6, s6, s7
	s_add_i32 s6, s6, 0x88fffff
	s_lshr_b32 s10, s6, 21
	s_mov_b64 s[8:9], 0
	s_mov_b64 s[6:7], -1
	s_branch .LBB6_454
.LBB6_453:
	s_mov_b64 s[8:9], -1
	s_mov_b64 s[6:7], 0
                                        ; implicit-def: $sgpr10
.LBB6_454:
	s_andn2_b64 vcc, exec, s[8:9]
	v_mov_b32_e32 v4, s10
	s_cbranch_vccnz .LBB6_456
; %bb.455:
	v_add_f32_e32 v3, 0x42800000, v3
	v_and_b32_e32 v4, 0xff, v3
	v_cmp_ne_u32_e64 s[6:7], 0, v4
.LBB6_456:
	s_andn2_b64 vcc, exec, s[6:7]
	v_mov_b32_e32 v5, 0
	s_cbranch_vccnz .LBB6_458
; %bb.457:
	v_mov_b32_e32 v5, v4
.LBB6_458:
	s_mov_b64 s[6:7], 0
	global_store_byte v[0:1], v5, off
.LBB6_459:
	s_and_b64 vcc, exec, s[6:7]
	s_cbranch_vccz .LBB6_471
; %bb.460:
	v_cvt_f32_ubyte0_e32 v3, s23
	s_mov_b32 s6, 0x43f00000
	v_cmp_gt_u32_e32 vcc, s6, v3
	v_readfirstlane_b32 s8, v3
	s_cbranch_vccz .LBB6_463
; %bb.461:
	s_cmp_gt_u32 s8, 0x3c7fffff
	s_cbranch_scc0 .LBB6_464
; %bb.462:
	s_bfe_u32 s6, s8, 0x10014
	s_add_i32 s6, s8, s6
	s_add_i32 s6, s6, 0x407ffff
	s_lshr_b32 s7, s6, 20
	s_and_b32 s6, s6, 0xff00000
	s_cmp_lg_u32 s6, 0x7f00000
	s_cselect_b32 s9, s7, 0x7e
	s_mov_b64 s[6:7], 0
	s_branch .LBB6_465
.LBB6_463:
	s_mov_b64 s[6:7], -1
                                        ; implicit-def: $vgpr4
	s_branch .LBB6_468
.LBB6_464:
	s_mov_b64 s[6:7], -1
                                        ; implicit-def: $sgpr9
.LBB6_465:
	s_andn2_b64 vcc, exec, s[6:7]
	v_mov_b32_e32 v4, s9
	s_cbranch_vccnz .LBB6_467
; %bb.466:
	v_add_f32_e32 v4, 0x46800000, v3
.LBB6_467:
	s_mov_b64 s[6:7], 0
.LBB6_468:
	s_andn2_b64 vcc, exec, s[6:7]
	s_cbranch_vccnz .LBB6_470
; %bb.469:
	s_cmp_gt_u32 s8, 0x7f800000
	s_movk_i32 s6, 0x7f
	s_cselect_b32 s6, s6, 0x7e
	v_mov_b32_e32 v4, s6
.LBB6_470:
	global_store_byte v[0:1], v4, off
.LBB6_471:
	s_mov_b64 s[6:7], 0
.LBB6_472:
	s_andn2_b64 vcc, exec, s[6:7]
	s_cbranch_vccnz .LBB6_484
; %bb.473:
	v_cvt_f32_ubyte0_e32 v3, s23
	s_mov_b32 s6, 0x47800000
	v_cmp_gt_u32_e32 vcc, s6, v3
	v_readfirstlane_b32 s8, v3
	s_cbranch_vccz .LBB6_476
; %bb.474:
	s_cmp_gt_u32 s8, 0x387fffff
	s_cbranch_scc0 .LBB6_477
; %bb.475:
	s_bfe_u32 s6, s8, 0x10015
	s_add_i32 s6, s8, s6
	s_add_i32 s6, s6, 0x80fffff
	s_lshr_b32 s9, s6, 21
	s_mov_b64 s[6:7], 0
	s_branch .LBB6_478
.LBB6_476:
	s_mov_b64 s[6:7], -1
                                        ; implicit-def: $vgpr4
	s_branch .LBB6_481
.LBB6_477:
	s_mov_b64 s[6:7], -1
                                        ; implicit-def: $sgpr9
.LBB6_478:
	s_andn2_b64 vcc, exec, s[6:7]
	v_mov_b32_e32 v4, s9
	s_cbranch_vccnz .LBB6_480
; %bb.479:
	v_add_f32_e32 v4, 0x43000000, v3
.LBB6_480:
	s_mov_b64 s[6:7], 0
.LBB6_481:
	s_andn2_b64 vcc, exec, s[6:7]
	s_cbranch_vccnz .LBB6_483
; %bb.482:
	s_cmp_gt_u32 s8, 0x7f800000
	s_movk_i32 s6, 0x7f
	s_cselect_b32 s6, s6, 0x7c
	v_mov_b32_e32 v4, s6
.LBB6_483:
	global_store_byte v[0:1], v4, off
.LBB6_484:
	s_mov_b64 s[6:7], 0
	s_mov_b64 s[8:9], -1
.LBB6_485:
	s_andn2_b64 vcc, exec, s[6:7]
	s_mov_b64 s[6:7], 0
	s_cbranch_vccnz .LBB6_492
; %bb.486:
	s_cmp_gt_i32 s14, 14
	s_mov_b64 s[10:11], -1
	s_cbranch_scc0 .LBB6_490
; %bb.487:
	s_cmp_eq_u32 s14, 15
	s_mov_b64 s[4:5], -1
	s_cbranch_scc0 .LBB6_489
; %bb.488:
	v_cvt_f32_ubyte0_e32 v3, s23
	v_bfe_u32 v4, v3, 16, 1
	v_add_u32_e32 v3, v3, v4
	v_add_u32_e32 v3, 0x7fff, v3
	global_store_short_d16_hi v[0:1], v3, off
	s_mov_b64 s[4:5], 0
	s_mov_b64 s[8:9], -1
.LBB6_489:
	s_mov_b64 s[10:11], 0
.LBB6_490:
	s_and_b64 vcc, exec, s[10:11]
	s_cbranch_vccz .LBB6_492
; %bb.491:
	s_cmp_lg_u32 s14, 11
	s_mov_b64 s[6:7], -1
	s_cselect_b64 s[4:5], -1, 0
.LBB6_492:
	s_and_b64 vcc, exec, s[4:5]
	s_mov_b64 s[4:5], s[0:1]
	s_cbranch_vccnz .LBB6_564
; %bb.493:
	s_andn2_b64 vcc, exec, s[6:7]
	s_cbranch_vccnz .LBB6_495
.LBB6_494:
	s_and_b32 s6, s23, 0xff
	s_cmp_lg_u32 s6, 0
	s_cselect_b64 s[6:7], -1, 0
	v_cndmask_b32_e64 v3, 0, 1, s[6:7]
	s_mov_b64 s[8:9], -1
	global_store_byte v[0:1], v3, off
.LBB6_495:
	s_branch .LBB6_437
.LBB6_496:
	s_cmp_lt_i32 s14, 5
	s_mov_b64 s[6:7], -1
	s_cbranch_scc1 .LBB6_517
; %bb.497:
	s_cmp_lt_i32 s14, 8
	s_cbranch_scc1 .LBB6_507
; %bb.498:
	s_cmp_lt_i32 s14, 9
	s_cbranch_scc1 .LBB6_504
; %bb.499:
	s_cmp_gt_i32 s14, 9
	s_cbranch_scc0 .LBB6_501
; %bb.500:
	s_and_b32 s6, s23, 0xff
	v_cvt_f64_u32_e32 v[3:4], s6
	v_mov_b32_e32 v5, 0
	v_mov_b32_e32 v6, v5
	s_mov_b64 s[6:7], 0
	global_store_dwordx4 v[0:1], v[3:6], off
.LBB6_501:
	s_andn2_b64 vcc, exec, s[6:7]
	s_cbranch_vccnz .LBB6_503
; %bb.502:
	v_cvt_f32_ubyte0_e32 v3, s23
	v_mov_b32_e32 v4, 0
	global_store_dwordx2 v[0:1], v[3:4], off
.LBB6_503:
	s_mov_b64 s[6:7], 0
.LBB6_504:
	s_andn2_b64 vcc, exec, s[6:7]
	s_cbranch_vccnz .LBB6_506
; %bb.505:
	s_and_b32 s6, s23, 0xff
	v_cvt_f16_u16_e32 v3, s6
	global_store_dword v[0:1], v3, off
.LBB6_506:
	s_mov_b64 s[6:7], 0
.LBB6_507:
	s_andn2_b64 vcc, exec, s[6:7]
	s_cbranch_vccnz .LBB6_516
; %bb.508:
	s_cmp_lt_i32 s14, 6
	s_mov_b64 s[6:7], -1
	s_cbranch_scc1 .LBB6_514
; %bb.509:
	s_cmp_gt_i32 s14, 6
	s_cbranch_scc0 .LBB6_511
; %bb.510:
	s_and_b32 s6, s23, 0xff
	v_cvt_f64_u32_e32 v[3:4], s6
	s_mov_b64 s[6:7], 0
	global_store_dwordx2 v[0:1], v[3:4], off
.LBB6_511:
	s_andn2_b64 vcc, exec, s[6:7]
	s_cbranch_vccnz .LBB6_513
; %bb.512:
	v_cvt_f32_ubyte0_e32 v3, s23
	global_store_dword v[0:1], v3, off
.LBB6_513:
	s_mov_b64 s[6:7], 0
.LBB6_514:
	s_andn2_b64 vcc, exec, s[6:7]
	s_cbranch_vccnz .LBB6_516
; %bb.515:
	s_and_b32 s6, s23, 0xff
	v_cvt_f16_u16_e32 v3, s6
	global_store_short v[0:1], v3, off
.LBB6_516:
	s_mov_b64 s[6:7], 0
.LBB6_517:
	s_andn2_b64 vcc, exec, s[6:7]
	s_cbranch_vccnz .LBB6_533
; %bb.518:
	s_cmp_lt_i32 s14, 2
	s_mov_b64 s[6:7], -1
	s_cbranch_scc1 .LBB6_528
; %bb.519:
	s_cmp_lt_i32 s14, 3
	s_cbranch_scc1 .LBB6_525
; %bb.520:
	s_cmp_gt_i32 s14, 3
	s_cbranch_scc0 .LBB6_522
; %bb.521:
	s_and_b32 s6, s23, 0xff
	v_mov_b32_e32 v3, s6
	v_mov_b32_e32 v4, 0
	global_store_dwordx2 v[0:1], v[3:4], off
	s_mov_b64 s[6:7], 0
.LBB6_522:
	s_andn2_b64 vcc, exec, s[6:7]
	s_cbranch_vccnz .LBB6_524
; %bb.523:
	s_and_b32 s6, s23, 0xff
	v_mov_b32_e32 v3, s6
	global_store_dword v[0:1], v3, off
.LBB6_524:
	s_mov_b64 s[6:7], 0
.LBB6_525:
	s_andn2_b64 vcc, exec, s[6:7]
	s_cbranch_vccnz .LBB6_527
; %bb.526:
	s_and_b32 s6, s23, 0xff
	v_mov_b32_e32 v3, s6
	global_store_short v[0:1], v3, off
.LBB6_527:
	s_mov_b64 s[6:7], 0
.LBB6_528:
	s_andn2_b64 vcc, exec, s[6:7]
	s_cbranch_vccnz .LBB6_533
; %bb.529:
	s_cmp_gt_i32 s14, 0
	s_mov_b64 s[6:7], -1
	s_cbranch_scc0 .LBB6_531
; %bb.530:
	v_mov_b32_e32 v3, s23
	global_store_byte v[0:1], v3, off
	s_mov_b64 s[6:7], 0
.LBB6_531:
	s_andn2_b64 vcc, exec, s[6:7]
	s_cbranch_vccnz .LBB6_533
; %bb.532:
	v_mov_b32_e32 v3, s23
	global_store_byte v[0:1], v3, off
.LBB6_533:
.LBB6_534:
	s_lshl_b32 s15, s22, 7
	v_add_u32_e32 v2, s15, v2
	v_ashrrev_i32_e32 v1, 31, v2
	v_mov_b32_e32 v3, s21
	v_add_co_u32_e32 v0, vcc, s20, v2
	s_cmp_lt_i32 s14, 11
	v_addc_co_u32_e32 v1, vcc, v3, v1, vcc
	s_cbranch_scc1 .LBB6_562
; %bb.535:
	s_mov_b64 s[12:13], -1
	s_mov_b64 s[8:9], 0
	s_cmp_gt_i32 s14, 25
	s_mov_b64 s[10:11], 0
	s_mov_b64 s[6:7], 0
	s_cbranch_scc0 .LBB6_573
; %bb.536:
	s_cmp_gt_i32 s14, 28
	s_cbranch_scc0 .LBB6_551
; %bb.537:
	s_cmp_gt_i32 s14, 43
	s_cbranch_scc0 .LBB6_547
; %bb.538:
	s_cmp_gt_i32 s14, 45
	s_cbranch_scc0 .LBB6_541
; %bb.539:
	s_mov_b64 s[6:7], -1
	s_mov_b64 s[12:13], 0
	s_cmp_eq_u32 s14, 46
	s_cbranch_scc0 .LBB6_541
; %bb.540:
	v_cvt_f32_ubyte0_e32 v3, s23
	v_bfe_u32 v4, v3, 16, 1
	v_add_u32_e32 v3, v3, v4
	v_add_u32_e32 v3, 0x7fff, v3
	v_lshrrev_b32_e32 v3, 16, v3
	global_store_dword v[0:1], v3, off
	s_mov_b64 s[6:7], 0
	s_mov_b64 s[10:11], -1
.LBB6_541:
	s_and_b64 vcc, exec, s[12:13]
	s_cbranch_vccz .LBB6_546
; %bb.542:
	s_cmp_eq_u32 s14, 44
	s_mov_b64 s[6:7], -1
	s_cbranch_scc0 .LBB6_546
; %bb.543:
	v_cvt_f32_ubyte0_e32 v3, s23
	v_readfirstlane_b32 s7, v3
	s_lshr_b32 s6, s7, 23
	s_cmpk_eq_i32 s6, 0xff
	v_mov_b32_e32 v3, 0xff
	s_cbranch_scc1 .LBB6_545
; %bb.544:
	s_bitcmp1_b32 s7, 22
	s_cselect_b64 s[10:11], -1, 0
	s_and_b32 s7, s7, 0x3fffff
	s_or_b32 s7, s6, s7
	s_cmp_lg_u32 s7, 0
	s_cselect_b64 s[12:13], -1, 0
	s_and_b64 s[10:11], s[10:11], s[12:13]
	v_cndmask_b32_e64 v3, 0, 1, s[10:11]
	v_add_u32_e32 v3, s6, v3
.LBB6_545:
	s_mov_b64 s[6:7], 0
	s_mov_b64 s[10:11], -1
	global_store_byte v[0:1], v3, off
.LBB6_546:
	s_mov_b64 s[12:13], 0
.LBB6_547:
	s_and_b64 vcc, exec, s[12:13]
	s_cbranch_vccz .LBB6_550
; %bb.548:
	s_cmp_eq_u32 s14, 29
	s_mov_b64 s[6:7], -1
	s_cbranch_scc0 .LBB6_550
; %bb.549:
	s_and_b32 s6, s23, 0xff
	v_mov_b32_e32 v3, s6
	v_mov_b32_e32 v4, 0
	global_store_dwordx2 v[0:1], v[3:4], off
	s_mov_b64 s[6:7], 0
	s_mov_b64 s[10:11], -1
.LBB6_550:
	s_mov_b64 s[12:13], 0
.LBB6_551:
	s_and_b64 vcc, exec, s[12:13]
	s_cbranch_vccz .LBB6_572
; %bb.552:
	s_cmp_lt_i32 s14, 27
	s_mov_b64 s[10:11], -1
	s_cbranch_scc1 .LBB6_558
; %bb.553:
	s_cmp_gt_i32 s14, 27
	s_cbranch_scc0 .LBB6_555
; %bb.554:
	s_and_b32 s10, s23, 0xff
	v_mov_b32_e32 v3, s10
	s_mov_b64 s[10:11], 0
	global_store_dword v[0:1], v3, off
.LBB6_555:
	s_andn2_b64 vcc, exec, s[10:11]
	s_cbranch_vccnz .LBB6_557
; %bb.556:
	s_and_b32 s10, s23, 0xff
	v_mov_b32_e32 v3, s10
	global_store_short v[0:1], v3, off
.LBB6_557:
	s_mov_b64 s[10:11], 0
.LBB6_558:
	s_andn2_b64 vcc, exec, s[10:11]
	s_cbranch_vccnz .LBB6_571
; %bb.559:
	v_cvt_f32_ubyte0_e32 v3, s23
	s_mov_b32 s11, 0x437fffff
	v_cmp_lt_u32_e32 vcc, s11, v3
	v_readfirstlane_b32 s10, v3
	v_mov_b32_e32 v5, 0x80
	s_cbranch_vccnz .LBB6_570
; %bb.560:
	s_cmp_gt_u32 s10, 0x3bffffff
	s_cbranch_scc0 .LBB6_565
; %bb.561:
	s_bfe_u32 s11, s10, 0x10014
	s_add_i32 s10, s10, s11
	s_add_i32 s10, s10, 0x487ffff
	s_lshr_b32 s16, s10, 20
	s_mov_b64 s[12:13], 0
	s_mov_b64 s[10:11], -1
	s_branch .LBB6_566
.LBB6_562:
	s_mov_b64 s[10:11], 0
	s_cbranch_execnz .LBB6_623
.LBB6_563:
	s_andn2_b64 vcc, exec, s[10:11]
	s_cbranch_vccz .LBB6_661
	s_branch .LBB6_832
.LBB6_564:
	s_or_b64 s[4:5], s[0:1], exec
	s_trap 2
	s_cbranch_execz .LBB6_494
	s_branch .LBB6_495
.LBB6_565:
	s_mov_b64 s[12:13], -1
	s_mov_b64 s[10:11], 0
                                        ; implicit-def: $sgpr16
.LBB6_566:
	s_andn2_b64 vcc, exec, s[12:13]
	v_mov_b32_e32 v4, s16
	s_cbranch_vccnz .LBB6_568
; %bb.567:
	v_add_f32_e32 v3, 0x46000000, v3
	v_and_b32_e32 v4, 0xff, v3
	v_cmp_ne_u32_e64 s[10:11], 0, v4
.LBB6_568:
	s_andn2_b64 vcc, exec, s[10:11]
	v_mov_b32_e32 v5, 0
	s_cbranch_vccnz .LBB6_570
; %bb.569:
	v_mov_b32_e32 v5, v4
.LBB6_570:
	global_store_byte v[0:1], v5, off
.LBB6_571:
	s_mov_b64 s[10:11], -1
.LBB6_572:
	s_mov_b64 s[12:13], 0
.LBB6_573:
	s_and_b64 vcc, exec, s[12:13]
	s_cbranch_vccz .LBB6_619
; %bb.574:
	s_cmp_gt_i32 s14, 22
	s_mov_b64 s[8:9], -1
	s_cbranch_scc0 .LBB6_612
; %bb.575:
	s_cmp_lt_i32 s14, 24
	s_cbranch_scc1 .LBB6_599
; %bb.576:
	s_cmp_gt_i32 s14, 24
	s_cbranch_scc0 .LBB6_586
; %bb.577:
	v_cvt_f32_ubyte0_e32 v3, s23
	s_mov_b32 s9, 0x477fffff
	v_cmp_lt_u32_e32 vcc, s9, v3
	v_readfirstlane_b32 s8, v3
	v_mov_b32_e32 v5, 0x80
	s_cbranch_vccnz .LBB6_585
; %bb.578:
	s_cmp_gt_u32 s8, 0x37ffffff
	s_cbranch_scc0 .LBB6_580
; %bb.579:
	s_bfe_u32 s9, s8, 0x10015
	s_add_i32 s8, s8, s9
	s_add_i32 s8, s8, 0x88fffff
	s_lshr_b32 s12, s8, 21
	s_mov_b64 s[10:11], 0
	s_mov_b64 s[8:9], -1
	s_branch .LBB6_581
.LBB6_580:
	s_mov_b64 s[10:11], -1
	s_mov_b64 s[8:9], 0
                                        ; implicit-def: $sgpr12
.LBB6_581:
	s_andn2_b64 vcc, exec, s[10:11]
	v_mov_b32_e32 v4, s12
	s_cbranch_vccnz .LBB6_583
; %bb.582:
	v_add_f32_e32 v3, 0x42800000, v3
	v_and_b32_e32 v4, 0xff, v3
	v_cmp_ne_u32_e64 s[8:9], 0, v4
.LBB6_583:
	s_andn2_b64 vcc, exec, s[8:9]
	v_mov_b32_e32 v5, 0
	s_cbranch_vccnz .LBB6_585
; %bb.584:
	v_mov_b32_e32 v5, v4
.LBB6_585:
	s_mov_b64 s[8:9], 0
	global_store_byte v[0:1], v5, off
.LBB6_586:
	s_and_b64 vcc, exec, s[8:9]
	s_cbranch_vccz .LBB6_598
; %bb.587:
	v_cvt_f32_ubyte0_e32 v3, s23
	s_mov_b32 s8, 0x43f00000
	v_cmp_gt_u32_e32 vcc, s8, v3
	v_readfirstlane_b32 s10, v3
	s_cbranch_vccz .LBB6_590
; %bb.588:
	s_cmp_gt_u32 s10, 0x3c7fffff
	s_cbranch_scc0 .LBB6_591
; %bb.589:
	s_bfe_u32 s8, s10, 0x10014
	s_add_i32 s8, s10, s8
	s_add_i32 s8, s8, 0x407ffff
	s_lshr_b32 s9, s8, 20
	s_and_b32 s8, s8, 0xff00000
	s_cmp_lg_u32 s8, 0x7f00000
	s_cselect_b32 s11, s9, 0x7e
	s_mov_b64 s[8:9], 0
	s_branch .LBB6_592
.LBB6_590:
	s_mov_b64 s[8:9], -1
                                        ; implicit-def: $vgpr4
	s_branch .LBB6_595
.LBB6_591:
	s_mov_b64 s[8:9], -1
                                        ; implicit-def: $sgpr11
.LBB6_592:
	s_andn2_b64 vcc, exec, s[8:9]
	v_mov_b32_e32 v4, s11
	s_cbranch_vccnz .LBB6_594
; %bb.593:
	v_add_f32_e32 v4, 0x46800000, v3
.LBB6_594:
	s_mov_b64 s[8:9], 0
.LBB6_595:
	s_andn2_b64 vcc, exec, s[8:9]
	s_cbranch_vccnz .LBB6_597
; %bb.596:
	s_cmp_gt_u32 s10, 0x7f800000
	s_movk_i32 s8, 0x7f
	s_cselect_b32 s8, s8, 0x7e
	v_mov_b32_e32 v4, s8
.LBB6_597:
	global_store_byte v[0:1], v4, off
.LBB6_598:
	s_mov_b64 s[8:9], 0
.LBB6_599:
	s_andn2_b64 vcc, exec, s[8:9]
	s_cbranch_vccnz .LBB6_611
; %bb.600:
	v_cvt_f32_ubyte0_e32 v3, s23
	s_mov_b32 s8, 0x47800000
	v_cmp_gt_u32_e32 vcc, s8, v3
	v_readfirstlane_b32 s10, v3
	s_cbranch_vccz .LBB6_603
; %bb.601:
	s_cmp_gt_u32 s10, 0x387fffff
	s_cbranch_scc0 .LBB6_604
; %bb.602:
	s_bfe_u32 s8, s10, 0x10015
	s_add_i32 s8, s10, s8
	s_add_i32 s8, s8, 0x80fffff
	s_lshr_b32 s11, s8, 21
	s_mov_b64 s[8:9], 0
	s_branch .LBB6_605
.LBB6_603:
	s_mov_b64 s[8:9], -1
                                        ; implicit-def: $vgpr4
	s_branch .LBB6_608
.LBB6_604:
	s_mov_b64 s[8:9], -1
                                        ; implicit-def: $sgpr11
.LBB6_605:
	s_andn2_b64 vcc, exec, s[8:9]
	v_mov_b32_e32 v4, s11
	s_cbranch_vccnz .LBB6_607
; %bb.606:
	v_add_f32_e32 v4, 0x43000000, v3
.LBB6_607:
	s_mov_b64 s[8:9], 0
.LBB6_608:
	s_andn2_b64 vcc, exec, s[8:9]
	s_cbranch_vccnz .LBB6_610
; %bb.609:
	s_cmp_gt_u32 s10, 0x7f800000
	s_movk_i32 s8, 0x7f
	s_cselect_b32 s8, s8, 0x7c
	v_mov_b32_e32 v4, s8
.LBB6_610:
	global_store_byte v[0:1], v4, off
.LBB6_611:
	s_mov_b64 s[8:9], 0
	s_mov_b64 s[10:11], -1
.LBB6_612:
	s_andn2_b64 vcc, exec, s[8:9]
	s_mov_b64 s[8:9], 0
	s_cbranch_vccnz .LBB6_619
; %bb.613:
	s_cmp_gt_i32 s14, 14
	s_mov_b64 s[12:13], -1
	s_cbranch_scc0 .LBB6_617
; %bb.614:
	s_cmp_eq_u32 s14, 15
	s_mov_b64 s[6:7], -1
	s_cbranch_scc0 .LBB6_616
; %bb.615:
	v_cvt_f32_ubyte0_e32 v3, s23
	v_bfe_u32 v4, v3, 16, 1
	v_add_u32_e32 v3, v3, v4
	v_add_u32_e32 v3, 0x7fff, v3
	global_store_short_d16_hi v[0:1], v3, off
	s_mov_b64 s[6:7], 0
	s_mov_b64 s[10:11], -1
.LBB6_616:
	s_mov_b64 s[12:13], 0
.LBB6_617:
	s_and_b64 vcc, exec, s[12:13]
	s_cbranch_vccz .LBB6_619
; %bb.618:
	s_cmp_lg_u32 s14, 11
	s_mov_b64 s[8:9], -1
	s_cselect_b64 s[6:7], -1, 0
.LBB6_619:
	s_and_b64 vcc, exec, s[6:7]
	s_cbranch_vccnz .LBB6_721
; %bb.620:
	s_andn2_b64 vcc, exec, s[8:9]
	s_cbranch_vccnz .LBB6_622
.LBB6_621:
	s_and_b32 s6, s23, 0xff
	s_cmp_lg_u32 s6, 0
	s_cselect_b64 s[6:7], -1, 0
	v_cndmask_b32_e64 v3, 0, 1, s[6:7]
	s_mov_b64 s[10:11], -1
	global_store_byte v[0:1], v3, off
.LBB6_622:
	s_branch .LBB6_563
.LBB6_623:
	s_cmp_lt_i32 s14, 5
	s_mov_b64 s[6:7], -1
	s_cbranch_scc1 .LBB6_644
; %bb.624:
	s_cmp_lt_i32 s14, 8
	s_cbranch_scc1 .LBB6_634
; %bb.625:
	s_cmp_lt_i32 s14, 9
	s_cbranch_scc1 .LBB6_631
; %bb.626:
	s_cmp_gt_i32 s14, 9
	s_cbranch_scc0 .LBB6_628
; %bb.627:
	s_and_b32 s6, s23, 0xff
	v_cvt_f64_u32_e32 v[3:4], s6
	v_mov_b32_e32 v5, 0
	v_mov_b32_e32 v6, v5
	s_mov_b64 s[6:7], 0
	global_store_dwordx4 v[0:1], v[3:6], off
.LBB6_628:
	s_andn2_b64 vcc, exec, s[6:7]
	s_cbranch_vccnz .LBB6_630
; %bb.629:
	v_cvt_f32_ubyte0_e32 v3, s23
	v_mov_b32_e32 v4, 0
	global_store_dwordx2 v[0:1], v[3:4], off
.LBB6_630:
	s_mov_b64 s[6:7], 0
.LBB6_631:
	s_andn2_b64 vcc, exec, s[6:7]
	s_cbranch_vccnz .LBB6_633
; %bb.632:
	s_and_b32 s6, s23, 0xff
	v_cvt_f16_u16_e32 v3, s6
	global_store_dword v[0:1], v3, off
.LBB6_633:
	s_mov_b64 s[6:7], 0
.LBB6_634:
	s_andn2_b64 vcc, exec, s[6:7]
	s_cbranch_vccnz .LBB6_643
; %bb.635:
	s_cmp_lt_i32 s14, 6
	s_mov_b64 s[6:7], -1
	s_cbranch_scc1 .LBB6_641
; %bb.636:
	s_cmp_gt_i32 s14, 6
	s_cbranch_scc0 .LBB6_638
; %bb.637:
	s_and_b32 s6, s23, 0xff
	v_cvt_f64_u32_e32 v[3:4], s6
	s_mov_b64 s[6:7], 0
	global_store_dwordx2 v[0:1], v[3:4], off
.LBB6_638:
	s_andn2_b64 vcc, exec, s[6:7]
	s_cbranch_vccnz .LBB6_640
; %bb.639:
	v_cvt_f32_ubyte0_e32 v3, s23
	global_store_dword v[0:1], v3, off
.LBB6_640:
	s_mov_b64 s[6:7], 0
.LBB6_641:
	s_andn2_b64 vcc, exec, s[6:7]
	s_cbranch_vccnz .LBB6_643
; %bb.642:
	s_and_b32 s6, s23, 0xff
	v_cvt_f16_u16_e32 v3, s6
	global_store_short v[0:1], v3, off
.LBB6_643:
	s_mov_b64 s[6:7], 0
.LBB6_644:
	s_andn2_b64 vcc, exec, s[6:7]
	s_cbranch_vccnz .LBB6_660
; %bb.645:
	s_cmp_lt_i32 s14, 2
	s_mov_b64 s[6:7], -1
	s_cbranch_scc1 .LBB6_655
; %bb.646:
	s_cmp_lt_i32 s14, 3
	s_cbranch_scc1 .LBB6_652
; %bb.647:
	s_cmp_gt_i32 s14, 3
	s_cbranch_scc0 .LBB6_649
; %bb.648:
	s_and_b32 s6, s23, 0xff
	v_mov_b32_e32 v3, s6
	v_mov_b32_e32 v4, 0
	global_store_dwordx2 v[0:1], v[3:4], off
	s_mov_b64 s[6:7], 0
.LBB6_649:
	s_andn2_b64 vcc, exec, s[6:7]
	s_cbranch_vccnz .LBB6_651
; %bb.650:
	s_and_b32 s6, s23, 0xff
	v_mov_b32_e32 v3, s6
	global_store_dword v[0:1], v3, off
.LBB6_651:
	s_mov_b64 s[6:7], 0
.LBB6_652:
	s_andn2_b64 vcc, exec, s[6:7]
	s_cbranch_vccnz .LBB6_654
; %bb.653:
	s_and_b32 s6, s23, 0xff
	v_mov_b32_e32 v3, s6
	global_store_short v[0:1], v3, off
.LBB6_654:
	s_mov_b64 s[6:7], 0
.LBB6_655:
	s_andn2_b64 vcc, exec, s[6:7]
	s_cbranch_vccnz .LBB6_660
; %bb.656:
	s_cmp_gt_i32 s14, 0
	s_mov_b64 s[6:7], -1
	s_cbranch_scc0 .LBB6_658
; %bb.657:
	v_mov_b32_e32 v3, s23
	global_store_byte v[0:1], v3, off
	s_mov_b64 s[6:7], 0
.LBB6_658:
	s_andn2_b64 vcc, exec, s[6:7]
	s_cbranch_vccnz .LBB6_660
; %bb.659:
	v_mov_b32_e32 v3, s23
	global_store_byte v[0:1], v3, off
.LBB6_660:
.LBB6_661:
	v_add_u32_e32 v2, s15, v2
	v_ashrrev_i32_e32 v1, 31, v2
	v_mov_b32_e32 v3, s21
	v_add_co_u32_e32 v0, vcc, s20, v2
	s_cmp_lt_i32 s14, 11
	v_addc_co_u32_e32 v1, vcc, v3, v1, vcc
	s_cbranch_scc1 .LBB6_689
; %bb.662:
	s_mov_b64 s[12:13], -1
	s_mov_b64 s[8:9], 0
	s_cmp_gt_i32 s14, 25
	s_mov_b64 s[10:11], 0
	s_mov_b64 s[6:7], 0
	s_cbranch_scc0 .LBB6_730
; %bb.663:
	s_cmp_gt_i32 s14, 28
	s_cbranch_scc0 .LBB6_678
; %bb.664:
	s_cmp_gt_i32 s14, 43
	;; [unrolled: 3-line block ×3, first 2 shown]
	s_cbranch_scc0 .LBB6_668
; %bb.666:
	s_mov_b64 s[6:7], -1
	s_mov_b64 s[12:13], 0
	s_cmp_eq_u32 s14, 46
	s_cbranch_scc0 .LBB6_668
; %bb.667:
	v_cvt_f32_ubyte0_e32 v3, s23
	v_bfe_u32 v4, v3, 16, 1
	v_add_u32_e32 v3, v3, v4
	v_add_u32_e32 v3, 0x7fff, v3
	v_lshrrev_b32_e32 v3, 16, v3
	global_store_dword v[0:1], v3, off
	s_mov_b64 s[6:7], 0
	s_mov_b64 s[10:11], -1
.LBB6_668:
	s_and_b64 vcc, exec, s[12:13]
	s_cbranch_vccz .LBB6_673
; %bb.669:
	s_cmp_eq_u32 s14, 44
	s_mov_b64 s[6:7], -1
	s_cbranch_scc0 .LBB6_673
; %bb.670:
	v_cvt_f32_ubyte0_e32 v3, s23
	v_readfirstlane_b32 s7, v3
	s_lshr_b32 s6, s7, 23
	s_cmpk_eq_i32 s6, 0xff
	v_mov_b32_e32 v3, 0xff
	s_cbranch_scc1 .LBB6_672
; %bb.671:
	s_bitcmp1_b32 s7, 22
	s_cselect_b64 s[10:11], -1, 0
	s_and_b32 s7, s7, 0x3fffff
	s_or_b32 s7, s6, s7
	s_cmp_lg_u32 s7, 0
	s_cselect_b64 s[12:13], -1, 0
	s_and_b64 s[10:11], s[10:11], s[12:13]
	v_cndmask_b32_e64 v3, 0, 1, s[10:11]
	v_add_u32_e32 v3, s6, v3
.LBB6_672:
	s_mov_b64 s[6:7], 0
	s_mov_b64 s[10:11], -1
	global_store_byte v[0:1], v3, off
.LBB6_673:
	s_mov_b64 s[12:13], 0
.LBB6_674:
	s_and_b64 vcc, exec, s[12:13]
	s_cbranch_vccz .LBB6_677
; %bb.675:
	s_cmp_eq_u32 s14, 29
	s_mov_b64 s[6:7], -1
	s_cbranch_scc0 .LBB6_677
; %bb.676:
	s_and_b32 s6, s23, 0xff
	v_mov_b32_e32 v3, s6
	v_mov_b32_e32 v4, 0
	global_store_dwordx2 v[0:1], v[3:4], off
	s_mov_b64 s[6:7], 0
	s_mov_b64 s[10:11], -1
.LBB6_677:
	s_mov_b64 s[12:13], 0
.LBB6_678:
	s_and_b64 vcc, exec, s[12:13]
	s_cbranch_vccz .LBB6_729
; %bb.679:
	s_cmp_lt_i32 s14, 27
	s_mov_b64 s[10:11], -1
	s_cbranch_scc1 .LBB6_685
; %bb.680:
	s_cmp_gt_i32 s14, 27
	s_cbranch_scc0 .LBB6_682
; %bb.681:
	s_and_b32 s10, s23, 0xff
	v_mov_b32_e32 v3, s10
	s_mov_b64 s[10:11], 0
	global_store_dword v[0:1], v3, off
.LBB6_682:
	s_andn2_b64 vcc, exec, s[10:11]
	s_cbranch_vccnz .LBB6_684
; %bb.683:
	s_and_b32 s10, s23, 0xff
	v_mov_b32_e32 v3, s10
	global_store_short v[0:1], v3, off
.LBB6_684:
	s_mov_b64 s[10:11], 0
.LBB6_685:
	s_andn2_b64 vcc, exec, s[10:11]
	s_cbranch_vccnz .LBB6_728
; %bb.686:
	v_cvt_f32_ubyte0_e32 v3, s23
	s_mov_b32 s11, 0x437fffff
	v_cmp_lt_u32_e32 vcc, s11, v3
	v_readfirstlane_b32 s10, v3
	v_mov_b32_e32 v5, 0x80
	s_cbranch_vccnz .LBB6_727
; %bb.687:
	s_cmp_gt_u32 s10, 0x3bffffff
	s_cbranch_scc0 .LBB6_722
; %bb.688:
	s_bfe_u32 s11, s10, 0x10014
	s_add_i32 s10, s10, s11
	s_add_i32 s10, s10, 0x487ffff
	s_lshr_b32 s16, s10, 20
	s_mov_b64 s[12:13], 0
	s_mov_b64 s[10:11], -1
	s_branch .LBB6_723
.LBB6_689:
	s_mov_b64 s[10:11], 0
	s_cbranch_execnz .LBB6_794
.LBB6_690:
	s_andn2_b64 vcc, exec, s[10:11]
	s_cbranch_vccnz .LBB6_832
.LBB6_691:
	v_add_u32_e32 v0, s15, v2
	v_ashrrev_i32_e32 v1, 31, v0
	v_mov_b32_e32 v2, s21
	v_add_co_u32_e32 v0, vcc, s20, v0
	s_cmp_lt_i32 s14, 11
	v_addc_co_u32_e32 v1, vcc, v2, v1, vcc
	s_cbranch_scc1 .LBB6_720
; %bb.692:
	s_mov_b64 s[10:11], -1
	s_mov_b64 s[8:9], 0
	s_cmp_gt_i32 s14, 25
	s_mov_b64 s[6:7], 0
	s_cbranch_scc0 .LBB6_744
; %bb.693:
	s_cmp_gt_i32 s14, 28
	s_cbranch_scc0 .LBB6_709
; %bb.694:
	s_cmp_gt_i32 s14, 43
	;; [unrolled: 3-line block ×3, first 2 shown]
	s_cbranch_scc0 .LBB6_699
; %bb.696:
	s_cmp_eq_u32 s14, 46
	s_mov_b64 s[6:7], -1
	s_cbranch_scc0 .LBB6_698
; %bb.697:
	v_cvt_f32_ubyte0_e32 v2, s23
	v_bfe_u32 v3, v2, 16, 1
	v_add_u32_e32 v2, v2, v3
	v_add_u32_e32 v2, 0x7fff, v2
	v_lshrrev_b32_e32 v2, 16, v2
	global_store_dword v[0:1], v2, off
	s_mov_b64 s[6:7], 0
.LBB6_698:
	s_mov_b64 s[10:11], 0
.LBB6_699:
	s_and_b64 vcc, exec, s[10:11]
	s_cbranch_vccz .LBB6_704
; %bb.700:
	s_cmp_eq_u32 s14, 44
	s_mov_b64 s[6:7], -1
	s_cbranch_scc0 .LBB6_704
; %bb.701:
	v_cvt_f32_ubyte0_e32 v2, s23
	v_readfirstlane_b32 s7, v2
	s_lshr_b32 s6, s7, 23
	s_cmpk_eq_i32 s6, 0xff
	v_mov_b32_e32 v2, 0xff
	s_cbranch_scc1 .LBB6_703
; %bb.702:
	s_bitcmp1_b32 s7, 22
	s_cselect_b64 s[10:11], -1, 0
	s_and_b32 s7, s7, 0x3fffff
	s_or_b32 s7, s6, s7
	s_cmp_lg_u32 s7, 0
	s_cselect_b64 s[12:13], -1, 0
	s_and_b64 s[10:11], s[10:11], s[12:13]
	v_cndmask_b32_e64 v2, 0, 1, s[10:11]
	v_add_u32_e32 v2, s6, v2
.LBB6_703:
	s_mov_b64 s[6:7], 0
	global_store_byte v[0:1], v2, off
.LBB6_704:
	s_mov_b64 s[10:11], 0
.LBB6_705:
	s_and_b64 vcc, exec, s[10:11]
	s_cbranch_vccz .LBB6_708
; %bb.706:
	s_cmp_eq_u32 s14, 29
	s_mov_b64 s[6:7], -1
	s_cbranch_scc0 .LBB6_708
; %bb.707:
	s_and_b32 s6, s23, 0xff
	v_mov_b32_e32 v2, s6
	v_mov_b32_e32 v3, 0
	global_store_dwordx2 v[0:1], v[2:3], off
	s_mov_b64 s[6:7], 0
.LBB6_708:
	s_mov_b64 s[10:11], 0
.LBB6_709:
	s_and_b64 vcc, exec, s[10:11]
	s_cbranch_vccz .LBB6_743
; %bb.710:
	s_cmp_lt_i32 s14, 27
	s_mov_b64 s[10:11], -1
	s_cbranch_scc1 .LBB6_716
; %bb.711:
	s_cmp_gt_i32 s14, 27
	s_cbranch_scc0 .LBB6_713
; %bb.712:
	s_and_b32 s10, s23, 0xff
	v_mov_b32_e32 v2, s10
	global_store_dword v[0:1], v2, off
	s_mov_b64 s[10:11], 0
.LBB6_713:
	s_andn2_b64 vcc, exec, s[10:11]
	s_cbranch_vccnz .LBB6_715
; %bb.714:
	s_and_b32 s10, s23, 0xff
	v_mov_b32_e32 v2, s10
	global_store_short v[0:1], v2, off
.LBB6_715:
	s_mov_b64 s[10:11], 0
.LBB6_716:
	s_andn2_b64 vcc, exec, s[10:11]
	s_cbranch_vccnz .LBB6_743
; %bb.717:
	v_cvt_f32_ubyte0_e32 v2, s23
	s_mov_b32 s11, 0x437fffff
	v_cmp_lt_u32_e32 vcc, s11, v2
	v_readfirstlane_b32 s10, v2
	v_mov_b32_e32 v4, 0x80
	s_cbranch_vccnz .LBB6_742
; %bb.718:
	s_cmp_gt_u32 s10, 0x3bffffff
	s_cbranch_scc0 .LBB6_737
; %bb.719:
	s_bfe_u32 s11, s10, 0x10014
	s_add_i32 s10, s10, s11
	s_add_i32 s10, s10, 0x487ffff
	s_lshr_b32 s15, s10, 20
	s_mov_b64 s[12:13], 0
	s_mov_b64 s[10:11], -1
	s_branch .LBB6_738
.LBB6_720:
	s_mov_b64 s[8:9], 0
	s_mov_b64 s[6:7], -1
	s_branch .LBB6_833
.LBB6_721:
	s_trap 2
	s_or_b64 s[4:5], s[4:5], exec
	s_cbranch_execz .LBB6_621
	s_branch .LBB6_622
.LBB6_722:
	s_mov_b64 s[12:13], -1
	s_mov_b64 s[10:11], 0
                                        ; implicit-def: $sgpr16
.LBB6_723:
	s_andn2_b64 vcc, exec, s[12:13]
	v_mov_b32_e32 v4, s16
	s_cbranch_vccnz .LBB6_725
; %bb.724:
	v_add_f32_e32 v3, 0x46000000, v3
	v_and_b32_e32 v4, 0xff, v3
	v_cmp_ne_u32_e64 s[10:11], 0, v4
.LBB6_725:
	s_andn2_b64 vcc, exec, s[10:11]
	v_mov_b32_e32 v5, 0
	s_cbranch_vccnz .LBB6_727
; %bb.726:
	v_mov_b32_e32 v5, v4
.LBB6_727:
	global_store_byte v[0:1], v5, off
.LBB6_728:
	s_mov_b64 s[10:11], -1
.LBB6_729:
	s_mov_b64 s[12:13], 0
.LBB6_730:
	s_and_b64 vcc, exec, s[12:13]
	s_cbranch_vccz .LBB6_790
; %bb.731:
	s_cmp_gt_i32 s14, 22
	s_mov_b64 s[8:9], -1
	s_cbranch_scc0 .LBB6_783
; %bb.732:
	s_cmp_lt_i32 s14, 24
	s_cbranch_scc1 .LBB6_770
; %bb.733:
	s_cmp_gt_i32 s14, 24
	s_cbranch_scc0 .LBB6_757
; %bb.734:
	v_cvt_f32_ubyte0_e32 v3, s23
	s_mov_b32 s9, 0x477fffff
	v_cmp_lt_u32_e32 vcc, s9, v3
	v_readfirstlane_b32 s8, v3
	v_mov_b32_e32 v5, 0x80
	s_cbranch_vccnz .LBB6_756
; %bb.735:
	s_cmp_gt_u32 s8, 0x37ffffff
	s_cbranch_scc0 .LBB6_751
; %bb.736:
	s_bfe_u32 s9, s8, 0x10015
	s_add_i32 s8, s8, s9
	s_add_i32 s8, s8, 0x88fffff
	s_lshr_b32 s12, s8, 21
	s_mov_b64 s[10:11], 0
	s_mov_b64 s[8:9], -1
	s_branch .LBB6_752
.LBB6_737:
	s_mov_b64 s[12:13], -1
	s_mov_b64 s[10:11], 0
                                        ; implicit-def: $sgpr15
.LBB6_738:
	s_andn2_b64 vcc, exec, s[12:13]
	v_mov_b32_e32 v3, s15
	s_cbranch_vccnz .LBB6_740
; %bb.739:
	v_add_f32_e32 v2, 0x46000000, v2
	v_and_b32_e32 v3, 0xff, v2
	v_cmp_ne_u32_e64 s[10:11], 0, v3
.LBB6_740:
	s_andn2_b64 vcc, exec, s[10:11]
	v_mov_b32_e32 v4, 0
	s_cbranch_vccnz .LBB6_742
; %bb.741:
	v_mov_b32_e32 v4, v3
.LBB6_742:
	global_store_byte v[0:1], v4, off
.LBB6_743:
	s_mov_b64 s[10:11], 0
.LBB6_744:
	s_and_b64 vcc, exec, s[10:11]
	s_cbranch_vccz .LBB6_914
; %bb.745:
	s_cmp_gt_i32 s14, 22
	s_mov_b64 s[8:9], -1
	s_cbranch_scc0 .LBB6_907
; %bb.746:
	s_cmp_lt_i32 s14, 24
	s_cbranch_scc1 .LBB6_894
; %bb.747:
	s_cmp_gt_i32 s14, 24
	s_cbranch_scc0 .LBB6_881
; %bb.748:
	v_cvt_f32_ubyte0_e32 v2, s23
	s_mov_b32 s9, 0x477fffff
	v_cmp_lt_u32_e32 vcc, s9, v2
	v_readfirstlane_b32 s8, v2
	v_mov_b32_e32 v4, 0x80
	s_cbranch_vccnz .LBB6_880
; %bb.749:
	s_cmp_gt_u32 s8, 0x37ffffff
	s_cbranch_scc0 .LBB6_875
; %bb.750:
	s_bfe_u32 s9, s8, 0x10015
	s_add_i32 s8, s8, s9
	s_add_i32 s8, s8, 0x88fffff
	s_lshr_b32 s12, s8, 21
	s_mov_b64 s[10:11], 0
	s_mov_b64 s[8:9], -1
	s_branch .LBB6_876
.LBB6_751:
	s_mov_b64 s[10:11], -1
	s_mov_b64 s[8:9], 0
                                        ; implicit-def: $sgpr12
.LBB6_752:
	s_andn2_b64 vcc, exec, s[10:11]
	v_mov_b32_e32 v4, s12
	s_cbranch_vccnz .LBB6_754
; %bb.753:
	v_add_f32_e32 v3, 0x42800000, v3
	v_and_b32_e32 v4, 0xff, v3
	v_cmp_ne_u32_e64 s[8:9], 0, v4
.LBB6_754:
	s_andn2_b64 vcc, exec, s[8:9]
	v_mov_b32_e32 v5, 0
	s_cbranch_vccnz .LBB6_756
; %bb.755:
	v_mov_b32_e32 v5, v4
.LBB6_756:
	s_mov_b64 s[8:9], 0
	global_store_byte v[0:1], v5, off
.LBB6_757:
	s_and_b64 vcc, exec, s[8:9]
	s_cbranch_vccz .LBB6_769
; %bb.758:
	v_cvt_f32_ubyte0_e32 v3, s23
	s_mov_b32 s8, 0x43f00000
	v_cmp_gt_u32_e32 vcc, s8, v3
	v_readfirstlane_b32 s10, v3
	s_cbranch_vccz .LBB6_761
; %bb.759:
	s_cmp_gt_u32 s10, 0x3c7fffff
	s_cbranch_scc0 .LBB6_762
; %bb.760:
	s_bfe_u32 s8, s10, 0x10014
	s_add_i32 s8, s10, s8
	s_add_i32 s8, s8, 0x407ffff
	s_lshr_b32 s9, s8, 20
	s_and_b32 s8, s8, 0xff00000
	s_cmp_lg_u32 s8, 0x7f00000
	s_cselect_b32 s11, s9, 0x7e
	s_mov_b64 s[8:9], 0
	s_branch .LBB6_763
.LBB6_761:
	s_mov_b64 s[8:9], -1
                                        ; implicit-def: $vgpr4
	s_branch .LBB6_766
.LBB6_762:
	s_mov_b64 s[8:9], -1
                                        ; implicit-def: $sgpr11
.LBB6_763:
	s_andn2_b64 vcc, exec, s[8:9]
	v_mov_b32_e32 v4, s11
	s_cbranch_vccnz .LBB6_765
; %bb.764:
	v_add_f32_e32 v4, 0x46800000, v3
.LBB6_765:
	s_mov_b64 s[8:9], 0
.LBB6_766:
	s_andn2_b64 vcc, exec, s[8:9]
	s_cbranch_vccnz .LBB6_768
; %bb.767:
	s_cmp_gt_u32 s10, 0x7f800000
	s_movk_i32 s8, 0x7f
	s_cselect_b32 s8, s8, 0x7e
	v_mov_b32_e32 v4, s8
.LBB6_768:
	global_store_byte v[0:1], v4, off
.LBB6_769:
	s_mov_b64 s[8:9], 0
.LBB6_770:
	s_andn2_b64 vcc, exec, s[8:9]
	s_cbranch_vccnz .LBB6_782
; %bb.771:
	v_cvt_f32_ubyte0_e32 v3, s23
	s_mov_b32 s8, 0x47800000
	v_cmp_gt_u32_e32 vcc, s8, v3
	v_readfirstlane_b32 s10, v3
	s_cbranch_vccz .LBB6_774
; %bb.772:
	s_cmp_gt_u32 s10, 0x387fffff
	s_cbranch_scc0 .LBB6_775
; %bb.773:
	s_bfe_u32 s8, s10, 0x10015
	s_add_i32 s8, s10, s8
	s_add_i32 s8, s8, 0x80fffff
	s_lshr_b32 s11, s8, 21
	s_mov_b64 s[8:9], 0
	s_branch .LBB6_776
.LBB6_774:
	s_mov_b64 s[8:9], -1
                                        ; implicit-def: $vgpr4
	s_branch .LBB6_779
.LBB6_775:
	s_mov_b64 s[8:9], -1
                                        ; implicit-def: $sgpr11
.LBB6_776:
	s_andn2_b64 vcc, exec, s[8:9]
	v_mov_b32_e32 v4, s11
	s_cbranch_vccnz .LBB6_778
; %bb.777:
	v_add_f32_e32 v4, 0x43000000, v3
.LBB6_778:
	s_mov_b64 s[8:9], 0
.LBB6_779:
	s_andn2_b64 vcc, exec, s[8:9]
	s_cbranch_vccnz .LBB6_781
; %bb.780:
	s_cmp_gt_u32 s10, 0x7f800000
	s_movk_i32 s8, 0x7f
	s_cselect_b32 s8, s8, 0x7c
	v_mov_b32_e32 v4, s8
.LBB6_781:
	global_store_byte v[0:1], v4, off
.LBB6_782:
	s_mov_b64 s[8:9], 0
	s_mov_b64 s[10:11], -1
.LBB6_783:
	s_andn2_b64 vcc, exec, s[8:9]
	s_mov_b64 s[8:9], 0
	s_cbranch_vccnz .LBB6_790
; %bb.784:
	s_cmp_gt_i32 s14, 14
	s_mov_b64 s[12:13], -1
	s_cbranch_scc0 .LBB6_788
; %bb.785:
	s_cmp_eq_u32 s14, 15
	s_mov_b64 s[6:7], -1
	s_cbranch_scc0 .LBB6_787
; %bb.786:
	v_cvt_f32_ubyte0_e32 v3, s23
	v_bfe_u32 v4, v3, 16, 1
	v_add_u32_e32 v3, v3, v4
	v_add_u32_e32 v3, 0x7fff, v3
	global_store_short_d16_hi v[0:1], v3, off
	s_mov_b64 s[6:7], 0
	s_mov_b64 s[10:11], -1
.LBB6_787:
	s_mov_b64 s[12:13], 0
.LBB6_788:
	s_and_b64 vcc, exec, s[12:13]
	s_cbranch_vccz .LBB6_790
; %bb.789:
	s_cmp_lg_u32 s14, 11
	s_mov_b64 s[8:9], -1
	s_cselect_b64 s[6:7], -1, 0
.LBB6_790:
	s_and_b64 vcc, exec, s[6:7]
	s_cbranch_vccnz .LBB6_874
; %bb.791:
	s_andn2_b64 vcc, exec, s[8:9]
	s_cbranch_vccnz .LBB6_793
.LBB6_792:
	s_and_b32 s6, s23, 0xff
	s_cmp_lg_u32 s6, 0
	s_cselect_b64 s[6:7], -1, 0
	v_cndmask_b32_e64 v3, 0, 1, s[6:7]
	s_mov_b64 s[10:11], -1
	global_store_byte v[0:1], v3, off
.LBB6_793:
	s_branch .LBB6_690
.LBB6_794:
	s_cmp_lt_i32 s14, 5
	s_mov_b64 s[6:7], -1
	s_cbranch_scc1 .LBB6_815
; %bb.795:
	s_cmp_lt_i32 s14, 8
	s_cbranch_scc1 .LBB6_805
; %bb.796:
	s_cmp_lt_i32 s14, 9
	s_cbranch_scc1 .LBB6_802
; %bb.797:
	s_cmp_gt_i32 s14, 9
	s_cbranch_scc0 .LBB6_799
; %bb.798:
	s_and_b32 s6, s23, 0xff
	v_cvt_f64_u32_e32 v[3:4], s6
	v_mov_b32_e32 v5, 0
	v_mov_b32_e32 v6, v5
	s_mov_b64 s[6:7], 0
	global_store_dwordx4 v[0:1], v[3:6], off
.LBB6_799:
	s_andn2_b64 vcc, exec, s[6:7]
	s_cbranch_vccnz .LBB6_801
; %bb.800:
	v_cvt_f32_ubyte0_e32 v3, s23
	v_mov_b32_e32 v4, 0
	global_store_dwordx2 v[0:1], v[3:4], off
.LBB6_801:
	s_mov_b64 s[6:7], 0
.LBB6_802:
	s_andn2_b64 vcc, exec, s[6:7]
	s_cbranch_vccnz .LBB6_804
; %bb.803:
	s_and_b32 s6, s23, 0xff
	v_cvt_f16_u16_e32 v3, s6
	global_store_dword v[0:1], v3, off
.LBB6_804:
	s_mov_b64 s[6:7], 0
.LBB6_805:
	s_andn2_b64 vcc, exec, s[6:7]
	s_cbranch_vccnz .LBB6_814
; %bb.806:
	s_cmp_lt_i32 s14, 6
	s_mov_b64 s[6:7], -1
	s_cbranch_scc1 .LBB6_812
; %bb.807:
	s_cmp_gt_i32 s14, 6
	s_cbranch_scc0 .LBB6_809
; %bb.808:
	s_and_b32 s6, s23, 0xff
	v_cvt_f64_u32_e32 v[3:4], s6
	s_mov_b64 s[6:7], 0
	global_store_dwordx2 v[0:1], v[3:4], off
.LBB6_809:
	s_andn2_b64 vcc, exec, s[6:7]
	s_cbranch_vccnz .LBB6_811
; %bb.810:
	v_cvt_f32_ubyte0_e32 v3, s23
	global_store_dword v[0:1], v3, off
.LBB6_811:
	s_mov_b64 s[6:7], 0
.LBB6_812:
	s_andn2_b64 vcc, exec, s[6:7]
	s_cbranch_vccnz .LBB6_814
; %bb.813:
	s_and_b32 s6, s23, 0xff
	v_cvt_f16_u16_e32 v3, s6
	global_store_short v[0:1], v3, off
.LBB6_814:
	s_mov_b64 s[6:7], 0
.LBB6_815:
	s_andn2_b64 vcc, exec, s[6:7]
	s_cbranch_vccnz .LBB6_831
; %bb.816:
	s_cmp_lt_i32 s14, 2
	s_mov_b64 s[6:7], -1
	s_cbranch_scc1 .LBB6_826
; %bb.817:
	s_cmp_lt_i32 s14, 3
	s_cbranch_scc1 .LBB6_823
; %bb.818:
	s_cmp_gt_i32 s14, 3
	s_cbranch_scc0 .LBB6_820
; %bb.819:
	s_and_b32 s6, s23, 0xff
	v_mov_b32_e32 v3, s6
	v_mov_b32_e32 v4, 0
	global_store_dwordx2 v[0:1], v[3:4], off
	s_mov_b64 s[6:7], 0
.LBB6_820:
	s_andn2_b64 vcc, exec, s[6:7]
	s_cbranch_vccnz .LBB6_822
; %bb.821:
	s_and_b32 s6, s23, 0xff
	v_mov_b32_e32 v3, s6
	global_store_dword v[0:1], v3, off
.LBB6_822:
	s_mov_b64 s[6:7], 0
.LBB6_823:
	s_andn2_b64 vcc, exec, s[6:7]
	s_cbranch_vccnz .LBB6_825
; %bb.824:
	s_and_b32 s6, s23, 0xff
	v_mov_b32_e32 v3, s6
	global_store_short v[0:1], v3, off
.LBB6_825:
	s_mov_b64 s[6:7], 0
.LBB6_826:
	s_andn2_b64 vcc, exec, s[6:7]
	s_cbranch_vccnz .LBB6_831
; %bb.827:
	s_cmp_gt_i32 s14, 0
	s_mov_b64 s[6:7], -1
	s_cbranch_scc0 .LBB6_829
; %bb.828:
	v_mov_b32_e32 v3, s23
	global_store_byte v[0:1], v3, off
	s_mov_b64 s[6:7], 0
.LBB6_829:
	s_andn2_b64 vcc, exec, s[6:7]
	s_cbranch_vccnz .LBB6_831
; %bb.830:
	v_mov_b32_e32 v3, s23
	global_store_byte v[0:1], v3, off
.LBB6_831:
	s_branch .LBB6_691
.LBB6_832:
	s_mov_b64 s[6:7], 0
	s_mov_b64 s[8:9], 0
                                        ; implicit-def: $sgpr33
                                        ; implicit-def: $vgpr0_vgpr1
.LBB6_833:
	s_andn2_b64 s[0:1], s[0:1], exec
	s_and_b64 s[4:5], s[4:5], exec
	s_and_b64 s[6:7], s[6:7], exec
	;; [unrolled: 1-line block ×3, first 2 shown]
	s_or_b64 s[0:1], s[0:1], s[4:5]
	s_or_b64 exec, exec, s[2:3]
	s_and_saveexec_b64 s[2:3], s[0:1]
	s_cbranch_execnz .LBB6_434
.LBB6_834:
	s_or_b64 exec, exec, s[2:3]
	s_and_saveexec_b64 s[0:1], s[18:19]
	s_xor_b64 s[0:1], exec, s[0:1]
	s_cbranch_execz .LBB6_435
.LBB6_835:
	s_and_b32 s2, s23, 0xff
	s_cmp_lg_u32 s2, 0
	s_cselect_b64 s[2:3], -1, 0
	v_cndmask_b32_e64 v2, 0, 1, s[2:3]
	global_store_byte v[0:1], v2, off
	s_or_b64 exec, exec, s[0:1]
	s_and_saveexec_b64 s[0:1], s[6:7]
	s_cbranch_execz .LBB6_873
.LBB6_836:
	s_sext_i32_i16 s2, s33
	s_cmp_lt_i32 s2, 5
	s_mov_b64 s[0:1], -1
	s_cbranch_scc1 .LBB6_857
; %bb.837:
	s_cmp_lt_i32 s2, 8
	s_cbranch_scc1 .LBB6_847
; %bb.838:
	s_cmp_lt_i32 s2, 9
	s_cbranch_scc1 .LBB6_844
; %bb.839:
	s_cmp_gt_i32 s2, 9
	s_cbranch_scc0 .LBB6_841
; %bb.840:
	s_and_b32 s0, s23, 0xff
	v_cvt_f64_u32_e32 v[2:3], s0
	v_mov_b32_e32 v4, 0
	v_mov_b32_e32 v5, v4
	s_mov_b64 s[0:1], 0
	global_store_dwordx4 v[0:1], v[2:5], off
.LBB6_841:
	s_andn2_b64 vcc, exec, s[0:1]
	s_cbranch_vccnz .LBB6_843
; %bb.842:
	v_cvt_f32_ubyte0_e32 v2, s23
	v_mov_b32_e32 v3, 0
	global_store_dwordx2 v[0:1], v[2:3], off
.LBB6_843:
	s_mov_b64 s[0:1], 0
.LBB6_844:
	s_andn2_b64 vcc, exec, s[0:1]
	s_cbranch_vccnz .LBB6_846
; %bb.845:
	s_and_b32 s0, s23, 0xff
	v_cvt_f16_u16_e32 v2, s0
	global_store_dword v[0:1], v2, off
.LBB6_846:
	s_mov_b64 s[0:1], 0
.LBB6_847:
	s_andn2_b64 vcc, exec, s[0:1]
	s_cbranch_vccnz .LBB6_856
; %bb.848:
	s_sext_i32_i16 s2, s33
	s_cmp_lt_i32 s2, 6
	s_mov_b64 s[0:1], -1
	s_cbranch_scc1 .LBB6_854
; %bb.849:
	s_cmp_gt_i32 s2, 6
	s_cbranch_scc0 .LBB6_851
; %bb.850:
	s_and_b32 s0, s23, 0xff
	v_cvt_f64_u32_e32 v[2:3], s0
	s_mov_b64 s[0:1], 0
	global_store_dwordx2 v[0:1], v[2:3], off
.LBB6_851:
	s_andn2_b64 vcc, exec, s[0:1]
	s_cbranch_vccnz .LBB6_853
; %bb.852:
	v_cvt_f32_ubyte0_e32 v2, s23
	global_store_dword v[0:1], v2, off
.LBB6_853:
	s_mov_b64 s[0:1], 0
.LBB6_854:
	s_andn2_b64 vcc, exec, s[0:1]
	s_cbranch_vccnz .LBB6_856
; %bb.855:
	s_and_b32 s0, s23, 0xff
	v_cvt_f16_u16_e32 v2, s0
	global_store_short v[0:1], v2, off
.LBB6_856:
	s_mov_b64 s[0:1], 0
.LBB6_857:
	s_andn2_b64 vcc, exec, s[0:1]
	s_cbranch_vccnz .LBB6_873
; %bb.858:
	s_sext_i32_i16 s2, s33
	s_cmp_lt_i32 s2, 2
	s_mov_b64 s[0:1], -1
	s_cbranch_scc1 .LBB6_868
; %bb.859:
	s_cmp_lt_i32 s2, 3
	s_cbranch_scc1 .LBB6_865
; %bb.860:
	s_cmp_gt_i32 s2, 3
	s_cbranch_scc0 .LBB6_862
; %bb.861:
	s_and_b32 s0, s23, 0xff
	v_mov_b32_e32 v2, s0
	v_mov_b32_e32 v3, 0
	global_store_dwordx2 v[0:1], v[2:3], off
	s_mov_b64 s[0:1], 0
.LBB6_862:
	s_andn2_b64 vcc, exec, s[0:1]
	s_cbranch_vccnz .LBB6_864
; %bb.863:
	s_and_b32 s0, s23, 0xff
	v_mov_b32_e32 v2, s0
	global_store_dword v[0:1], v2, off
.LBB6_864:
	s_mov_b64 s[0:1], 0
.LBB6_865:
	s_andn2_b64 vcc, exec, s[0:1]
	s_cbranch_vccnz .LBB6_867
; %bb.866:
	s_and_b32 s0, s23, 0xff
	v_mov_b32_e32 v2, s0
	global_store_short v[0:1], v2, off
.LBB6_867:
	s_mov_b64 s[0:1], 0
.LBB6_868:
	s_andn2_b64 vcc, exec, s[0:1]
	s_cbranch_vccnz .LBB6_873
; %bb.869:
	s_sext_i32_i16 s0, s33
	s_cmp_gt_i32 s0, 0
	s_mov_b64 s[0:1], -1
	s_cbranch_scc0 .LBB6_871
; %bb.870:
	v_mov_b32_e32 v2, s23
	global_store_byte v[0:1], v2, off
	s_mov_b64 s[0:1], 0
.LBB6_871:
	s_andn2_b64 vcc, exec, s[0:1]
	s_cbranch_vccnz .LBB6_873
; %bb.872:
	v_mov_b32_e32 v2, s23
	global_store_byte v[0:1], v2, off
	s_endpgm
.LBB6_873:
	s_endpgm
.LBB6_874:
	s_trap 2
	s_or_b64 s[4:5], s[4:5], exec
	s_cbranch_execz .LBB6_792
	s_branch .LBB6_793
.LBB6_875:
	s_mov_b64 s[10:11], -1
	s_mov_b64 s[8:9], 0
                                        ; implicit-def: $sgpr12
.LBB6_876:
	s_andn2_b64 vcc, exec, s[10:11]
	v_mov_b32_e32 v3, s12
	s_cbranch_vccnz .LBB6_878
; %bb.877:
	v_add_f32_e32 v2, 0x42800000, v2
	v_and_b32_e32 v3, 0xff, v2
	v_cmp_ne_u32_e64 s[8:9], 0, v3
.LBB6_878:
	s_andn2_b64 vcc, exec, s[8:9]
	v_mov_b32_e32 v4, 0
	s_cbranch_vccnz .LBB6_880
; %bb.879:
	v_mov_b32_e32 v4, v3
.LBB6_880:
	s_mov_b64 s[8:9], 0
	global_store_byte v[0:1], v4, off
.LBB6_881:
	s_and_b64 vcc, exec, s[8:9]
	s_cbranch_vccz .LBB6_893
; %bb.882:
	v_cvt_f32_ubyte0_e32 v2, s23
	s_mov_b32 s8, 0x43f00000
	v_cmp_gt_u32_e32 vcc, s8, v2
	v_readfirstlane_b32 s10, v2
	s_cbranch_vccz .LBB6_885
; %bb.883:
	s_cmp_gt_u32 s10, 0x3c7fffff
	s_cbranch_scc0 .LBB6_886
; %bb.884:
	s_bfe_u32 s8, s10, 0x10014
	s_add_i32 s8, s10, s8
	s_add_i32 s8, s8, 0x407ffff
	s_lshr_b32 s9, s8, 20
	s_and_b32 s8, s8, 0xff00000
	s_cmp_lg_u32 s8, 0x7f00000
	s_cselect_b32 s11, s9, 0x7e
	s_mov_b64 s[8:9], 0
	s_branch .LBB6_887
.LBB6_885:
	s_mov_b64 s[8:9], -1
                                        ; implicit-def: $vgpr3
	s_branch .LBB6_890
.LBB6_886:
	s_mov_b64 s[8:9], -1
                                        ; implicit-def: $sgpr11
.LBB6_887:
	s_andn2_b64 vcc, exec, s[8:9]
	v_mov_b32_e32 v3, s11
	s_cbranch_vccnz .LBB6_889
; %bb.888:
	v_add_f32_e32 v3, 0x46800000, v2
.LBB6_889:
	s_mov_b64 s[8:9], 0
.LBB6_890:
	s_andn2_b64 vcc, exec, s[8:9]
	s_cbranch_vccnz .LBB6_892
; %bb.891:
	s_cmp_gt_u32 s10, 0x7f800000
	s_movk_i32 s8, 0x7f
	s_cselect_b32 s8, s8, 0x7e
	v_mov_b32_e32 v3, s8
.LBB6_892:
	global_store_byte v[0:1], v3, off
.LBB6_893:
	s_mov_b64 s[8:9], 0
.LBB6_894:
	s_andn2_b64 vcc, exec, s[8:9]
	s_cbranch_vccnz .LBB6_906
; %bb.895:
	v_cvt_f32_ubyte0_e32 v2, s23
	s_mov_b32 s8, 0x47800000
	v_cmp_gt_u32_e32 vcc, s8, v2
	v_readfirstlane_b32 s10, v2
	s_cbranch_vccz .LBB6_898
; %bb.896:
	s_cmp_gt_u32 s10, 0x387fffff
	s_cbranch_scc0 .LBB6_899
; %bb.897:
	s_bfe_u32 s8, s10, 0x10015
	s_add_i32 s8, s10, s8
	s_add_i32 s8, s8, 0x80fffff
	s_lshr_b32 s11, s8, 21
	s_mov_b64 s[8:9], 0
	s_branch .LBB6_900
.LBB6_898:
	s_mov_b64 s[8:9], -1
                                        ; implicit-def: $vgpr3
	s_branch .LBB6_903
.LBB6_899:
	s_mov_b64 s[8:9], -1
                                        ; implicit-def: $sgpr11
.LBB6_900:
	s_andn2_b64 vcc, exec, s[8:9]
	v_mov_b32_e32 v3, s11
	s_cbranch_vccnz .LBB6_902
; %bb.901:
	v_add_f32_e32 v3, 0x43000000, v2
.LBB6_902:
	s_mov_b64 s[8:9], 0
.LBB6_903:
	s_andn2_b64 vcc, exec, s[8:9]
	s_cbranch_vccnz .LBB6_905
; %bb.904:
	s_cmp_gt_u32 s10, 0x7f800000
	s_movk_i32 s8, 0x7f
	s_cselect_b32 s8, s8, 0x7c
	v_mov_b32_e32 v3, s8
.LBB6_905:
	global_store_byte v[0:1], v3, off
.LBB6_906:
	s_mov_b64 s[8:9], 0
.LBB6_907:
	s_andn2_b64 vcc, exec, s[8:9]
	s_mov_b64 s[8:9], 0
	s_cbranch_vccnz .LBB6_914
; %bb.908:
	s_cmp_gt_i32 s14, 14
	s_mov_b64 s[10:11], -1
	s_cbranch_scc0 .LBB6_912
; %bb.909:
	s_cmp_eq_u32 s14, 15
	s_mov_b64 s[6:7], -1
	s_cbranch_scc0 .LBB6_911
; %bb.910:
	v_cvt_f32_ubyte0_e32 v2, s23
	v_bfe_u32 v3, v2, 16, 1
	v_add_u32_e32 v2, v2, v3
	v_add_u32_e32 v2, 0x7fff, v2
	global_store_short_d16_hi v[0:1], v2, off
	s_mov_b64 s[6:7], 0
.LBB6_911:
	s_mov_b64 s[10:11], 0
.LBB6_912:
	s_and_b64 vcc, exec, s[10:11]
	s_cbranch_vccz .LBB6_914
; %bb.913:
	s_cmp_lg_u32 s14, 11
	s_mov_b64 s[8:9], -1
	s_cselect_b64 s[6:7], -1, 0
.LBB6_914:
	s_and_b64 vcc, exec, s[6:7]
	s_cbranch_vccnz .LBB6_916
.LBB6_915:
	s_mov_b64 s[6:7], 0
	s_branch .LBB6_833
.LBB6_916:
	s_mov_b64 s[8:9], 0
	s_or_b64 s[4:5], s[4:5], exec
	s_trap 2
	s_branch .LBB6_915
	.section	.rodata,"a",@progbits
	.p2align	6, 0x0
	.amdhsa_kernel _ZN2at6native32elementwise_kernel_manual_unrollILi128ELi4EZNS0_15gpu_kernel_implINS0_11FillFunctorIhEEEEvRNS_18TensorIteratorBaseERKT_EUlibE_EEviT1_
		.amdhsa_group_segment_fixed_size 0
		.amdhsa_private_segment_fixed_size 0
		.amdhsa_kernarg_size 24
		.amdhsa_user_sgpr_count 6
		.amdhsa_user_sgpr_private_segment_buffer 1
		.amdhsa_user_sgpr_dispatch_ptr 0
		.amdhsa_user_sgpr_queue_ptr 0
		.amdhsa_user_sgpr_kernarg_segment_ptr 1
		.amdhsa_user_sgpr_dispatch_id 0
		.amdhsa_user_sgpr_flat_scratch_init 0
		.amdhsa_user_sgpr_private_segment_size 0
		.amdhsa_uses_dynamic_stack 0
		.amdhsa_system_sgpr_private_segment_wavefront_offset 0
		.amdhsa_system_sgpr_workgroup_id_x 1
		.amdhsa_system_sgpr_workgroup_id_y 0
		.amdhsa_system_sgpr_workgroup_id_z 0
		.amdhsa_system_sgpr_workgroup_info 0
		.amdhsa_system_vgpr_workitem_id 0
		.amdhsa_next_free_vgpr 23
		.amdhsa_next_free_sgpr 54
		.amdhsa_reserve_vcc 1
		.amdhsa_reserve_flat_scratch 0
		.amdhsa_float_round_mode_32 0
		.amdhsa_float_round_mode_16_64 0
		.amdhsa_float_denorm_mode_32 3
		.amdhsa_float_denorm_mode_16_64 3
		.amdhsa_dx10_clamp 1
		.amdhsa_ieee_mode 1
		.amdhsa_fp16_overflow 0
		.amdhsa_exception_fp_ieee_invalid_op 0
		.amdhsa_exception_fp_denorm_src 0
		.amdhsa_exception_fp_ieee_div_zero 0
		.amdhsa_exception_fp_ieee_overflow 0
		.amdhsa_exception_fp_ieee_underflow 0
		.amdhsa_exception_fp_ieee_inexact 0
		.amdhsa_exception_int_div_zero 0
	.end_amdhsa_kernel
	.section	.text._ZN2at6native32elementwise_kernel_manual_unrollILi128ELi4EZNS0_15gpu_kernel_implINS0_11FillFunctorIhEEEEvRNS_18TensorIteratorBaseERKT_EUlibE_EEviT1_,"axG",@progbits,_ZN2at6native32elementwise_kernel_manual_unrollILi128ELi4EZNS0_15gpu_kernel_implINS0_11FillFunctorIhEEEEvRNS_18TensorIteratorBaseERKT_EUlibE_EEviT1_,comdat
.Lfunc_end6:
	.size	_ZN2at6native32elementwise_kernel_manual_unrollILi128ELi4EZNS0_15gpu_kernel_implINS0_11FillFunctorIhEEEEvRNS_18TensorIteratorBaseERKT_EUlibE_EEviT1_, .Lfunc_end6-_ZN2at6native32elementwise_kernel_manual_unrollILi128ELi4EZNS0_15gpu_kernel_implINS0_11FillFunctorIhEEEEvRNS_18TensorIteratorBaseERKT_EUlibE_EEviT1_
                                        ; -- End function
	.set _ZN2at6native32elementwise_kernel_manual_unrollILi128ELi4EZNS0_15gpu_kernel_implINS0_11FillFunctorIhEEEEvRNS_18TensorIteratorBaseERKT_EUlibE_EEviT1_.num_vgpr, 23
	.set _ZN2at6native32elementwise_kernel_manual_unrollILi128ELi4EZNS0_15gpu_kernel_implINS0_11FillFunctorIhEEEEvRNS_18TensorIteratorBaseERKT_EUlibE_EEviT1_.num_agpr, 0
	.set _ZN2at6native32elementwise_kernel_manual_unrollILi128ELi4EZNS0_15gpu_kernel_implINS0_11FillFunctorIhEEEEvRNS_18TensorIteratorBaseERKT_EUlibE_EEviT1_.numbered_sgpr, 54
	.set _ZN2at6native32elementwise_kernel_manual_unrollILi128ELi4EZNS0_15gpu_kernel_implINS0_11FillFunctorIhEEEEvRNS_18TensorIteratorBaseERKT_EUlibE_EEviT1_.num_named_barrier, 0
	.set _ZN2at6native32elementwise_kernel_manual_unrollILi128ELi4EZNS0_15gpu_kernel_implINS0_11FillFunctorIhEEEEvRNS_18TensorIteratorBaseERKT_EUlibE_EEviT1_.private_seg_size, 0
	.set _ZN2at6native32elementwise_kernel_manual_unrollILi128ELi4EZNS0_15gpu_kernel_implINS0_11FillFunctorIhEEEEvRNS_18TensorIteratorBaseERKT_EUlibE_EEviT1_.uses_vcc, 1
	.set _ZN2at6native32elementwise_kernel_manual_unrollILi128ELi4EZNS0_15gpu_kernel_implINS0_11FillFunctorIhEEEEvRNS_18TensorIteratorBaseERKT_EUlibE_EEviT1_.uses_flat_scratch, 0
	.set _ZN2at6native32elementwise_kernel_manual_unrollILi128ELi4EZNS0_15gpu_kernel_implINS0_11FillFunctorIhEEEEvRNS_18TensorIteratorBaseERKT_EUlibE_EEviT1_.has_dyn_sized_stack, 0
	.set _ZN2at6native32elementwise_kernel_manual_unrollILi128ELi4EZNS0_15gpu_kernel_implINS0_11FillFunctorIhEEEEvRNS_18TensorIteratorBaseERKT_EUlibE_EEviT1_.has_recursion, 0
	.set _ZN2at6native32elementwise_kernel_manual_unrollILi128ELi4EZNS0_15gpu_kernel_implINS0_11FillFunctorIhEEEEvRNS_18TensorIteratorBaseERKT_EUlibE_EEviT1_.has_indirect_call, 0
	.section	.AMDGPU.csdata,"",@progbits
; Kernel info:
; codeLenInByte = 11864
; TotalNumSgprs: 58
; NumVgprs: 23
; ScratchSize: 0
; MemoryBound: 0
; FloatMode: 240
; IeeeMode: 1
; LDSByteSize: 0 bytes/workgroup (compile time only)
; SGPRBlocks: 7
; VGPRBlocks: 5
; NumSGPRsForWavesPerEU: 58
; NumVGPRsForWavesPerEU: 23
; Occupancy: 10
; WaveLimiterHint : 0
; COMPUTE_PGM_RSRC2:SCRATCH_EN: 0
; COMPUTE_PGM_RSRC2:USER_SGPR: 6
; COMPUTE_PGM_RSRC2:TRAP_HANDLER: 0
; COMPUTE_PGM_RSRC2:TGID_X_EN: 1
; COMPUTE_PGM_RSRC2:TGID_Y_EN: 0
; COMPUTE_PGM_RSRC2:TGID_Z_EN: 0
; COMPUTE_PGM_RSRC2:TIDIG_COMP_CNT: 0
	.section	.text._ZN2at6native32elementwise_kernel_manual_unrollILi128ELi4EZNS0_15gpu_kernel_implINS0_11FillFunctorIhEEEEvRNS_18TensorIteratorBaseERKT_EUlibE0_EEviT1_,"axG",@progbits,_ZN2at6native32elementwise_kernel_manual_unrollILi128ELi4EZNS0_15gpu_kernel_implINS0_11FillFunctorIhEEEEvRNS_18TensorIteratorBaseERKT_EUlibE0_EEviT1_,comdat
	.protected	_ZN2at6native32elementwise_kernel_manual_unrollILi128ELi4EZNS0_15gpu_kernel_implINS0_11FillFunctorIhEEEEvRNS_18TensorIteratorBaseERKT_EUlibE0_EEviT1_ ; -- Begin function _ZN2at6native32elementwise_kernel_manual_unrollILi128ELi4EZNS0_15gpu_kernel_implINS0_11FillFunctorIhEEEEvRNS_18TensorIteratorBaseERKT_EUlibE0_EEviT1_
	.globl	_ZN2at6native32elementwise_kernel_manual_unrollILi128ELi4EZNS0_15gpu_kernel_implINS0_11FillFunctorIhEEEEvRNS_18TensorIteratorBaseERKT_EUlibE0_EEviT1_
	.p2align	8
	.type	_ZN2at6native32elementwise_kernel_manual_unrollILi128ELi4EZNS0_15gpu_kernel_implINS0_11FillFunctorIhEEEEvRNS_18TensorIteratorBaseERKT_EUlibE0_EEviT1_,@function
_ZN2at6native32elementwise_kernel_manual_unrollILi128ELi4EZNS0_15gpu_kernel_implINS0_11FillFunctorIhEEEEvRNS_18TensorIteratorBaseERKT_EUlibE0_EEviT1_: ; @_ZN2at6native32elementwise_kernel_manual_unrollILi128ELi4EZNS0_15gpu_kernel_implINS0_11FillFunctorIhEEEEvRNS_18TensorIteratorBaseERKT_EUlibE0_EEviT1_
; %bb.0:
	s_load_dword s83, s[4:5], 0x0
	s_load_dword s33, s[4:5], 0x8
	s_add_u32 s34, s4, 8
	s_addc_u32 s35, s5, 0
	v_lshl_or_b32 v8, s6, 9, v0
	v_or_b32_e32 v9, 0x180, v8
	s_waitcnt lgkmcnt(0)
	s_add_i32 s80, s33, -1
	s_cmp_gt_u32 s80, 1
	v_cmp_le_i32_e32 vcc, s83, v9
	s_cselect_b64 s[44:45], -1, 0
	s_mov_b64 s[18:19], 0
	s_mov_b64 s[20:21], 0
	s_and_saveexec_b64 s[0:1], vcc
	s_xor_b64 s[46:47], exec, s[0:1]
	s_cbranch_execz .LBB7_462
; %bb.1:
	s_load_dwordx2 s[56:57], s[34:35], 0xc4
	s_load_dwordx2 s[54:55], s[34:35], 0x108
	s_load_dword s81, s[34:35], 0x110
	s_load_dwordx4 s[28:31], s[34:35], 0x4
	s_load_dwordx2 s[58:59], s[34:35], 0x14
	s_cmp_lg_u32 s33, 0
	s_cselect_b64 s[64:65], -1, 0
	s_waitcnt lgkmcnt(0)
	v_cvt_f32_ubyte0_e32 v4, s81
	v_and_b32_e32 v1, 0x400000, v4
	s_add_u32 s62, s34, 0xc4
	v_lshrrev_b32_e32 v0, 23, v4
	v_cmp_ne_u32_e32 vcc, 0, v1
	v_and_b32_e32 v1, 0x3fffff, v4
	s_addc_u32 s63, s35, 0
	s_min_u32 s84, s80, 15
	s_movk_i32 s0, 0xff
	v_or_b32_e32 v1, v0, v1
	s_cmp_gt_u32 s33, 1
	v_cmp_eq_u32_e64 s[16:17], s0, v0
	v_cmp_ne_u32_e64 s[0:1], 0, v1
	s_cselect_b64 s[60:61], -1, 0
	s_and_b64 s[0:1], vcc, s[0:1]
	v_cndmask_b32_e64 v1, 0, 1, s[0:1]
	s_mov_b32 s0, 0x43800000
	v_cmp_gt_u32_e64 s[14:15], s0, v4
	s_mov_b32 s0, 0x3bffffff
	v_add_f32_e32 v21, 0x46000000, v4
	v_add_u32_e32 v22, v0, v1
	v_cmp_lt_u32_e64 s[12:13], s0, v4
	v_bfe_u32 v0, v4, 20, 1
	v_readfirstlane_b32 s0, v21
	s_mov_b32 s2, 0x47800000
	s_bfe_u32 s82, s81, 0x80008
	s_and_b32 s48, s81, 0xff
	v_add_u32_e32 v0, v4, v0
	s_and_b32 s0, s0, 0xff
	v_cmp_gt_u32_e64 s[10:11], s2, v4
	s_mov_b32 s2, 0x37ffffff
	v_add_f32_e32 v18, 0x42800000, v4
	v_add_u32_e32 v1, 0x487ffff, v0
	s_cmp_lg_u32 s0, 0
	v_cmp_lt_u32_e64 s[8:9], s2, v4
	v_readfirstlane_b32 s2, v18
	v_lshrrev_b32_e32 v20, 20, v1
	s_cselect_b64 s[52:53], -1, 0
	v_bfe_u32 v1, v4, 21, 1
	s_and_b32 s2, s2, 0xff
	v_add_u32_e32 v1, v4, v1
	s_cmp_lg_u32 s2, 0
	s_mov_b32 s2, 0x43efffff
	v_add_u32_e32 v2, 0x88fffff, v1
	v_cmp_lt_u32_e64 s[4:5], s2, v4
	s_mov_b32 s2, 0x3c800000
	v_add_u32_e32 v0, 0x407ffff, v0
	v_lshrrev_b32_e32 v17, 21, v2
	v_cmp_gt_u32_e64 s[6:7], s2, v4
	v_lshrrev_b32_e32 v2, 20, v0
	v_and_b32_e32 v0, 0xff00000, v0
	s_mov_b32 s2, 0x7f00000
	v_mov_b32_e32 v3, 0x7e
	v_cmp_ne_u32_e32 vcc, s2, v0
	v_add_u32_e32 v0, 0x80fffff, v1
	s_mov_b32 s20, 0x7f800000
	v_cndmask_b32_e32 v15, v3, v2, vcc
	v_lshrrev_b32_e32 v12, 21, v0
	v_mov_b32_e32 v0, 0x7f
	v_cmp_lt_u32_e32 vcc, s20, v4
	v_mov_b32_e32 v1, 0x7c
	v_cndmask_b32_e32 v19, v3, v0, vcc
	v_cndmask_b32_e32 v14, v1, v0, vcc
	v_bfe_u32 v0, v4, 16, 1
	v_add_u32_e32 v0, v4, v0
	v_add_u32_e32 v0, 0x7fff, v0
	v_lshrrev_b32_e32 v11, 16, v0
	v_cvt_f64_u32_e32 v[0:1], s48
	s_cselect_b64 s[50:51], -1, 0
	s_cmp_lg_u32 s48, 0
	s_mov_b32 s0, 0x477fffff
	s_mov_b32 s2, 0x38800000
	s_cselect_b64 s[20:21], -1, 0
	s_mov_b32 s49, 0
	v_cmp_lt_u32_e64 s[0:1], s0, v4
	v_add_f32_e32 v16, 0x46800000, v4
	v_cmp_gt_u32_e64 s[2:3], s2, v4
	v_add_f32_e32 v13, 0x43000000, v4
	v_cndmask_b32_e64 v10, 0, 1, s[20:21]
	v_cmp_gt_i32_e32 vcc, s83, v8
	s_mov_b64 s[22:23], -1
	s_mov_b64 s[72:73], 0
	s_mov_b64 s[66:67], 0
	v_cvt_f16_u16_e32 v9, s48
	s_and_saveexec_b64 s[68:69], vcc
	s_cbranch_execz .LBB7_114
; %bb.2:
	s_andn2_b64 vcc, exec, s[44:45]
	s_cbranch_vccnz .LBB7_7
; %bb.3:
	s_andn2_b64 vcc, exec, s[64:65]
	s_cbranch_vccnz .LBB7_8
; %bb.4:
	s_add_i32 s75, s84, 1
	s_cmp_eq_u32 s80, 2
	s_cbranch_scc1 .LBB7_9
; %bb.5:
	s_and_b32 s74, s75, 28
	s_mov_b32 s76, 0
	v_mov_b32_e32 v2, 0
	s_mov_b64 s[66:67], s[34:35]
	s_mov_b64 s[70:71], s[62:63]
	v_mov_b32_e32 v3, v8
.LBB7_6:                                ; =>This Inner Loop Header: Depth=1
	s_load_dwordx8 s[20:27], s[66:67], 0x4
	s_load_dwordx4 s[36:39], s[66:67], 0x24
	s_load_dwordx4 s[40:43], s[70:71], 0x0
	s_add_u32 s66, s66, 48
	s_addc_u32 s67, s67, 0
	s_waitcnt lgkmcnt(0)
	v_mul_hi_u32 v5, s21, v3
	s_add_i32 s76, s76, 4
	s_add_u32 s70, s70, 16
	s_addc_u32 s71, s71, 0
	v_add_u32_e32 v5, v3, v5
	v_lshrrev_b32_e32 v5, s22, v5
	v_mul_lo_u32 v6, v5, s20
	v_mul_hi_u32 v7, s24, v5
	s_cmp_lg_u32 s74, s76
	v_sub_u32_e32 v3, v3, v6
	v_add_u32_e32 v6, v5, v7
	v_lshrrev_b32_e32 v6, s25, v6
	v_mul_lo_u32 v7, v3, s40
	v_mul_hi_u32 v3, s27, v6
	v_mul_lo_u32 v24, v6, s23
	v_add_u32_e32 v3, v6, v3
	v_lshrrev_b32_e32 v23, s36, v3
	v_mul_hi_u32 v3, s38, v23
	v_sub_u32_e32 v5, v5, v24
	v_mul_lo_u32 v24, v23, s26
	v_mul_lo_u32 v5, v5, s41
	v_add_u32_e32 v3, v23, v3
	v_lshrrev_b32_e32 v3, s39, v3
	v_mul_lo_u32 v25, v3, s37
	v_sub_u32_e32 v6, v6, v24
	v_mul_lo_u32 v6, v6, s42
	v_add3_u32 v2, v7, v2, v5
	v_sub_u32_e32 v23, v23, v25
	v_mul_lo_u32 v23, v23, s43
	v_add3_u32 v2, v6, v2, v23
	s_cbranch_scc1 .LBB7_6
	s_branch .LBB7_10
.LBB7_7:
                                        ; implicit-def: $vgpr2
	s_branch .LBB7_14
.LBB7_8:
	v_mov_b32_e32 v2, 0
	s_branch .LBB7_13
.LBB7_9:
	v_mov_b32_e32 v2, 0
	s_mov_b32 s74, 0
	v_mov_b32_e32 v3, v8
.LBB7_10:
	s_and_b32 s24, s75, 3
	s_cmp_eq_u32 s24, 0
	s_cbranch_scc1 .LBB7_13
; %bb.11:
	s_lshl_b32 s20, s74, 2
	s_add_u32 s20, s34, s20
	s_addc_u32 s21, s35, 0
	s_add_u32 s20, s20, 0xc4
	s_addc_u32 s21, s21, 0
	s_mul_i32 s22, s74, 12
	s_add_u32 s22, s34, s22
	s_addc_u32 s23, s35, 0
.LBB7_12:                               ; =>This Inner Loop Header: Depth=1
	s_load_dwordx2 s[26:27], s[22:23], 0x4
	s_load_dword s25, s[22:23], 0xc
	s_add_u32 s22, s22, 12
	s_addc_u32 s23, s23, 0
	s_waitcnt lgkmcnt(0)
	v_mul_hi_u32 v5, s27, v3
	s_load_dword s27, s[20:21], 0x0
	s_add_u32 s20, s20, 4
	s_addc_u32 s21, s21, 0
	v_add_u32_e32 v5, v3, v5
	v_lshrrev_b32_e32 v5, s25, v5
	v_mul_lo_u32 v6, v5, s26
	s_add_i32 s24, s24, -1
	s_cmp_lg_u32 s24, 0
	v_sub_u32_e32 v3, v3, v6
	s_waitcnt lgkmcnt(0)
	v_mad_u64_u32 v[2:3], s[26:27], v3, s27, v[2:3]
	v_mov_b32_e32 v3, v5
	s_cbranch_scc1 .LBB7_12
.LBB7_13:
	s_cbranch_execnz .LBB7_16
.LBB7_14:
	v_mul_hi_u32 v2, s29, v8
	s_andn2_b64 vcc, exec, s[60:61]
	v_add_u32_e32 v2, v8, v2
	v_lshrrev_b32_e32 v3, s30, v2
	v_mul_lo_u32 v2, v3, s28
	v_sub_u32_e32 v2, v8, v2
	v_mul_lo_u32 v2, v2, s56
	s_cbranch_vccnz .LBB7_16
; %bb.15:
	v_mul_hi_u32 v5, s58, v3
	v_add_u32_e32 v5, v3, v5
	v_lshrrev_b32_e32 v5, s59, v5
	v_mul_lo_u32 v5, v5, s31
	v_sub_u32_e32 v3, v3, v5
	v_mad_u64_u32 v[2:3], s[20:21], v3, s57, v[2:3]
.LBB7_16:
	v_mov_b32_e32 v3, s55
	s_and_b32 s26, 0xffff, s82
	v_add_co_u32_e32 v6, vcc, s54, v2
	s_cmp_lt_i32 s26, 11
	v_addc_co_u32_e32 v7, vcc, 0, v3, vcc
	s_cbranch_scc1 .LBB7_23
; %bb.17:
	s_cmp_gt_i32 s26, 25
	s_cbranch_scc0 .LBB7_26
; %bb.18:
	s_cmp_gt_i32 s26, 28
	s_cbranch_scc0 .LBB7_27
	;; [unrolled: 3-line block ×4, first 2 shown]
; %bb.21:
	s_mov_b64 s[24:25], 0
	s_mov_b64 s[20:21], -1
	s_cmp_eq_u32 s26, 46
	s_mov_b64 s[22:23], 0
	s_cbranch_scc0 .LBB7_30
; %bb.22:
	global_store_dword v[6:7], v11, off
	s_mov_b64 s[22:23], -1
	s_mov_b64 s[20:21], 0
	s_branch .LBB7_30
.LBB7_23:
	s_mov_b64 s[20:21], 0
	s_mov_b64 s[22:23], 0
	s_cbranch_execnz .LBB7_74
.LBB7_24:
	s_andn2_b64 vcc, exec, s[22:23]
	s_cbranch_vccnz .LBB7_112
.LBB7_25:
	v_add_u32_e32 v8, 0x80, v8
	s_mov_b64 s[22:23], -1
	s_branch .LBB7_113
.LBB7_26:
	s_mov_b64 s[20:21], 0
	s_mov_b64 s[22:23], 0
	s_cbranch_execnz .LBB7_52
	s_branch .LBB7_73
.LBB7_27:
	s_mov_b64 s[24:25], -1
	s_mov_b64 s[20:21], 0
	s_mov_b64 s[22:23], 0
	s_branch .LBB7_38
.LBB7_28:
	s_mov_b64 s[24:25], -1
	s_mov_b64 s[20:21], 0
	s_mov_b64 s[22:23], 0
	s_branch .LBB7_34
.LBB7_29:
	s_mov_b64 s[24:25], -1
	s_mov_b64 s[20:21], 0
	s_mov_b64 s[22:23], 0
.LBB7_30:
	s_and_b64 vcc, exec, s[24:25]
	s_cbranch_vccz .LBB7_33
; %bb.31:
	s_cmp_eq_u32 s26, 44
	s_mov_b64 s[20:21], -1
	s_cbranch_scc0 .LBB7_33
; %bb.32:
	v_mov_b32_e32 v2, 0xffff
	v_cndmask_b32_e64 v2, v22, v2, s[16:17]
	global_store_byte v[6:7], v2, off
	s_mov_b64 s[22:23], -1
	s_mov_b64 s[20:21], 0
.LBB7_33:
	s_mov_b64 s[24:25], 0
.LBB7_34:
	s_and_b64 vcc, exec, s[24:25]
	s_cbranch_vccz .LBB7_37
; %bb.35:
	s_cmp_eq_u32 s26, 29
	s_mov_b64 s[20:21], -1
	s_cbranch_scc0 .LBB7_37
; %bb.36:
	v_mov_b32_e32 v2, s48
	v_mov_b32_e32 v3, s49
	global_store_dwordx2 v[6:7], v[2:3], off
	s_mov_b64 s[22:23], -1
	s_mov_b64 s[20:21], 0
.LBB7_37:
	s_mov_b64 s[24:25], 0
.LBB7_38:
	s_and_b64 vcc, exec, s[24:25]
	s_cbranch_vccz .LBB7_51
; %bb.39:
	s_cmp_lt_i32 s26, 27
	s_mov_b64 s[22:23], -1
	s_cbranch_scc1 .LBB7_45
; %bb.40:
	s_cmp_gt_i32 s26, 27
	s_cbranch_scc0 .LBB7_42
; %bb.41:
	v_mov_b32_e32 v2, s48
	s_mov_b64 s[22:23], 0
	global_store_dword v[6:7], v2, off
.LBB7_42:
	s_andn2_b64 vcc, exec, s[22:23]
	s_cbranch_vccnz .LBB7_44
; %bb.43:
	v_mov_b32_e32 v2, s48
	global_store_short v[6:7], v2, off
.LBB7_44:
	s_mov_b64 s[22:23], 0
.LBB7_45:
	s_andn2_b64 vcc, exec, s[22:23]
	s_cbranch_vccnz .LBB7_50
; %bb.46:
	s_andn2_b64 vcc, exec, s[14:15]
	v_mov_b32_e32 v2, 0x80
	s_cbranch_vccnz .LBB7_49
; %bb.47:
	s_or_b64 s[22:23], s[12:13], s[52:53]
	s_andn2_b64 vcc, exec, s[22:23]
	v_mov_b32_e32 v2, 0
	s_cbranch_vccnz .LBB7_49
; %bb.48:
	v_cndmask_b32_e64 v2, v21, v20, s[12:13]
.LBB7_49:
	global_store_byte v[6:7], v2, off
.LBB7_50:
	s_mov_b64 s[22:23], -1
.LBB7_51:
	s_branch .LBB7_73
.LBB7_52:
	s_cmp_gt_i32 s26, 22
	s_mov_b64 s[24:25], -1
	s_cbranch_scc0 .LBB7_65
; %bb.53:
	s_cmp_lt_i32 s26, 24
	s_mov_b64 s[22:23], -1
	s_cbranch_scc1 .LBB7_62
; %bb.54:
	s_cmp_gt_i32 s26, 24
	s_cbranch_scc0 .LBB7_59
; %bb.55:
	s_andn2_b64 vcc, exec, s[10:11]
	v_mov_b32_e32 v2, 0x80
	s_cbranch_vccnz .LBB7_58
; %bb.56:
	s_or_b64 s[22:23], s[8:9], s[50:51]
	s_andn2_b64 vcc, exec, s[22:23]
	v_mov_b32_e32 v2, 0
	s_cbranch_vccnz .LBB7_58
; %bb.57:
	v_cndmask_b32_e64 v2, v18, v17, s[8:9]
.LBB7_58:
	s_mov_b64 s[22:23], 0
	global_store_byte v[6:7], v2, off
.LBB7_59:
	s_and_b64 vcc, exec, s[22:23]
	s_cbranch_vccz .LBB7_61
; %bb.60:
	v_cndmask_b32_e64 v2, v15, v16, s[6:7]
	v_cndmask_b32_e64 v2, v2, v19, s[4:5]
	global_store_byte v[6:7], v2, off
.LBB7_61:
	s_mov_b64 s[22:23], 0
.LBB7_62:
	s_andn2_b64 vcc, exec, s[22:23]
	s_cbranch_vccnz .LBB7_64
; %bb.63:
	v_cndmask_b32_e64 v2, v12, v13, s[2:3]
	v_cndmask_b32_e64 v2, v2, v14, s[0:1]
	global_store_byte v[6:7], v2, off
.LBB7_64:
	s_mov_b64 s[24:25], 0
	s_mov_b64 s[22:23], -1
.LBB7_65:
	s_andn2_b64 vcc, exec, s[24:25]
	s_cbranch_vccnz .LBB7_73
; %bb.66:
	s_cmp_gt_i32 s26, 14
	s_mov_b64 s[24:25], -1
	s_cbranch_scc0 .LBB7_70
; %bb.67:
	s_cmp_eq_u32 s26, 15
	s_mov_b64 s[20:21], -1
	s_cbranch_scc0 .LBB7_69
; %bb.68:
	global_store_short v[6:7], v11, off
	s_mov_b64 s[22:23], -1
	s_mov_b64 s[20:21], 0
.LBB7_69:
	s_mov_b64 s[24:25], 0
.LBB7_70:
	s_and_b64 vcc, exec, s[24:25]
	s_cbranch_vccz .LBB7_73
; %bb.71:
	s_cmp_eq_u32 s26, 11
	s_mov_b64 s[20:21], -1
	s_cbranch_scc0 .LBB7_73
; %bb.72:
	s_mov_b64 s[22:23], -1
	s_mov_b64 s[20:21], 0
	global_store_byte v[6:7], v10, off
.LBB7_73:
	s_branch .LBB7_24
.LBB7_74:
	s_cmp_lt_i32 s26, 5
	s_mov_b64 s[22:23], -1
	s_cbranch_scc1 .LBB7_95
; %bb.75:
	s_cmp_lt_i32 s26, 8
	s_cbranch_scc1 .LBB7_85
; %bb.76:
	s_cmp_lt_i32 s26, 9
	s_cbranch_scc1 .LBB7_82
; %bb.77:
	s_cmp_gt_i32 s26, 9
	s_cbranch_scc0 .LBB7_79
; %bb.78:
	v_mov_b32_e32 v2, 0
	v_mov_b32_e32 v3, v2
	global_store_dwordx4 v[6:7], v[0:3], off
	s_mov_b64 s[22:23], 0
.LBB7_79:
	s_andn2_b64 vcc, exec, s[22:23]
	s_cbranch_vccnz .LBB7_81
; %bb.80:
	v_mov_b32_e32 v5, 0
	global_store_dwordx2 v[6:7], v[4:5], off
.LBB7_81:
	s_mov_b64 s[22:23], 0
.LBB7_82:
	s_andn2_b64 vcc, exec, s[22:23]
	s_cbranch_vccnz .LBB7_84
; %bb.83:
	global_store_dword v[6:7], v9, off
.LBB7_84:
	s_mov_b64 s[22:23], 0
.LBB7_85:
	s_andn2_b64 vcc, exec, s[22:23]
	s_cbranch_vccnz .LBB7_94
; %bb.86:
	s_cmp_lt_i32 s26, 6
	s_mov_b64 s[22:23], -1
	s_cbranch_scc1 .LBB7_92
; %bb.87:
	s_cmp_gt_i32 s26, 6
	s_cbranch_scc0 .LBB7_89
; %bb.88:
	global_store_dwordx2 v[6:7], v[0:1], off
	s_mov_b64 s[22:23], 0
.LBB7_89:
	s_andn2_b64 vcc, exec, s[22:23]
	s_cbranch_vccnz .LBB7_91
; %bb.90:
	global_store_dword v[6:7], v4, off
.LBB7_91:
	s_mov_b64 s[22:23], 0
.LBB7_92:
	s_andn2_b64 vcc, exec, s[22:23]
	s_cbranch_vccnz .LBB7_94
; %bb.93:
	global_store_short v[6:7], v9, off
.LBB7_94:
	s_mov_b64 s[22:23], 0
.LBB7_95:
	s_andn2_b64 vcc, exec, s[22:23]
	s_cbranch_vccnz .LBB7_111
; %bb.96:
	s_cmp_lt_i32 s26, 2
	s_mov_b64 s[22:23], -1
	s_cbranch_scc1 .LBB7_106
; %bb.97:
	s_cmp_lt_i32 s26, 3
	s_cbranch_scc1 .LBB7_103
; %bb.98:
	s_cmp_gt_i32 s26, 3
	s_cbranch_scc0 .LBB7_100
; %bb.99:
	v_mov_b32_e32 v2, s48
	v_mov_b32_e32 v3, s49
	global_store_dwordx2 v[6:7], v[2:3], off
	s_mov_b64 s[22:23], 0
.LBB7_100:
	s_andn2_b64 vcc, exec, s[22:23]
	s_cbranch_vccnz .LBB7_102
; %bb.101:
	v_mov_b32_e32 v2, s48
	global_store_dword v[6:7], v2, off
.LBB7_102:
	s_mov_b64 s[22:23], 0
.LBB7_103:
	s_andn2_b64 vcc, exec, s[22:23]
	s_cbranch_vccnz .LBB7_105
; %bb.104:
	v_mov_b32_e32 v2, s48
	global_store_short v[6:7], v2, off
.LBB7_105:
	s_mov_b64 s[22:23], 0
.LBB7_106:
	s_andn2_b64 vcc, exec, s[22:23]
	s_cbranch_vccnz .LBB7_111
; %bb.107:
	s_cmp_gt_i32 s26, 0
	s_mov_b64 s[22:23], -1
	s_cbranch_scc0 .LBB7_109
; %bb.108:
	v_mov_b32_e32 v2, s81
	global_store_byte v[6:7], v2, off
	s_mov_b64 s[22:23], 0
.LBB7_109:
	s_andn2_b64 vcc, exec, s[22:23]
	s_cbranch_vccnz .LBB7_111
; %bb.110:
	v_mov_b32_e32 v2, s81
	global_store_byte v[6:7], v2, off
.LBB7_111:
	s_branch .LBB7_25
.LBB7_112:
	s_mov_b64 s[22:23], 0
                                        ; implicit-def: $vgpr8
.LBB7_113:
	s_and_b64 s[66:67], s[20:21], exec
	s_orn2_b64 s[22:23], s[22:23], exec
.LBB7_114:
	s_or_b64 exec, exec, s[68:69]
	s_mov_b64 s[20:21], 0
                                        ; implicit-def: $vgpr6_vgpr7
	s_and_saveexec_b64 s[68:69], s[22:23]
	s_cbranch_execz .LBB7_121
; %bb.115:
	v_cmp_gt_i32_e32 vcc, s83, v8
	s_mov_b64 s[20:21], -1
	s_mov_b64 s[70:71], s[66:67]
	s_and_saveexec_b64 s[72:73], vcc
	s_cbranch_execz .LBB7_232
; %bb.116:
	s_andn2_b64 vcc, exec, s[44:45]
	s_cbranch_vccnz .LBB7_124
; %bb.117:
	s_andn2_b64 vcc, exec, s[64:65]
	s_cbranch_vccnz .LBB7_125
; %bb.118:
	s_add_i32 s77, s84, 1
	s_cmp_eq_u32 s80, 2
	s_cbranch_scc1 .LBB7_126
; %bb.119:
	s_and_b32 s76, s77, 28
	s_mov_b32 s78, 0
	v_mov_b32_e32 v2, 0
	s_mov_b64 s[70:71], s[34:35]
	s_mov_b64 s[74:75], s[62:63]
	v_mov_b32_e32 v3, v8
.LBB7_120:                              ; =>This Inner Loop Header: Depth=1
	s_load_dwordx8 s[20:27], s[70:71], 0x4
	s_load_dwordx4 s[36:39], s[70:71], 0x24
	s_load_dwordx4 s[40:43], s[74:75], 0x0
	s_add_u32 s70, s70, 48
	s_addc_u32 s71, s71, 0
	s_waitcnt lgkmcnt(0)
	v_mul_hi_u32 v5, s21, v3
	s_add_i32 s78, s78, 4
	s_add_u32 s74, s74, 16
	s_addc_u32 s75, s75, 0
	v_add_u32_e32 v5, v3, v5
	v_lshrrev_b32_e32 v5, s22, v5
	v_mul_lo_u32 v6, v5, s20
	v_mul_hi_u32 v7, s24, v5
	s_cmp_eq_u32 s76, s78
	v_sub_u32_e32 v3, v3, v6
	v_add_u32_e32 v6, v5, v7
	v_lshrrev_b32_e32 v6, s25, v6
	v_mul_lo_u32 v7, v3, s40
	v_mul_hi_u32 v3, s27, v6
	v_mul_lo_u32 v24, v6, s23
	v_add_u32_e32 v3, v6, v3
	v_lshrrev_b32_e32 v23, s36, v3
	v_mul_hi_u32 v3, s38, v23
	v_sub_u32_e32 v5, v5, v24
	v_mul_lo_u32 v24, v23, s26
	v_mul_lo_u32 v5, v5, s41
	v_add_u32_e32 v3, v23, v3
	v_lshrrev_b32_e32 v3, s39, v3
	v_mul_lo_u32 v25, v3, s37
	v_sub_u32_e32 v6, v6, v24
	v_mul_lo_u32 v6, v6, s42
	v_add3_u32 v2, v7, v2, v5
	v_sub_u32_e32 v23, v23, v25
	v_mul_lo_u32 v23, v23, s43
	v_add3_u32 v2, v6, v2, v23
	s_cbranch_scc0 .LBB7_120
	s_branch .LBB7_127
.LBB7_121:
	s_or_b64 exec, exec, s[68:69]
	s_mov_b64 s[0:1], 0
	s_and_saveexec_b64 s[2:3], s[66:67]
	s_cbranch_execnz .LBB7_422
.LBB7_122:
	s_or_b64 exec, exec, s[2:3]
	s_and_saveexec_b64 s[2:3], s[72:73]
	s_xor_b64 s[2:3], exec, s[2:3]
	s_cbranch_execz .LBB7_423
.LBB7_123:
	global_store_byte v[6:7], v10, off
	s_or_b64 exec, exec, s[2:3]
	s_and_saveexec_b64 s[2:3], s[20:21]
	s_xor_b64 s[2:3], exec, s[2:3]
	s_cbranch_execz .LBB7_461
	s_branch .LBB7_424
.LBB7_124:
                                        ; implicit-def: $vgpr2
	s_andn2_b64 vcc, exec, s[20:21]
	s_cbranch_vccz .LBB7_131
	s_branch .LBB7_133
.LBB7_125:
	v_mov_b32_e32 v2, 0
	s_branch .LBB7_130
.LBB7_126:
	v_mov_b32_e32 v2, 0
	s_mov_b32 s76, 0
	v_mov_b32_e32 v3, v8
.LBB7_127:
	s_and_b32 s24, s77, 3
	s_cmp_eq_u32 s24, 0
	s_cbranch_scc1 .LBB7_130
; %bb.128:
	s_lshl_b32 s20, s76, 2
	s_add_u32 s20, s34, s20
	s_addc_u32 s21, s35, 0
	s_add_u32 s20, s20, 0xc4
	s_addc_u32 s21, s21, 0
	s_mul_i32 s22, s76, 12
	s_add_u32 s22, s34, s22
	s_addc_u32 s23, s35, 0
.LBB7_129:                              ; =>This Inner Loop Header: Depth=1
	s_load_dwordx2 s[26:27], s[22:23], 0x4
	s_load_dword s25, s[22:23], 0xc
	s_add_u32 s22, s22, 12
	s_addc_u32 s23, s23, 0
	s_waitcnt lgkmcnt(0)
	v_mul_hi_u32 v5, s27, v3
	s_load_dword s27, s[20:21], 0x0
	s_add_u32 s20, s20, 4
	s_addc_u32 s21, s21, 0
	v_add_u32_e32 v5, v3, v5
	v_lshrrev_b32_e32 v5, s25, v5
	v_mul_lo_u32 v6, v5, s26
	s_add_i32 s24, s24, -1
	s_cmp_lg_u32 s24, 0
	v_sub_u32_e32 v3, v3, v6
	s_waitcnt lgkmcnt(0)
	v_mad_u64_u32 v[2:3], s[26:27], v3, s27, v[2:3]
	v_mov_b32_e32 v3, v5
	s_cbranch_scc1 .LBB7_129
.LBB7_130:
	s_cbranch_execnz .LBB7_133
.LBB7_131:
	v_mul_hi_u32 v2, s29, v8
	s_andn2_b64 vcc, exec, s[60:61]
	v_add_u32_e32 v2, v8, v2
	v_lshrrev_b32_e32 v3, s30, v2
	v_mul_lo_u32 v2, v3, s28
	v_sub_u32_e32 v2, v8, v2
	v_mul_lo_u32 v2, v2, s56
	s_cbranch_vccnz .LBB7_133
; %bb.132:
	v_mul_hi_u32 v5, s58, v3
	v_add_u32_e32 v5, v3, v5
	v_lshrrev_b32_e32 v5, s59, v5
	v_mul_lo_u32 v5, v5, s31
	v_sub_u32_e32 v3, v3, v5
	v_mad_u64_u32 v[2:3], s[20:21], v3, s57, v[2:3]
.LBB7_133:
	v_mov_b32_e32 v3, s55
	s_and_b32 s26, 0xffff, s82
	v_add_co_u32_e32 v6, vcc, s54, v2
	s_cmp_lt_i32 s26, 11
	v_addc_co_u32_e32 v7, vcc, 0, v3, vcc
	s_cbranch_scc1 .LBB7_140
; %bb.134:
	s_cmp_gt_i32 s26, 25
	s_cbranch_scc0 .LBB7_143
; %bb.135:
	s_cmp_gt_i32 s26, 28
	s_cbranch_scc0 .LBB7_144
	;; [unrolled: 3-line block ×4, first 2 shown]
; %bb.138:
	s_mov_b64 s[24:25], 0
	s_mov_b64 s[20:21], -1
	s_cmp_eq_u32 s26, 46
	s_mov_b64 s[22:23], 0
	s_cbranch_scc0 .LBB7_147
; %bb.139:
	global_store_dword v[6:7], v11, off
	s_mov_b64 s[22:23], -1
	s_mov_b64 s[20:21], 0
	s_branch .LBB7_147
.LBB7_140:
	s_mov_b64 s[22:23], 0
	s_mov_b64 s[20:21], s[66:67]
	s_cbranch_execnz .LBB7_192
.LBB7_141:
	s_andn2_b64 vcc, exec, s[22:23]
	s_cbranch_vccnz .LBB7_230
.LBB7_142:
	v_add_u32_e32 v8, 0x80, v8
	s_mov_b64 s[22:23], -1
	s_branch .LBB7_231
.LBB7_143:
	s_mov_b64 s[24:25], -1
	s_mov_b64 s[22:23], 0
	s_mov_b64 s[20:21], s[66:67]
	s_branch .LBB7_169
.LBB7_144:
	s_mov_b64 s[24:25], -1
	s_mov_b64 s[22:23], 0
	s_mov_b64 s[20:21], s[66:67]
	s_branch .LBB7_155
.LBB7_145:
	s_mov_b64 s[24:25], -1
	s_mov_b64 s[22:23], 0
	s_mov_b64 s[20:21], s[66:67]
	s_branch .LBB7_151
.LBB7_146:
	s_mov_b64 s[24:25], -1
	s_mov_b64 s[22:23], 0
	s_mov_b64 s[20:21], s[66:67]
.LBB7_147:
	s_and_b64 vcc, exec, s[24:25]
	s_cbranch_vccz .LBB7_150
; %bb.148:
	s_cmp_eq_u32 s26, 44
	s_mov_b64 s[20:21], -1
	s_cbranch_scc0 .LBB7_150
; %bb.149:
	v_mov_b32_e32 v2, 0xffff
	v_cndmask_b32_e64 v2, v22, v2, s[16:17]
	s_mov_b64 s[22:23], -1
	s_mov_b64 s[20:21], 0
	global_store_byte v[6:7], v2, off
.LBB7_150:
	s_mov_b64 s[24:25], 0
.LBB7_151:
	s_and_b64 vcc, exec, s[24:25]
	s_cbranch_vccz .LBB7_154
; %bb.152:
	s_cmp_eq_u32 s26, 29
	s_mov_b64 s[20:21], -1
	s_cbranch_scc0 .LBB7_154
; %bb.153:
	v_mov_b32_e32 v2, s48
	v_mov_b32_e32 v3, s49
	global_store_dwordx2 v[6:7], v[2:3], off
	s_mov_b64 s[22:23], -1
	s_mov_b64 s[20:21], 0
.LBB7_154:
	s_mov_b64 s[24:25], 0
.LBB7_155:
	s_and_b64 vcc, exec, s[24:25]
	s_cbranch_vccz .LBB7_168
; %bb.156:
	s_cmp_lt_i32 s26, 27
	s_mov_b64 s[22:23], -1
	s_cbranch_scc1 .LBB7_162
; %bb.157:
	s_cmp_gt_i32 s26, 27
	s_cbranch_scc0 .LBB7_159
; %bb.158:
	v_mov_b32_e32 v2, s48
	s_mov_b64 s[22:23], 0
	global_store_dword v[6:7], v2, off
.LBB7_159:
	s_andn2_b64 vcc, exec, s[22:23]
	s_cbranch_vccnz .LBB7_161
; %bb.160:
	v_mov_b32_e32 v2, s48
	global_store_short v[6:7], v2, off
.LBB7_161:
	s_mov_b64 s[22:23], 0
.LBB7_162:
	s_andn2_b64 vcc, exec, s[22:23]
	s_cbranch_vccnz .LBB7_167
; %bb.163:
	s_andn2_b64 vcc, exec, s[14:15]
	v_mov_b32_e32 v2, 0x80
	s_cbranch_vccnz .LBB7_166
; %bb.164:
	s_or_b64 s[22:23], s[12:13], s[52:53]
	s_andn2_b64 vcc, exec, s[22:23]
	v_mov_b32_e32 v2, 0
	s_cbranch_vccnz .LBB7_166
; %bb.165:
	v_cndmask_b32_e64 v2, v21, v20, s[12:13]
.LBB7_166:
	global_store_byte v[6:7], v2, off
.LBB7_167:
	s_mov_b64 s[22:23], -1
.LBB7_168:
	s_mov_b64 s[24:25], 0
.LBB7_169:
	s_and_b64 vcc, exec, s[24:25]
	s_cbranch_vccz .LBB7_191
; %bb.170:
	s_cmp_gt_i32 s26, 22
	s_mov_b64 s[24:25], -1
	s_cbranch_scc0 .LBB7_183
; %bb.171:
	s_cmp_lt_i32 s26, 24
	s_mov_b64 s[22:23], -1
	s_cbranch_scc1 .LBB7_180
; %bb.172:
	s_cmp_gt_i32 s26, 24
	s_cbranch_scc0 .LBB7_177
; %bb.173:
	s_andn2_b64 vcc, exec, s[10:11]
	v_mov_b32_e32 v2, 0x80
	s_cbranch_vccnz .LBB7_176
; %bb.174:
	s_or_b64 s[22:23], s[8:9], s[50:51]
	s_andn2_b64 vcc, exec, s[22:23]
	v_mov_b32_e32 v2, 0
	s_cbranch_vccnz .LBB7_176
; %bb.175:
	v_cndmask_b32_e64 v2, v18, v17, s[8:9]
.LBB7_176:
	s_mov_b64 s[22:23], 0
	global_store_byte v[6:7], v2, off
.LBB7_177:
	s_and_b64 vcc, exec, s[22:23]
	s_cbranch_vccz .LBB7_179
; %bb.178:
	v_cndmask_b32_e64 v2, v15, v16, s[6:7]
	v_cndmask_b32_e64 v2, v2, v19, s[4:5]
	global_store_byte v[6:7], v2, off
.LBB7_179:
	s_mov_b64 s[22:23], 0
.LBB7_180:
	s_andn2_b64 vcc, exec, s[22:23]
	s_cbranch_vccnz .LBB7_182
; %bb.181:
	v_cndmask_b32_e64 v2, v12, v13, s[2:3]
	v_cndmask_b32_e64 v2, v2, v14, s[0:1]
	global_store_byte v[6:7], v2, off
.LBB7_182:
	s_mov_b64 s[24:25], 0
	s_mov_b64 s[22:23], -1
.LBB7_183:
	s_andn2_b64 vcc, exec, s[24:25]
	s_cbranch_vccnz .LBB7_191
; %bb.184:
	s_cmp_gt_i32 s26, 14
	s_mov_b64 s[24:25], -1
	s_cbranch_scc0 .LBB7_188
; %bb.185:
	s_cmp_eq_u32 s26, 15
	s_mov_b64 s[20:21], -1
	s_cbranch_scc0 .LBB7_187
; %bb.186:
	global_store_short v[6:7], v11, off
	s_mov_b64 s[22:23], -1
	s_mov_b64 s[20:21], 0
.LBB7_187:
	s_mov_b64 s[24:25], 0
.LBB7_188:
	s_and_b64 vcc, exec, s[24:25]
	s_cbranch_vccz .LBB7_191
; %bb.189:
	s_cmp_eq_u32 s26, 11
	s_mov_b64 s[20:21], -1
	s_cbranch_scc0 .LBB7_191
; %bb.190:
	s_mov_b64 s[22:23], -1
	s_mov_b64 s[20:21], 0
	global_store_byte v[6:7], v10, off
.LBB7_191:
	s_branch .LBB7_141
.LBB7_192:
	s_cmp_lt_i32 s26, 5
	s_mov_b64 s[22:23], -1
	s_cbranch_scc1 .LBB7_213
; %bb.193:
	s_cmp_lt_i32 s26, 8
	s_cbranch_scc1 .LBB7_203
; %bb.194:
	s_cmp_lt_i32 s26, 9
	s_cbranch_scc1 .LBB7_200
; %bb.195:
	s_cmp_gt_i32 s26, 9
	s_cbranch_scc0 .LBB7_197
; %bb.196:
	v_mov_b32_e32 v2, 0
	v_mov_b32_e32 v3, v2
	s_mov_b64 s[22:23], 0
	global_store_dwordx4 v[6:7], v[0:3], off
.LBB7_197:
	s_andn2_b64 vcc, exec, s[22:23]
	s_cbranch_vccnz .LBB7_199
; %bb.198:
	v_mov_b32_e32 v5, 0
	global_store_dwordx2 v[6:7], v[4:5], off
.LBB7_199:
	s_mov_b64 s[22:23], 0
.LBB7_200:
	s_andn2_b64 vcc, exec, s[22:23]
	s_cbranch_vccnz .LBB7_202
; %bb.201:
	global_store_dword v[6:7], v9, off
.LBB7_202:
	s_mov_b64 s[22:23], 0
.LBB7_203:
	s_andn2_b64 vcc, exec, s[22:23]
	s_cbranch_vccnz .LBB7_212
; %bb.204:
	s_cmp_lt_i32 s26, 6
	s_mov_b64 s[22:23], -1
	s_cbranch_scc1 .LBB7_210
; %bb.205:
	s_cmp_gt_i32 s26, 6
	s_cbranch_scc0 .LBB7_207
; %bb.206:
	s_mov_b64 s[22:23], 0
	global_store_dwordx2 v[6:7], v[0:1], off
.LBB7_207:
	s_andn2_b64 vcc, exec, s[22:23]
	s_cbranch_vccnz .LBB7_209
; %bb.208:
	global_store_dword v[6:7], v4, off
.LBB7_209:
	s_mov_b64 s[22:23], 0
.LBB7_210:
	s_andn2_b64 vcc, exec, s[22:23]
	s_cbranch_vccnz .LBB7_212
; %bb.211:
	global_store_short v[6:7], v9, off
.LBB7_212:
	s_mov_b64 s[22:23], 0
.LBB7_213:
	s_andn2_b64 vcc, exec, s[22:23]
	s_cbranch_vccnz .LBB7_229
; %bb.214:
	s_cmp_lt_i32 s26, 2
	s_mov_b64 s[22:23], -1
	s_cbranch_scc1 .LBB7_224
; %bb.215:
	s_cmp_lt_i32 s26, 3
	s_cbranch_scc1 .LBB7_221
; %bb.216:
	s_cmp_gt_i32 s26, 3
	s_cbranch_scc0 .LBB7_218
; %bb.217:
	v_mov_b32_e32 v2, s48
	v_mov_b32_e32 v3, s49
	s_mov_b64 s[22:23], 0
	global_store_dwordx2 v[6:7], v[2:3], off
.LBB7_218:
	s_andn2_b64 vcc, exec, s[22:23]
	s_cbranch_vccnz .LBB7_220
; %bb.219:
	v_mov_b32_e32 v2, s48
	global_store_dword v[6:7], v2, off
.LBB7_220:
	s_mov_b64 s[22:23], 0
.LBB7_221:
	s_andn2_b64 vcc, exec, s[22:23]
	s_cbranch_vccnz .LBB7_223
; %bb.222:
	v_mov_b32_e32 v2, s48
	global_store_short v[6:7], v2, off
.LBB7_223:
	s_mov_b64 s[22:23], 0
.LBB7_224:
	s_andn2_b64 vcc, exec, s[22:23]
	s_cbranch_vccnz .LBB7_229
; %bb.225:
	s_cmp_gt_i32 s26, 0
	s_mov_b64 s[22:23], -1
	s_cbranch_scc0 .LBB7_227
; %bb.226:
	v_mov_b32_e32 v2, s81
	s_mov_b64 s[22:23], 0
	global_store_byte v[6:7], v2, off
.LBB7_227:
	s_andn2_b64 vcc, exec, s[22:23]
	s_cbranch_vccnz .LBB7_229
; %bb.228:
	v_mov_b32_e32 v2, s81
	global_store_byte v[6:7], v2, off
.LBB7_229:
	s_branch .LBB7_142
.LBB7_230:
	s_mov_b64 s[22:23], 0
                                        ; implicit-def: $vgpr8
.LBB7_231:
	s_andn2_b64 s[24:25], s[66:67], exec
	s_and_b64 s[20:21], s[20:21], exec
	s_or_b64 s[70:71], s[24:25], s[20:21]
	s_orn2_b64 s[20:21], s[22:23], exec
.LBB7_232:
	s_or_b64 exec, exec, s[72:73]
	s_mov_b64 s[22:23], 0
	s_mov_b64 s[24:25], 0
                                        ; implicit-def: $vgpr6_vgpr7
	s_and_saveexec_b64 s[72:73], s[20:21]
	s_cbranch_execz .LBB7_421
; %bb.233:
	v_cmp_gt_i32_e32 vcc, s83, v8
	s_mov_b64 s[22:23], -1
	s_mov_b64 s[76:77], s[70:71]
	s_and_saveexec_b64 s[74:75], vcc
	s_cbranch_execz .LBB7_349
; %bb.234:
	s_andn2_b64 vcc, exec, s[44:45]
	s_cbranch_vccnz .LBB7_239
; %bb.235:
	s_andn2_b64 vcc, exec, s[64:65]
	s_cbranch_vccnz .LBB7_240
; %bb.236:
	s_add_i32 s86, s84, 1
	s_cmp_eq_u32 s80, 2
	s_cbranch_scc1 .LBB7_241
; %bb.237:
	s_and_b32 s85, s86, 28
	s_mov_b32 s87, 0
	v_mov_b32_e32 v2, 0
	s_mov_b64 s[76:77], s[34:35]
	s_mov_b64 s[78:79], s[62:63]
	v_mov_b32_e32 v3, v8
.LBB7_238:                              ; =>This Inner Loop Header: Depth=1
	s_load_dwordx8 s[20:27], s[76:77], 0x4
	s_load_dwordx4 s[36:39], s[76:77], 0x24
	s_load_dwordx4 s[40:43], s[78:79], 0x0
	s_add_u32 s76, s76, 48
	s_addc_u32 s77, s77, 0
	s_waitcnt lgkmcnt(0)
	v_mul_hi_u32 v5, s21, v3
	s_add_i32 s87, s87, 4
	s_add_u32 s78, s78, 16
	s_addc_u32 s79, s79, 0
	v_add_u32_e32 v5, v3, v5
	v_lshrrev_b32_e32 v5, s22, v5
	v_mul_lo_u32 v6, v5, s20
	v_mul_hi_u32 v7, s24, v5
	s_cmp_eq_u32 s85, s87
	v_sub_u32_e32 v3, v3, v6
	v_add_u32_e32 v6, v5, v7
	v_lshrrev_b32_e32 v6, s25, v6
	v_mul_lo_u32 v7, v3, s40
	v_mul_hi_u32 v3, s27, v6
	v_mul_lo_u32 v24, v6, s23
	v_add_u32_e32 v3, v6, v3
	v_lshrrev_b32_e32 v23, s36, v3
	v_mul_hi_u32 v3, s38, v23
	v_sub_u32_e32 v5, v5, v24
	v_mul_lo_u32 v24, v23, s26
	v_mul_lo_u32 v5, v5, s41
	v_add_u32_e32 v3, v23, v3
	v_lshrrev_b32_e32 v3, s39, v3
	v_mul_lo_u32 v25, v3, s37
	v_sub_u32_e32 v6, v6, v24
	v_mul_lo_u32 v6, v6, s42
	v_add3_u32 v2, v7, v2, v5
	v_sub_u32_e32 v23, v23, v25
	v_mul_lo_u32 v23, v23, s43
	v_add3_u32 v2, v6, v2, v23
	s_cbranch_scc0 .LBB7_238
	s_branch .LBB7_242
.LBB7_239:
	s_mov_b64 s[20:21], -1
                                        ; implicit-def: $vgpr2
	s_branch .LBB7_246
.LBB7_240:
	v_mov_b32_e32 v2, 0
	s_branch .LBB7_245
.LBB7_241:
	v_mov_b32_e32 v2, 0
	s_mov_b32 s85, 0
	v_mov_b32_e32 v3, v8
.LBB7_242:
	s_and_b32 s24, s86, 3
	s_cmp_eq_u32 s24, 0
	s_cbranch_scc1 .LBB7_245
; %bb.243:
	s_lshl_b32 s20, s85, 2
	s_add_u32 s20, s34, s20
	s_addc_u32 s21, s35, 0
	s_add_u32 s20, s20, 0xc4
	s_addc_u32 s21, s21, 0
	s_mul_i32 s22, s85, 12
	s_add_u32 s22, s34, s22
	s_addc_u32 s23, s35, 0
.LBB7_244:                              ; =>This Inner Loop Header: Depth=1
	s_load_dwordx2 s[26:27], s[22:23], 0x4
	s_load_dword s25, s[22:23], 0xc
	s_add_u32 s22, s22, 12
	s_addc_u32 s23, s23, 0
	s_waitcnt lgkmcnt(0)
	v_mul_hi_u32 v5, s27, v3
	s_load_dword s27, s[20:21], 0x0
	s_add_u32 s20, s20, 4
	s_addc_u32 s21, s21, 0
	v_add_u32_e32 v5, v3, v5
	v_lshrrev_b32_e32 v5, s25, v5
	v_mul_lo_u32 v6, v5, s26
	s_add_i32 s24, s24, -1
	s_cmp_lg_u32 s24, 0
	v_sub_u32_e32 v3, v3, v6
	s_waitcnt lgkmcnt(0)
	v_mad_u64_u32 v[2:3], s[26:27], v3, s27, v[2:3]
	v_mov_b32_e32 v3, v5
	s_cbranch_scc1 .LBB7_244
.LBB7_245:
	s_mov_b64 s[20:21], 0
.LBB7_246:
	s_andn2_b64 vcc, exec, s[20:21]
	s_cbranch_vccnz .LBB7_249
; %bb.247:
	v_mul_hi_u32 v2, s29, v8
	s_andn2_b64 vcc, exec, s[60:61]
	v_add_u32_e32 v2, v8, v2
	v_lshrrev_b32_e32 v3, s30, v2
	v_mul_lo_u32 v2, v3, s28
	v_sub_u32_e32 v2, v8, v2
	v_mul_lo_u32 v2, v2, s56
	s_cbranch_vccnz .LBB7_249
; %bb.248:
	v_mul_hi_u32 v5, s58, v3
	v_add_u32_e32 v5, v3, v5
	v_lshrrev_b32_e32 v5, s59, v5
	v_mul_lo_u32 v5, v5, s31
	v_sub_u32_e32 v3, v3, v5
	v_mad_u64_u32 v[2:3], s[20:21], v3, s57, v[2:3]
.LBB7_249:
	v_mov_b32_e32 v3, s55
	s_and_b32 s26, 0xffff, s82
	v_add_co_u32_e32 v6, vcc, s54, v2
	s_cmp_lt_i32 s26, 11
	v_addc_co_u32_e32 v7, vcc, 0, v3, vcc
	s_cbranch_scc1 .LBB7_256
; %bb.250:
	s_cmp_gt_i32 s26, 25
	s_cbranch_scc0 .LBB7_257
; %bb.251:
	s_cmp_gt_i32 s26, 28
	s_cbranch_scc0 .LBB7_258
	;; [unrolled: 3-line block ×4, first 2 shown]
; %bb.254:
	s_mov_b64 s[24:25], 0
	s_mov_b64 s[20:21], -1
	s_cmp_eq_u32 s26, 46
	s_mov_b64 s[22:23], 0
	s_cbranch_scc0 .LBB7_261
; %bb.255:
	global_store_dword v[6:7], v11, off
	s_mov_b64 s[22:23], -1
	s_mov_b64 s[20:21], 0
	s_branch .LBB7_261
.LBB7_256:
	s_mov_b64 s[24:25], -1
	s_mov_b64 s[22:23], 0
	s_mov_b64 s[20:21], s[70:71]
	s_branch .LBB7_306
.LBB7_257:
	s_mov_b64 s[24:25], -1
	s_mov_b64 s[22:23], 0
	s_mov_b64 s[20:21], s[70:71]
	s_branch .LBB7_283
.LBB7_258:
	s_mov_b64 s[24:25], -1
	s_mov_b64 s[22:23], 0
	s_mov_b64 s[20:21], s[70:71]
	s_branch .LBB7_269
.LBB7_259:
	s_mov_b64 s[24:25], -1
	s_mov_b64 s[22:23], 0
	s_mov_b64 s[20:21], s[70:71]
	s_branch .LBB7_265
.LBB7_260:
	s_mov_b64 s[24:25], -1
	s_mov_b64 s[22:23], 0
	s_mov_b64 s[20:21], s[70:71]
.LBB7_261:
	s_and_b64 vcc, exec, s[24:25]
	s_cbranch_vccz .LBB7_264
; %bb.262:
	s_cmp_eq_u32 s26, 44
	s_mov_b64 s[20:21], -1
	s_cbranch_scc0 .LBB7_264
; %bb.263:
	v_mov_b32_e32 v2, 0xffff
	v_cndmask_b32_e64 v2, v22, v2, s[16:17]
	s_mov_b64 s[22:23], -1
	s_mov_b64 s[20:21], 0
	global_store_byte v[6:7], v2, off
.LBB7_264:
	s_mov_b64 s[24:25], 0
.LBB7_265:
	s_and_b64 vcc, exec, s[24:25]
	s_cbranch_vccz .LBB7_268
; %bb.266:
	s_cmp_eq_u32 s26, 29
	s_mov_b64 s[20:21], -1
	s_cbranch_scc0 .LBB7_268
; %bb.267:
	v_mov_b32_e32 v2, s48
	v_mov_b32_e32 v3, s49
	global_store_dwordx2 v[6:7], v[2:3], off
	s_mov_b64 s[22:23], -1
	s_mov_b64 s[20:21], 0
.LBB7_268:
	s_mov_b64 s[24:25], 0
.LBB7_269:
	s_and_b64 vcc, exec, s[24:25]
	s_cbranch_vccz .LBB7_282
; %bb.270:
	s_cmp_lt_i32 s26, 27
	s_mov_b64 s[22:23], -1
	s_cbranch_scc1 .LBB7_276
; %bb.271:
	s_cmp_gt_i32 s26, 27
	s_cbranch_scc0 .LBB7_273
; %bb.272:
	v_mov_b32_e32 v2, s48
	s_mov_b64 s[22:23], 0
	global_store_dword v[6:7], v2, off
.LBB7_273:
	s_andn2_b64 vcc, exec, s[22:23]
	s_cbranch_vccnz .LBB7_275
; %bb.274:
	v_mov_b32_e32 v2, s48
	global_store_short v[6:7], v2, off
.LBB7_275:
	s_mov_b64 s[22:23], 0
.LBB7_276:
	s_andn2_b64 vcc, exec, s[22:23]
	s_cbranch_vccnz .LBB7_281
; %bb.277:
	s_andn2_b64 vcc, exec, s[14:15]
	v_mov_b32_e32 v2, 0x80
	s_cbranch_vccnz .LBB7_280
; %bb.278:
	s_or_b64 s[22:23], s[12:13], s[52:53]
	s_andn2_b64 vcc, exec, s[22:23]
	v_mov_b32_e32 v2, 0
	s_cbranch_vccnz .LBB7_280
; %bb.279:
	v_cndmask_b32_e64 v2, v21, v20, s[12:13]
.LBB7_280:
	global_store_byte v[6:7], v2, off
.LBB7_281:
	s_mov_b64 s[22:23], -1
.LBB7_282:
	s_mov_b64 s[24:25], 0
.LBB7_283:
	s_and_b64 vcc, exec, s[24:25]
	s_cbranch_vccz .LBB7_305
; %bb.284:
	s_cmp_gt_i32 s26, 22
	s_mov_b64 s[24:25], -1
	s_cbranch_scc0 .LBB7_297
; %bb.285:
	s_cmp_lt_i32 s26, 24
	s_mov_b64 s[22:23], -1
	s_cbranch_scc1 .LBB7_294
; %bb.286:
	s_cmp_gt_i32 s26, 24
	s_cbranch_scc0 .LBB7_291
; %bb.287:
	s_andn2_b64 vcc, exec, s[10:11]
	v_mov_b32_e32 v2, 0x80
	s_cbranch_vccnz .LBB7_290
; %bb.288:
	s_or_b64 s[22:23], s[8:9], s[50:51]
	s_andn2_b64 vcc, exec, s[22:23]
	v_mov_b32_e32 v2, 0
	s_cbranch_vccnz .LBB7_290
; %bb.289:
	v_cndmask_b32_e64 v2, v18, v17, s[8:9]
.LBB7_290:
	s_mov_b64 s[22:23], 0
	global_store_byte v[6:7], v2, off
.LBB7_291:
	s_and_b64 vcc, exec, s[22:23]
	s_cbranch_vccz .LBB7_293
; %bb.292:
	v_cndmask_b32_e64 v2, v15, v16, s[6:7]
	v_cndmask_b32_e64 v2, v2, v19, s[4:5]
	global_store_byte v[6:7], v2, off
.LBB7_293:
	s_mov_b64 s[22:23], 0
.LBB7_294:
	s_andn2_b64 vcc, exec, s[22:23]
	s_cbranch_vccnz .LBB7_296
; %bb.295:
	v_cndmask_b32_e64 v2, v12, v13, s[2:3]
	v_cndmask_b32_e64 v2, v2, v14, s[0:1]
	global_store_byte v[6:7], v2, off
.LBB7_296:
	s_mov_b64 s[24:25], 0
	s_mov_b64 s[22:23], -1
.LBB7_297:
	s_andn2_b64 vcc, exec, s[24:25]
	s_cbranch_vccnz .LBB7_305
; %bb.298:
	s_cmp_gt_i32 s26, 14
	s_mov_b64 s[24:25], -1
	s_cbranch_scc0 .LBB7_302
; %bb.299:
	s_cmp_eq_u32 s26, 15
	s_mov_b64 s[20:21], -1
	s_cbranch_scc0 .LBB7_301
; %bb.300:
	global_store_short v[6:7], v11, off
	s_mov_b64 s[22:23], -1
	s_mov_b64 s[20:21], 0
.LBB7_301:
	s_mov_b64 s[24:25], 0
.LBB7_302:
	s_and_b64 vcc, exec, s[24:25]
	s_cbranch_vccz .LBB7_305
; %bb.303:
	s_cmp_eq_u32 s26, 11
	s_mov_b64 s[20:21], -1
	s_cbranch_scc0 .LBB7_305
; %bb.304:
	s_mov_b64 s[22:23], -1
	s_mov_b64 s[20:21], 0
	global_store_byte v[6:7], v10, off
.LBB7_305:
	s_mov_b64 s[24:25], 0
.LBB7_306:
	s_and_b64 vcc, exec, s[24:25]
	s_cbranch_vccz .LBB7_345
; %bb.307:
	s_cmp_lt_i32 s26, 5
	s_mov_b64 s[22:23], -1
	s_cbranch_scc1 .LBB7_328
; %bb.308:
	s_cmp_lt_i32 s26, 8
	s_cbranch_scc1 .LBB7_318
; %bb.309:
	s_cmp_lt_i32 s26, 9
	s_cbranch_scc1 .LBB7_315
; %bb.310:
	s_cmp_gt_i32 s26, 9
	s_cbranch_scc0 .LBB7_312
; %bb.311:
	v_mov_b32_e32 v2, 0
	v_mov_b32_e32 v3, v2
	s_mov_b64 s[22:23], 0
	global_store_dwordx4 v[6:7], v[0:3], off
.LBB7_312:
	s_andn2_b64 vcc, exec, s[22:23]
	s_cbranch_vccnz .LBB7_314
; %bb.313:
	v_mov_b32_e32 v5, 0
	global_store_dwordx2 v[6:7], v[4:5], off
.LBB7_314:
	s_mov_b64 s[22:23], 0
.LBB7_315:
	s_andn2_b64 vcc, exec, s[22:23]
	s_cbranch_vccnz .LBB7_317
; %bb.316:
	global_store_dword v[6:7], v9, off
.LBB7_317:
	s_mov_b64 s[22:23], 0
.LBB7_318:
	s_andn2_b64 vcc, exec, s[22:23]
	s_cbranch_vccnz .LBB7_327
; %bb.319:
	s_cmp_lt_i32 s26, 6
	s_mov_b64 s[22:23], -1
	s_cbranch_scc1 .LBB7_325
; %bb.320:
	s_cmp_gt_i32 s26, 6
	s_cbranch_scc0 .LBB7_322
; %bb.321:
	s_mov_b64 s[22:23], 0
	global_store_dwordx2 v[6:7], v[0:1], off
.LBB7_322:
	s_andn2_b64 vcc, exec, s[22:23]
	s_cbranch_vccnz .LBB7_324
; %bb.323:
	global_store_dword v[6:7], v4, off
.LBB7_324:
	s_mov_b64 s[22:23], 0
.LBB7_325:
	s_andn2_b64 vcc, exec, s[22:23]
	s_cbranch_vccnz .LBB7_327
; %bb.326:
	global_store_short v[6:7], v9, off
.LBB7_327:
	s_mov_b64 s[22:23], 0
.LBB7_328:
	s_andn2_b64 vcc, exec, s[22:23]
	s_cbranch_vccnz .LBB7_344
; %bb.329:
	s_cmp_lt_i32 s26, 2
	s_mov_b64 s[22:23], -1
	s_cbranch_scc1 .LBB7_339
; %bb.330:
	s_cmp_lt_i32 s26, 3
	s_cbranch_scc1 .LBB7_336
; %bb.331:
	s_cmp_gt_i32 s26, 3
	s_cbranch_scc0 .LBB7_333
; %bb.332:
	v_mov_b32_e32 v2, s48
	v_mov_b32_e32 v3, s49
	s_mov_b64 s[22:23], 0
	global_store_dwordx2 v[6:7], v[2:3], off
.LBB7_333:
	s_andn2_b64 vcc, exec, s[22:23]
	s_cbranch_vccnz .LBB7_335
; %bb.334:
	v_mov_b32_e32 v2, s48
	global_store_dword v[6:7], v2, off
.LBB7_335:
	s_mov_b64 s[22:23], 0
.LBB7_336:
	s_andn2_b64 vcc, exec, s[22:23]
	s_cbranch_vccnz .LBB7_338
; %bb.337:
	v_mov_b32_e32 v2, s48
	global_store_short v[6:7], v2, off
.LBB7_338:
	s_mov_b64 s[22:23], 0
.LBB7_339:
	s_andn2_b64 vcc, exec, s[22:23]
	s_cbranch_vccnz .LBB7_344
; %bb.340:
	s_cmp_gt_i32 s26, 0
	s_mov_b64 s[22:23], -1
	s_cbranch_scc0 .LBB7_342
; %bb.341:
	v_mov_b32_e32 v2, s81
	s_mov_b64 s[22:23], 0
	global_store_byte v[6:7], v2, off
.LBB7_342:
	s_andn2_b64 vcc, exec, s[22:23]
	s_cbranch_vccnz .LBB7_344
; %bb.343:
	v_mov_b32_e32 v2, s81
	global_store_byte v[6:7], v2, off
.LBB7_344:
	s_mov_b64 s[22:23], -1
.LBB7_345:
	s_andn2_b64 vcc, exec, s[22:23]
	s_cbranch_vccnz .LBB7_347
; %bb.346:
	v_add_u32_e32 v8, 0x80, v8
	s_mov_b64 s[22:23], -1
	s_branch .LBB7_348
.LBB7_347:
	s_mov_b64 s[22:23], 0
                                        ; implicit-def: $vgpr8
.LBB7_348:
	s_andn2_b64 s[24:25], s[70:71], exec
	s_and_b64 s[20:21], s[20:21], exec
	s_or_b64 s[76:77], s[24:25], s[20:21]
	s_orn2_b64 s[22:23], s[22:23], exec
.LBB7_349:
	s_or_b64 exec, exec, s[74:75]
	s_mov_b64 s[20:21], 0
	s_mov_b64 s[26:27], 0
                                        ; implicit-def: $vgpr6_vgpr7
	s_and_saveexec_b64 s[74:75], s[22:23]
	s_cbranch_execz .LBB7_420
; %bb.350:
	v_cmp_gt_i32_e32 vcc, s83, v8
	s_mov_b64 s[22:23], 0
	s_mov_b64 s[24:25], s[76:77]
                                        ; implicit-def: $vgpr6_vgpr7
	s_and_saveexec_b64 s[78:79], vcc
	s_cbranch_execz .LBB7_419
; %bb.351:
	s_andn2_b64 vcc, exec, s[44:45]
	s_cbranch_vccnz .LBB7_356
; %bb.352:
	s_andn2_b64 vcc, exec, s[64:65]
	s_cbranch_vccnz .LBB7_357
; %bb.353:
	s_add_i32 s84, s84, 1
	s_cmp_eq_u32 s80, 2
	s_cbranch_scc1 .LBB7_358
; %bb.354:
	s_and_b32 s83, s84, 28
	s_mov_b32 s85, 0
	v_mov_b32_e32 v2, 0
	s_mov_b64 s[64:65], s[34:35]
	v_mov_b32_e32 v3, v8
.LBB7_355:                              ; =>This Inner Loop Header: Depth=1
	s_load_dwordx8 s[20:27], s[64:65], 0x4
	s_load_dwordx4 s[36:39], s[64:65], 0x24
	s_load_dwordx4 s[40:43], s[62:63], 0x0
	s_add_u32 s64, s64, 48
	s_addc_u32 s65, s65, 0
	s_waitcnt lgkmcnt(0)
	v_mul_hi_u32 v5, s21, v3
	s_add_i32 s85, s85, 4
	s_add_u32 s62, s62, 16
	s_addc_u32 s63, s63, 0
	v_add_u32_e32 v5, v3, v5
	v_lshrrev_b32_e32 v5, s22, v5
	v_mul_lo_u32 v6, v5, s20
	v_mul_hi_u32 v7, s24, v5
	s_cmp_eq_u32 s83, s85
	v_sub_u32_e32 v3, v3, v6
	v_add_u32_e32 v6, v5, v7
	v_lshrrev_b32_e32 v6, s25, v6
	v_mul_lo_u32 v7, v3, s40
	v_mul_hi_u32 v3, s27, v6
	v_mul_lo_u32 v24, v6, s23
	v_add_u32_e32 v3, v6, v3
	v_lshrrev_b32_e32 v23, s36, v3
	v_mul_hi_u32 v3, s38, v23
	v_sub_u32_e32 v5, v5, v24
	v_mul_lo_u32 v24, v23, s26
	v_mul_lo_u32 v5, v5, s41
	v_add_u32_e32 v3, v23, v3
	v_lshrrev_b32_e32 v3, s39, v3
	v_mul_lo_u32 v25, v3, s37
	v_sub_u32_e32 v6, v6, v24
	v_mul_lo_u32 v6, v6, s42
	v_add3_u32 v2, v7, v2, v5
	v_sub_u32_e32 v23, v23, v25
	v_mul_lo_u32 v23, v23, s43
	v_add3_u32 v2, v6, v2, v23
	s_cbranch_scc0 .LBB7_355
	s_branch .LBB7_359
.LBB7_356:
	s_mov_b64 s[20:21], -1
                                        ; implicit-def: $vgpr2
	s_branch .LBB7_363
.LBB7_357:
	v_mov_b32_e32 v2, 0
	s_branch .LBB7_362
.LBB7_358:
	v_mov_b32_e32 v2, 0
	s_mov_b32 s83, 0
	v_mov_b32_e32 v3, v8
.LBB7_359:
	s_and_b32 s24, s84, 3
	s_cmp_eq_u32 s24, 0
	s_cbranch_scc1 .LBB7_362
; %bb.360:
	s_lshl_b32 s20, s83, 2
	s_add_u32 s20, s34, s20
	s_addc_u32 s21, s35, 0
	s_add_u32 s20, s20, 0xc4
	s_addc_u32 s21, s21, 0
	s_mul_i32 s22, s83, 12
	s_add_u32 s22, s34, s22
	s_addc_u32 s23, s35, 0
.LBB7_361:                              ; =>This Inner Loop Header: Depth=1
	s_load_dwordx2 s[26:27], s[22:23], 0x4
	s_load_dword s25, s[22:23], 0xc
	s_add_u32 s22, s22, 12
	s_addc_u32 s23, s23, 0
	s_waitcnt lgkmcnt(0)
	v_mul_hi_u32 v5, s27, v3
	s_load_dword s27, s[20:21], 0x0
	s_add_u32 s20, s20, 4
	s_addc_u32 s21, s21, 0
	v_add_u32_e32 v5, v3, v5
	v_lshrrev_b32_e32 v5, s25, v5
	v_mul_lo_u32 v6, v5, s26
	s_add_i32 s24, s24, -1
	s_cmp_lg_u32 s24, 0
	v_sub_u32_e32 v3, v3, v6
	s_waitcnt lgkmcnt(0)
	v_mad_u64_u32 v[2:3], s[26:27], v3, s27, v[2:3]
	v_mov_b32_e32 v3, v5
	s_cbranch_scc1 .LBB7_361
.LBB7_362:
	s_mov_b64 s[20:21], 0
.LBB7_363:
	s_andn2_b64 vcc, exec, s[20:21]
	s_cbranch_vccnz .LBB7_366
; %bb.364:
	v_mul_hi_u32 v2, s29, v8
	s_andn2_b64 vcc, exec, s[60:61]
	v_add_u32_e32 v2, v8, v2
	v_lshrrev_b32_e32 v3, s30, v2
	v_mul_lo_u32 v2, v3, s28
	v_sub_u32_e32 v2, v8, v2
	v_mul_lo_u32 v2, v2, s56
	s_cbranch_vccnz .LBB7_366
; %bb.365:
	v_mul_hi_u32 v5, s58, v3
	v_add_u32_e32 v5, v3, v5
	v_lshrrev_b32_e32 v5, s59, v5
	v_mul_lo_u32 v5, v5, s31
	v_sub_u32_e32 v3, v3, v5
	v_mad_u64_u32 v[2:3], s[20:21], v3, s57, v[2:3]
.LBB7_366:
	v_mov_b32_e32 v3, s55
	s_and_b32 s24, 0xffff, s82
	v_add_co_u32_e32 v6, vcc, s54, v2
	s_cmp_lt_i32 s24, 11
	v_addc_co_u32_e32 v7, vcc, 0, v3, vcc
	s_cbranch_scc1 .LBB7_416
; %bb.367:
	s_mov_b64 s[22:23], -1
	s_cmp_gt_i32 s24, 25
	s_mov_b64 s[20:21], s[76:77]
	s_cbranch_scc0 .LBB7_395
; %bb.368:
	s_cmp_gt_i32 s24, 28
	s_mov_b64 s[20:21], s[76:77]
	s_cbranch_scc0 .LBB7_382
; %bb.369:
	;; [unrolled: 4-line block ×4, first 2 shown]
	s_cmp_eq_u32 s24, 46
	s_mov_b64 s[20:21], -1
	s_cbranch_scc0 .LBB7_373
; %bb.372:
	global_store_dword v[6:7], v11, off
	s_mov_b64 s[20:21], 0
.LBB7_373:
	s_mov_b64 s[22:23], 0
.LBB7_374:
	s_and_b64 vcc, exec, s[22:23]
	s_cbranch_vccz .LBB7_377
; %bb.375:
	s_cmp_eq_u32 s24, 44
	s_mov_b64 s[20:21], -1
	s_cbranch_scc0 .LBB7_377
; %bb.376:
	v_mov_b32_e32 v2, 0xffff
	v_cndmask_b32_e64 v2, v22, v2, s[16:17]
	global_store_byte v[6:7], v2, off
	s_mov_b64 s[20:21], 0
.LBB7_377:
	s_mov_b64 s[22:23], 0
.LBB7_378:
	s_and_b64 vcc, exec, s[22:23]
	s_cbranch_vccz .LBB7_381
; %bb.379:
	s_cmp_eq_u32 s24, 29
	s_mov_b64 s[20:21], -1
	s_cbranch_scc0 .LBB7_381
; %bb.380:
	v_mov_b32_e32 v2, s48
	v_mov_b32_e32 v3, s49
	global_store_dwordx2 v[6:7], v[2:3], off
	s_mov_b64 s[20:21], 0
.LBB7_381:
	s_mov_b64 s[22:23], 0
.LBB7_382:
	s_and_b64 vcc, exec, s[22:23]
	s_cbranch_vccz .LBB7_394
; %bb.383:
	s_cmp_lt_i32 s24, 27
	s_mov_b64 s[16:17], -1
	s_cbranch_scc1 .LBB7_389
; %bb.384:
	s_cmp_gt_i32 s24, 27
	s_cbranch_scc0 .LBB7_386
; %bb.385:
	v_mov_b32_e32 v2, s48
	s_mov_b64 s[16:17], 0
	global_store_dword v[6:7], v2, off
.LBB7_386:
	s_andn2_b64 vcc, exec, s[16:17]
	s_cbranch_vccnz .LBB7_388
; %bb.387:
	v_mov_b32_e32 v2, s48
	global_store_short v[6:7], v2, off
.LBB7_388:
	s_mov_b64 s[16:17], 0
.LBB7_389:
	s_andn2_b64 vcc, exec, s[16:17]
	s_cbranch_vccnz .LBB7_394
; %bb.390:
	s_andn2_b64 vcc, exec, s[14:15]
	v_mov_b32_e32 v2, 0x80
	s_cbranch_vccnz .LBB7_393
; %bb.391:
	s_or_b64 s[14:15], s[12:13], s[52:53]
	s_andn2_b64 vcc, exec, s[14:15]
	v_mov_b32_e32 v2, 0
	s_cbranch_vccnz .LBB7_393
; %bb.392:
	v_cndmask_b32_e64 v2, v21, v20, s[12:13]
.LBB7_393:
	global_store_byte v[6:7], v2, off
.LBB7_394:
	s_mov_b64 s[22:23], 0
.LBB7_395:
	s_mov_b64 s[12:13], 0
	s_and_b64 vcc, exec, s[22:23]
	s_cbranch_vccz .LBB7_417
; %bb.396:
	s_cmp_gt_i32 s24, 22
	s_mov_b64 s[14:15], -1
	s_cbranch_scc0 .LBB7_409
; %bb.397:
	s_cmp_lt_i32 s24, 24
	s_cbranch_scc1 .LBB7_406
; %bb.398:
	s_cmp_gt_i32 s24, 24
	s_cbranch_scc0 .LBB7_403
; %bb.399:
	s_andn2_b64 vcc, exec, s[10:11]
	v_mov_b32_e32 v2, 0x80
	s_cbranch_vccnz .LBB7_402
; %bb.400:
	s_or_b64 s[10:11], s[8:9], s[50:51]
	s_andn2_b64 vcc, exec, s[10:11]
	v_mov_b32_e32 v2, 0
	s_cbranch_vccnz .LBB7_402
; %bb.401:
	v_cndmask_b32_e64 v2, v18, v17, s[8:9]
.LBB7_402:
	s_mov_b64 s[14:15], 0
	global_store_byte v[6:7], v2, off
.LBB7_403:
	s_and_b64 vcc, exec, s[14:15]
	s_cbranch_vccz .LBB7_405
; %bb.404:
	v_cndmask_b32_e64 v2, v15, v16, s[6:7]
	v_cndmask_b32_e64 v2, v2, v19, s[4:5]
	global_store_byte v[6:7], v2, off
.LBB7_405:
	s_mov_b64 s[14:15], 0
.LBB7_406:
	s_andn2_b64 vcc, exec, s[14:15]
	s_cbranch_vccnz .LBB7_408
; %bb.407:
	v_cndmask_b32_e64 v2, v12, v13, s[2:3]
	v_cndmask_b32_e64 v2, v2, v14, s[0:1]
	global_store_byte v[6:7], v2, off
.LBB7_408:
	s_mov_b64 s[14:15], 0
.LBB7_409:
	s_andn2_b64 vcc, exec, s[14:15]
	s_mov_b64 s[0:1], 0
	s_cbranch_vccnz .LBB7_418
; %bb.410:
	s_cmp_gt_i32 s24, 14
	s_mov_b64 s[2:3], -1
	s_cbranch_scc0 .LBB7_414
; %bb.411:
	s_cmp_eq_u32 s24, 15
	s_mov_b64 s[20:21], -1
	s_cbranch_scc0 .LBB7_413
; %bb.412:
	global_store_short v[6:7], v11, off
	s_mov_b64 s[20:21], 0
.LBB7_413:
	s_mov_b64 s[2:3], 0
.LBB7_414:
	s_and_b64 vcc, exec, s[2:3]
	s_cbranch_vccz .LBB7_418
; %bb.415:
	s_cmp_lg_u32 s24, 11
	s_cselect_b64 s[2:3], -1, 0
	s_andn2_b64 s[4:5], s[20:21], exec
	s_and_b64 s[2:3], s[2:3], exec
	s_mov_b64 s[0:1], -1
	s_or_b64 s[20:21], s[4:5], s[2:3]
	s_branch .LBB7_418
.LBB7_416:
	s_mov_b64 s[0:1], 0
	s_mov_b64 s[12:13], -1
	s_mov_b64 s[20:21], s[76:77]
	s_branch .LBB7_418
.LBB7_417:
	s_mov_b64 s[0:1], 0
.LBB7_418:
	s_and_b64 s[22:23], s[0:1], exec
	s_andn2_b64 s[0:1], s[76:77], exec
	s_and_b64 s[2:3], s[20:21], exec
	s_and_b64 s[26:27], s[12:13], exec
	s_or_b64 s[24:25], s[0:1], s[2:3]
.LBB7_419:
	s_or_b64 exec, exec, s[78:79]
	s_andn2_b64 s[0:1], s[76:77], exec
	s_and_b64 s[2:3], s[24:25], exec
	s_and_b64 s[26:27], s[26:27], exec
	;; [unrolled: 1-line block ×3, first 2 shown]
	s_or_b64 s[76:77], s[0:1], s[2:3]
.LBB7_420:
	s_or_b64 exec, exec, s[74:75]
	s_andn2_b64 s[0:1], s[70:71], exec
	s_and_b64 s[2:3], s[76:77], exec
	s_and_b64 s[24:25], s[26:27], exec
	;; [unrolled: 1-line block ×3, first 2 shown]
	s_or_b64 s[70:71], s[0:1], s[2:3]
.LBB7_421:
	s_or_b64 exec, exec, s[72:73]
	s_andn2_b64 s[0:1], s[66:67], exec
	s_and_b64 s[2:3], s[70:71], exec
	s_and_b64 s[20:21], s[24:25], exec
	;; [unrolled: 1-line block ×3, first 2 shown]
	s_or_b64 s[66:67], s[0:1], s[2:3]
	s_or_b64 exec, exec, s[68:69]
	s_mov_b64 s[0:1], 0
	s_and_saveexec_b64 s[2:3], s[66:67]
	s_cbranch_execz .LBB7_122
.LBB7_422:
	s_mov_b64 s[0:1], exec
	s_andn2_b64 s[72:73], s[72:73], exec
	s_trap 2
	s_or_b64 exec, exec, s[2:3]
	s_and_saveexec_b64 s[2:3], s[72:73]
	s_xor_b64 s[2:3], exec, s[2:3]
	s_cbranch_execnz .LBB7_123
.LBB7_423:
	s_or_b64 exec, exec, s[2:3]
	s_and_saveexec_b64 s[2:3], s[20:21]
	s_xor_b64 s[2:3], exec, s[2:3]
	s_cbranch_execz .LBB7_461
.LBB7_424:
	s_sext_i32_i16 s6, s82
	s_cmp_lt_i32 s6, 5
	s_mov_b64 s[4:5], -1
	s_cbranch_scc1 .LBB7_445
; %bb.425:
	s_cmp_lt_i32 s6, 8
	s_cbranch_scc1 .LBB7_435
; %bb.426:
	s_cmp_lt_i32 s6, 9
	s_cbranch_scc1 .LBB7_432
; %bb.427:
	s_cmp_gt_i32 s6, 9
	s_cbranch_scc0 .LBB7_429
; %bb.428:
	v_mov_b32_e32 v2, 0
	v_mov_b32_e32 v3, v2
	s_mov_b64 s[4:5], 0
	global_store_dwordx4 v[6:7], v[0:3], off
.LBB7_429:
	s_andn2_b64 vcc, exec, s[4:5]
	s_cbranch_vccnz .LBB7_431
; %bb.430:
	v_mov_b32_e32 v5, 0
	global_store_dwordx2 v[6:7], v[4:5], off
.LBB7_431:
	s_mov_b64 s[4:5], 0
.LBB7_432:
	s_andn2_b64 vcc, exec, s[4:5]
	s_cbranch_vccnz .LBB7_434
; %bb.433:
	global_store_dword v[6:7], v9, off
.LBB7_434:
	s_mov_b64 s[4:5], 0
.LBB7_435:
	s_andn2_b64 vcc, exec, s[4:5]
	s_cbranch_vccnz .LBB7_444
; %bb.436:
	s_sext_i32_i16 s6, s82
	s_cmp_lt_i32 s6, 6
	s_mov_b64 s[4:5], -1
	s_cbranch_scc1 .LBB7_442
; %bb.437:
	s_cmp_gt_i32 s6, 6
	s_cbranch_scc0 .LBB7_439
; %bb.438:
	s_mov_b64 s[4:5], 0
	global_store_dwordx2 v[6:7], v[0:1], off
.LBB7_439:
	s_andn2_b64 vcc, exec, s[4:5]
	s_cbranch_vccnz .LBB7_441
; %bb.440:
	global_store_dword v[6:7], v4, off
.LBB7_441:
	s_mov_b64 s[4:5], 0
.LBB7_442:
	s_andn2_b64 vcc, exec, s[4:5]
	s_cbranch_vccnz .LBB7_444
; %bb.443:
	global_store_short v[6:7], v9, off
.LBB7_444:
	s_mov_b64 s[4:5], 0
.LBB7_445:
	s_andn2_b64 vcc, exec, s[4:5]
	s_cbranch_vccnz .LBB7_461
; %bb.446:
	s_sext_i32_i16 s6, s82
	s_cmp_lt_i32 s6, 2
	s_mov_b64 s[4:5], -1
	s_cbranch_scc1 .LBB7_456
; %bb.447:
	s_cmp_lt_i32 s6, 3
	s_cbranch_scc1 .LBB7_453
; %bb.448:
	s_cmp_gt_i32 s6, 3
	s_cbranch_scc0 .LBB7_450
; %bb.449:
	v_mov_b32_e32 v0, s48
	v_mov_b32_e32 v1, s49
	s_mov_b64 s[4:5], 0
	global_store_dwordx2 v[6:7], v[0:1], off
.LBB7_450:
	s_andn2_b64 vcc, exec, s[4:5]
	s_cbranch_vccnz .LBB7_452
; %bb.451:
	v_mov_b32_e32 v0, s48
	global_store_dword v[6:7], v0, off
.LBB7_452:
	s_mov_b64 s[4:5], 0
.LBB7_453:
	s_andn2_b64 vcc, exec, s[4:5]
	s_cbranch_vccnz .LBB7_455
; %bb.454:
	v_mov_b32_e32 v0, s48
	global_store_short v[6:7], v0, off
.LBB7_455:
	s_mov_b64 s[4:5], 0
.LBB7_456:
	s_andn2_b64 vcc, exec, s[4:5]
	s_cbranch_vccnz .LBB7_461
; %bb.457:
	s_sext_i32_i16 s4, s82
	s_cmp_gt_i32 s4, 0
	s_mov_b64 s[4:5], -1
	s_cbranch_scc0 .LBB7_459
; %bb.458:
	v_mov_b32_e32 v0, s81
	s_mov_b64 s[4:5], 0
	global_store_byte v[6:7], v0, off
.LBB7_459:
	s_andn2_b64 vcc, exec, s[4:5]
	s_cbranch_vccnz .LBB7_461
; %bb.460:
	v_mov_b32_e32 v0, s81
	global_store_byte v[6:7], v0, off
.LBB7_461:
	s_or_b64 exec, exec, s[2:3]
	s_and_b64 s[20:21], s[0:1], exec
                                        ; implicit-def: $vgpr9
                                        ; implicit-def: $vgpr8
.LBB7_462:
	s_or_saveexec_b64 s[22:23], s[46:47]
	s_mov_b64 s[2:3], 0
                                        ; implicit-def: $sgpr13
                                        ; implicit-def: $vgpr0_vgpr1
                                        ; implicit-def: $sgpr12
	s_xor_b64 exec, exec, s[22:23]
	s_cbranch_execz .LBB7_945
; %bb.463:
	v_cndmask_b32_e64 v0, 0, 1, s[44:45]
	v_cmp_ne_u32_e64 s[0:1], 1, v0
	s_andn2_b64 vcc, exec, s[44:45]
	s_cbranch_vccnz .LBB7_469
; %bb.464:
	s_cmp_lg_u32 s33, 0
	s_mov_b32 s26, 0
	s_cbranch_scc0 .LBB7_470
; %bb.465:
	s_min_u32 s27, s80, 15
	s_add_i32 s27, s27, 1
	s_cmp_eq_u32 s80, 2
	s_cbranch_scc1 .LBB7_471
; %bb.466:
	s_and_b32 s26, s27, 28
	s_add_u32 s2, s34, 0xc4
	s_addc_u32 s3, s35, 0
	s_mov_b32 s28, 0
	v_mov_b32_e32 v6, 0
	s_mov_b64 s[24:25], s[34:35]
	v_mov_b32_e32 v0, v8
.LBB7_467:                              ; =>This Inner Loop Header: Depth=1
	s_load_dwordx8 s[4:11], s[24:25], 0x4
	s_load_dwordx4 s[12:15], s[24:25], 0x24
	s_load_dwordx4 s[16:19], s[2:3], 0x0
	s_add_u32 s24, s24, 48
	s_addc_u32 s25, s25, 0
	s_waitcnt lgkmcnt(0)
	v_mul_hi_u32 v1, s5, v0
	s_add_i32 s28, s28, 4
	s_add_u32 s2, s2, 16
	s_addc_u32 s3, s3, 0
	v_add_u32_e32 v1, v0, v1
	v_lshrrev_b32_e32 v1, s6, v1
	v_mul_lo_u32 v2, v1, s4
	v_mul_hi_u32 v3, s8, v1
	s_cmp_lg_u32 s26, s28
	v_sub_u32_e32 v0, v0, v2
	v_add_u32_e32 v2, v1, v3
	v_lshrrev_b32_e32 v2, s9, v2
	v_mul_lo_u32 v3, v0, s16
	v_mul_hi_u32 v0, s11, v2
	v_mul_lo_u32 v5, v2, s7
	v_add_u32_e32 v0, v2, v0
	v_lshrrev_b32_e32 v4, s12, v0
	v_mul_hi_u32 v0, s14, v4
	v_sub_u32_e32 v1, v1, v5
	v_mul_lo_u32 v5, v4, s10
	v_mul_lo_u32 v1, v1, s17
	v_add_u32_e32 v0, v4, v0
	v_lshrrev_b32_e32 v0, s15, v0
	v_mul_lo_u32 v7, v0, s13
	v_sub_u32_e32 v2, v2, v5
	v_mul_lo_u32 v2, v2, s18
	v_add3_u32 v1, v3, v6, v1
	v_sub_u32_e32 v4, v4, v7
	v_mul_lo_u32 v4, v4, s19
	v_add3_u32 v6, v2, v1, v4
	s_cbranch_scc1 .LBB7_467
; %bb.468:
	s_and_b32 s6, s27, 3
	s_cmp_eq_u32 s6, 0
	s_cbranch_scc0 .LBB7_472
	s_branch .LBB7_474
.LBB7_469:
                                        ; implicit-def: $vgpr6
	s_branch .LBB7_475
.LBB7_470:
	v_mov_b32_e32 v6, 0
	s_branch .LBB7_474
.LBB7_471:
	v_mov_b32_e32 v6, 0
	v_mov_b32_e32 v0, v8
	s_and_b32 s6, s27, 3
	s_cmp_eq_u32 s6, 0
	s_cbranch_scc1 .LBB7_474
.LBB7_472:
	s_lshl_b32 s2, s26, 2
	s_add_u32 s2, s34, s2
	s_addc_u32 s3, s35, 0
	s_add_u32 s2, s2, 0xc4
	s_addc_u32 s3, s3, 0
	s_mul_i32 s4, s26, 12
	s_add_u32 s4, s34, s4
	s_addc_u32 s5, s35, 0
.LBB7_473:                              ; =>This Inner Loop Header: Depth=1
	s_load_dwordx2 s[8:9], s[4:5], 0x4
	s_load_dword s7, s[4:5], 0xc
	s_add_u32 s4, s4, 12
	s_addc_u32 s5, s5, 0
	s_waitcnt lgkmcnt(0)
	v_mul_hi_u32 v1, s9, v0
	s_load_dword s9, s[2:3], 0x0
	s_add_u32 s2, s2, 4
	s_addc_u32 s3, s3, 0
	v_add_u32_e32 v1, v0, v1
	v_lshrrev_b32_e32 v1, s7, v1
	v_mul_lo_u32 v2, v1, s8
	s_add_i32 s6, s6, -1
	s_cmp_lg_u32 s6, 0
	v_sub_u32_e32 v0, v0, v2
	s_waitcnt lgkmcnt(0)
	v_mad_u64_u32 v[6:7], s[8:9], v0, s9, v[6:7]
	v_mov_b32_e32 v0, v1
	s_cbranch_scc1 .LBB7_473
.LBB7_474:
	s_cbranch_execnz .LBB7_477
.LBB7_475:
	s_load_dwordx4 s[4:7], s[34:35], 0x4
	s_load_dword s2, s[34:35], 0xc4
	s_cmp_lt_u32 s33, 2
	s_waitcnt lgkmcnt(0)
	v_mul_hi_u32 v0, s5, v8
	v_add_u32_e32 v0, v8, v0
	v_lshrrev_b32_e32 v0, s6, v0
	v_mul_lo_u32 v1, v0, s4
	v_sub_u32_e32 v1, v8, v1
	v_mul_lo_u32 v6, v1, s2
	s_cbranch_scc1 .LBB7_477
; %bb.476:
	s_load_dwordx4 s[4:7], s[34:35], 0x10
	s_load_dword s2, s[34:35], 0xc8
	s_waitcnt lgkmcnt(0)
	v_mul_hi_u32 v1, s5, v0
	v_add_u32_e32 v1, v0, v1
	v_lshrrev_b32_e32 v1, s6, v1
	v_mul_lo_u32 v1, v1, s4
	v_sub_u32_e32 v0, v0, v1
	v_mad_u64_u32 v[6:7], s[2:3], v0, s2, v[6:7]
.LBB7_477:
	s_and_b64 vcc, exec, s[0:1]
	v_add_u32_e32 v0, 0x80, v8
	s_cbranch_vccnz .LBB7_483
; %bb.478:
	s_cmp_lg_u32 s33, 0
	s_mov_b32 s26, 0
	s_cbranch_scc0 .LBB7_484
; %bb.479:
	s_min_u32 s27, s80, 15
	s_add_i32 s27, s27, 1
	s_cmp_eq_u32 s80, 2
	s_cbranch_scc1 .LBB7_485
; %bb.480:
	s_and_b32 s26, s27, 28
	s_add_u32 s2, s34, 0xc4
	s_addc_u32 s3, s35, 0
	s_mov_b32 s28, 0
	v_mov_b32_e32 v4, 0
	s_mov_b64 s[24:25], s[34:35]
	v_mov_b32_e32 v1, v0
.LBB7_481:                              ; =>This Inner Loop Header: Depth=1
	s_load_dwordx8 s[4:11], s[24:25], 0x4
	s_load_dwordx4 s[12:15], s[24:25], 0x24
	s_load_dwordx4 s[16:19], s[2:3], 0x0
	s_add_u32 s24, s24, 48
	s_addc_u32 s25, s25, 0
	s_waitcnt lgkmcnt(0)
	v_mul_hi_u32 v2, s5, v1
	s_add_i32 s28, s28, 4
	s_add_u32 s2, s2, 16
	s_addc_u32 s3, s3, 0
	v_add_u32_e32 v2, v1, v2
	v_lshrrev_b32_e32 v2, s6, v2
	v_mul_lo_u32 v3, v2, s4
	v_mul_hi_u32 v5, s8, v2
	s_cmp_lg_u32 s26, s28
	v_sub_u32_e32 v1, v1, v3
	v_add_u32_e32 v3, v2, v5
	v_lshrrev_b32_e32 v3, s9, v3
	v_mul_lo_u32 v5, v1, s16
	v_mul_hi_u32 v1, s11, v3
	v_mul_lo_u32 v10, v3, s7
	v_add_u32_e32 v1, v3, v1
	v_lshrrev_b32_e32 v7, s12, v1
	v_mul_hi_u32 v1, s14, v7
	v_sub_u32_e32 v2, v2, v10
	v_mul_lo_u32 v10, v7, s10
	v_mul_lo_u32 v2, v2, s17
	v_add_u32_e32 v1, v7, v1
	v_lshrrev_b32_e32 v1, s15, v1
	v_mul_lo_u32 v11, v1, s13
	v_sub_u32_e32 v3, v3, v10
	v_mul_lo_u32 v3, v3, s18
	v_add3_u32 v2, v5, v4, v2
	v_sub_u32_e32 v7, v7, v11
	v_mul_lo_u32 v7, v7, s19
	v_add3_u32 v4, v3, v2, v7
	s_cbranch_scc1 .LBB7_481
; %bb.482:
	s_and_b32 s6, s27, 3
	s_cmp_eq_u32 s6, 0
	s_cbranch_scc0 .LBB7_486
	s_branch .LBB7_488
.LBB7_483:
                                        ; implicit-def: $vgpr4
	s_branch .LBB7_489
.LBB7_484:
	v_mov_b32_e32 v4, 0
	s_branch .LBB7_488
.LBB7_485:
	v_mov_b32_e32 v4, 0
	v_mov_b32_e32 v1, v0
	s_and_b32 s6, s27, 3
	s_cmp_eq_u32 s6, 0
	s_cbranch_scc1 .LBB7_488
.LBB7_486:
	s_lshl_b32 s2, s26, 2
	s_add_u32 s2, s34, s2
	s_addc_u32 s3, s35, 0
	s_add_u32 s2, s2, 0xc4
	s_addc_u32 s3, s3, 0
	s_mul_i32 s4, s26, 12
	s_add_u32 s4, s34, s4
	s_addc_u32 s5, s35, 0
.LBB7_487:                              ; =>This Inner Loop Header: Depth=1
	s_load_dwordx2 s[8:9], s[4:5], 0x4
	s_load_dword s7, s[4:5], 0xc
	s_add_u32 s4, s4, 12
	s_addc_u32 s5, s5, 0
	s_waitcnt lgkmcnt(0)
	v_mul_hi_u32 v2, s9, v1
	s_load_dword s9, s[2:3], 0x0
	s_add_u32 s2, s2, 4
	s_addc_u32 s3, s3, 0
	v_add_u32_e32 v2, v1, v2
	v_lshrrev_b32_e32 v2, s7, v2
	v_mul_lo_u32 v3, v2, s8
	s_add_i32 s6, s6, -1
	s_cmp_lg_u32 s6, 0
	v_sub_u32_e32 v1, v1, v3
	s_waitcnt lgkmcnt(0)
	v_mad_u64_u32 v[4:5], s[8:9], v1, s9, v[4:5]
	v_mov_b32_e32 v1, v2
	s_cbranch_scc1 .LBB7_487
.LBB7_488:
	s_cbranch_execnz .LBB7_491
.LBB7_489:
	s_load_dwordx4 s[4:7], s[34:35], 0x4
	s_load_dword s2, s[34:35], 0xc4
	s_cmp_lt_u32 s33, 2
	s_waitcnt lgkmcnt(0)
	v_mul_hi_u32 v1, s5, v0
	v_add_u32_e32 v1, v0, v1
	v_lshrrev_b32_e32 v1, s6, v1
	v_mul_lo_u32 v2, v1, s4
	v_sub_u32_e32 v0, v0, v2
	v_mul_lo_u32 v4, v0, s2
	s_cbranch_scc1 .LBB7_491
; %bb.490:
	s_load_dwordx4 s[4:7], s[34:35], 0x10
	s_load_dword s2, s[34:35], 0xc8
	s_waitcnt lgkmcnt(0)
	v_mul_hi_u32 v0, s5, v1
	v_add_u32_e32 v0, v1, v0
	v_lshrrev_b32_e32 v0, s6, v0
	v_mul_lo_u32 v0, v0, s4
	v_sub_u32_e32 v0, v1, v0
	v_mad_u64_u32 v[4:5], s[2:3], v0, s2, v[4:5]
.LBB7_491:
	s_and_b64 vcc, exec, s[0:1]
	v_add_u32_e32 v0, 0x100, v8
	s_cbranch_vccnz .LBB7_497
; %bb.492:
	s_cmp_lg_u32 s33, 0
	s_mov_b32 s26, 0
	s_cbranch_scc0 .LBB7_498
; %bb.493:
	s_min_u32 s27, s80, 15
	s_add_i32 s27, s27, 1
	s_cmp_eq_u32 s80, 2
	s_cbranch_scc1 .LBB7_499
; %bb.494:
	s_and_b32 s26, s27, 28
	s_add_u32 s2, s34, 0xc4
	s_addc_u32 s3, s35, 0
	s_mov_b32 s28, 0
	v_mov_b32_e32 v2, 0
	s_mov_b64 s[24:25], s[34:35]
	v_mov_b32_e32 v1, v0
.LBB7_495:                              ; =>This Inner Loop Header: Depth=1
	s_load_dwordx8 s[4:11], s[24:25], 0x4
	s_load_dwordx4 s[12:15], s[24:25], 0x24
	s_load_dwordx4 s[16:19], s[2:3], 0x0
	s_add_u32 s24, s24, 48
	s_addc_u32 s25, s25, 0
	s_waitcnt lgkmcnt(0)
	v_mul_hi_u32 v3, s5, v1
	s_add_i32 s28, s28, 4
	s_add_u32 s2, s2, 16
	s_addc_u32 s3, s3, 0
	v_add_u32_e32 v3, v1, v3
	v_lshrrev_b32_e32 v3, s6, v3
	v_mul_lo_u32 v5, v3, s4
	v_mul_hi_u32 v7, s8, v3
	s_cmp_lg_u32 s26, s28
	v_sub_u32_e32 v1, v1, v5
	v_add_u32_e32 v5, v3, v7
	v_lshrrev_b32_e32 v5, s9, v5
	v_mul_lo_u32 v7, v1, s16
	v_mul_hi_u32 v1, s11, v5
	v_mul_lo_u32 v10, v5, s7
	v_add_u32_e32 v1, v5, v1
	v_lshrrev_b32_e32 v8, s12, v1
	v_mul_hi_u32 v1, s14, v8
	v_sub_u32_e32 v3, v3, v10
	v_mul_lo_u32 v10, v8, s10
	v_mul_lo_u32 v3, v3, s17
	v_add_u32_e32 v1, v8, v1
	v_lshrrev_b32_e32 v1, s15, v1
	v_mul_lo_u32 v11, v1, s13
	v_sub_u32_e32 v5, v5, v10
	v_mul_lo_u32 v5, v5, s18
	v_add3_u32 v2, v7, v2, v3
	v_sub_u32_e32 v8, v8, v11
	v_mul_lo_u32 v8, v8, s19
	v_add3_u32 v2, v5, v2, v8
	s_cbranch_scc1 .LBB7_495
; %bb.496:
	s_and_b32 s6, s27, 3
	s_cmp_eq_u32 s6, 0
	s_cbranch_scc0 .LBB7_500
	s_branch .LBB7_502
.LBB7_497:
                                        ; implicit-def: $vgpr2
	s_branch .LBB7_503
.LBB7_498:
	v_mov_b32_e32 v2, 0
	s_branch .LBB7_502
.LBB7_499:
	v_mov_b32_e32 v2, 0
	v_mov_b32_e32 v1, v0
	s_and_b32 s6, s27, 3
	s_cmp_eq_u32 s6, 0
	s_cbranch_scc1 .LBB7_502
.LBB7_500:
	s_lshl_b32 s2, s26, 2
	s_add_u32 s2, s34, s2
	s_addc_u32 s3, s35, 0
	s_add_u32 s2, s2, 0xc4
	s_addc_u32 s3, s3, 0
	s_mul_i32 s4, s26, 12
	s_add_u32 s4, s34, s4
	s_addc_u32 s5, s35, 0
.LBB7_501:                              ; =>This Inner Loop Header: Depth=1
	s_load_dwordx2 s[8:9], s[4:5], 0x4
	s_load_dword s7, s[4:5], 0xc
	s_add_u32 s4, s4, 12
	s_addc_u32 s5, s5, 0
	s_waitcnt lgkmcnt(0)
	v_mul_hi_u32 v3, s9, v1
	s_load_dword s9, s[2:3], 0x0
	s_add_u32 s2, s2, 4
	s_addc_u32 s3, s3, 0
	v_add_u32_e32 v3, v1, v3
	v_lshrrev_b32_e32 v5, s7, v3
	v_mul_lo_u32 v3, v5, s8
	s_add_i32 s6, s6, -1
	s_cmp_lg_u32 s6, 0
	v_sub_u32_e32 v1, v1, v3
	s_waitcnt lgkmcnt(0)
	v_mad_u64_u32 v[2:3], s[8:9], v1, s9, v[2:3]
	v_mov_b32_e32 v1, v5
	s_cbranch_scc1 .LBB7_501
.LBB7_502:
	s_cbranch_execnz .LBB7_505
.LBB7_503:
	s_load_dwordx4 s[4:7], s[34:35], 0x4
	s_load_dword s2, s[34:35], 0xc4
	s_cmp_lt_u32 s33, 2
	s_waitcnt lgkmcnt(0)
	v_mul_hi_u32 v1, s5, v0
	v_add_u32_e32 v1, v0, v1
	v_lshrrev_b32_e32 v1, s6, v1
	v_mul_lo_u32 v2, v1, s4
	v_sub_u32_e32 v0, v0, v2
	v_mul_lo_u32 v2, v0, s2
	s_cbranch_scc1 .LBB7_505
; %bb.504:
	s_load_dwordx4 s[4:7], s[34:35], 0x10
	s_load_dword s2, s[34:35], 0xc8
	s_waitcnt lgkmcnt(0)
	v_mul_hi_u32 v0, s5, v1
	v_add_u32_e32 v0, v1, v0
	v_lshrrev_b32_e32 v0, s6, v0
	v_mul_lo_u32 v0, v0, s4
	v_sub_u32_e32 v0, v1, v0
	v_mad_u64_u32 v[2:3], s[2:3], v0, s2, v[2:3]
.LBB7_505:
	s_and_b64 vcc, exec, s[0:1]
	s_cbranch_vccnz .LBB7_511
; %bb.506:
	s_cmp_lg_u32 s33, 0
	s_mov_b32 s24, 0
	s_cbranch_scc0 .LBB7_512
; %bb.507:
	s_min_u32 s25, s80, 15
	s_add_i32 s25, s25, 1
	s_cmp_eq_u32 s80, 2
	s_cbranch_scc1 .LBB7_513
; %bb.508:
	s_and_b32 s24, s25, 28
	s_add_u32 s16, s34, 0xc4
	s_addc_u32 s17, s35, 0
	s_mov_b32 s26, 0
	v_mov_b32_e32 v0, 0
	s_mov_b64 s[18:19], s[34:35]
	v_mov_b32_e32 v1, v9
.LBB7_509:                              ; =>This Inner Loop Header: Depth=1
	s_load_dwordx8 s[0:7], s[18:19], 0x4
	s_load_dwordx4 s[8:11], s[18:19], 0x24
	s_load_dwordx4 s[12:15], s[16:17], 0x0
	s_add_u32 s18, s18, 48
	s_addc_u32 s19, s19, 0
	s_waitcnt lgkmcnt(0)
	v_mul_hi_u32 v3, s1, v1
	s_add_i32 s26, s26, 4
	s_add_u32 s16, s16, 16
	s_addc_u32 s17, s17, 0
	v_add_u32_e32 v3, v1, v3
	v_lshrrev_b32_e32 v3, s2, v3
	v_mul_lo_u32 v5, v3, s0
	v_mul_hi_u32 v7, s4, v3
	s_cmp_lg_u32 s24, s26
	v_sub_u32_e32 v1, v1, v5
	v_add_u32_e32 v5, v3, v7
	v_lshrrev_b32_e32 v5, s5, v5
	v_mul_lo_u32 v7, v1, s12
	v_mul_hi_u32 v1, s7, v5
	v_mul_lo_u32 v10, v5, s3
	v_add_u32_e32 v1, v5, v1
	v_lshrrev_b32_e32 v8, s8, v1
	v_mul_hi_u32 v1, s10, v8
	v_sub_u32_e32 v3, v3, v10
	v_mul_lo_u32 v10, v8, s6
	v_mul_lo_u32 v3, v3, s13
	v_add_u32_e32 v1, v8, v1
	v_lshrrev_b32_e32 v1, s11, v1
	v_mul_lo_u32 v11, v1, s9
	v_sub_u32_e32 v5, v5, v10
	v_mul_lo_u32 v5, v5, s14
	v_add3_u32 v0, v7, v0, v3
	v_sub_u32_e32 v8, v8, v11
	v_mul_lo_u32 v8, v8, s15
	v_add3_u32 v0, v5, v0, v8
	s_cbranch_scc1 .LBB7_509
; %bb.510:
	s_and_b32 s4, s25, 3
	s_cmp_eq_u32 s4, 0
	s_cbranch_scc0 .LBB7_514
	s_branch .LBB7_516
.LBB7_511:
                                        ; implicit-def: $vgpr0
	s_branch .LBB7_517
.LBB7_512:
	v_mov_b32_e32 v0, 0
	s_branch .LBB7_516
.LBB7_513:
	v_mov_b32_e32 v0, 0
	v_mov_b32_e32 v1, v9
	s_and_b32 s4, s25, 3
	s_cmp_eq_u32 s4, 0
	s_cbranch_scc1 .LBB7_516
.LBB7_514:
	s_lshl_b32 s0, s24, 2
	s_add_u32 s0, s34, s0
	s_addc_u32 s1, s35, 0
	s_add_u32 s0, s0, 0xc4
	s_addc_u32 s1, s1, 0
	s_mul_i32 s2, s24, 12
	s_add_u32 s2, s34, s2
	s_addc_u32 s3, s35, 0
.LBB7_515:                              ; =>This Inner Loop Header: Depth=1
	s_load_dwordx2 s[6:7], s[2:3], 0x4
	s_load_dword s5, s[2:3], 0xc
	s_add_u32 s2, s2, 12
	s_addc_u32 s3, s3, 0
	s_waitcnt lgkmcnt(0)
	v_mul_hi_u32 v3, s7, v1
	s_load_dword s7, s[0:1], 0x0
	s_add_u32 s0, s0, 4
	s_addc_u32 s1, s1, 0
	v_add_u32_e32 v3, v1, v3
	v_lshrrev_b32_e32 v3, s5, v3
	v_mul_lo_u32 v5, v3, s6
	s_add_i32 s4, s4, -1
	s_cmp_lg_u32 s4, 0
	v_sub_u32_e32 v1, v1, v5
	s_waitcnt lgkmcnt(0)
	v_mad_u64_u32 v[0:1], s[6:7], v1, s7, v[0:1]
	v_mov_b32_e32 v1, v3
	s_cbranch_scc1 .LBB7_515
.LBB7_516:
	s_cbranch_execnz .LBB7_519
.LBB7_517:
	s_load_dwordx4 s[0:3], s[34:35], 0x4
	s_waitcnt lgkmcnt(0)
	s_load_dword s3, s[34:35], 0xc4
	s_cmp_lt_u32 s33, 2
	v_mul_hi_u32 v0, s1, v9
	v_add_u32_e32 v0, v9, v0
	v_lshrrev_b32_e32 v1, s2, v0
	v_mul_lo_u32 v0, v1, s0
	v_sub_u32_e32 v0, v9, v0
	s_waitcnt lgkmcnt(0)
	v_mul_lo_u32 v0, v0, s3
	s_cbranch_scc1 .LBB7_519
; %bb.518:
	s_load_dwordx4 s[0:3], s[34:35], 0x10
	s_waitcnt lgkmcnt(0)
	s_load_dword s3, s[34:35], 0xc8
	v_mul_hi_u32 v3, s1, v1
	v_add_u32_e32 v3, v1, v3
	v_lshrrev_b32_e32 v3, s2, v3
	v_mul_lo_u32 v3, v3, s0
	v_sub_u32_e32 v1, v1, v3
	s_waitcnt lgkmcnt(0)
	v_mad_u64_u32 v[0:1], s[0:1], v1, s3, v[0:1]
.LBB7_519:
	s_load_dwordx2 s[2:3], s[34:35], 0x108
	s_load_dword s12, s[34:35], 0x110
	s_waitcnt lgkmcnt(0)
	v_mov_b32_e32 v1, s3
	s_bfe_u32 s13, s12, 0x80008
	v_add_co_u32_e32 v5, vcc, s2, v6
	s_cmp_lt_i32 s13, 11
	v_addc_co_u32_e32 v6, vcc, 0, v1, vcc
	s_cbranch_scc1 .LBB7_547
; %bb.520:
	s_and_b32 s10, 0xffff, s13
	s_mov_b64 s[8:9], -1
	s_mov_b64 s[4:5], 0
	s_cmp_gt_i32 s10, 25
	s_mov_b64 s[6:7], 0
	s_mov_b64 s[0:1], 0
	s_cbranch_scc0 .LBB7_557
; %bb.521:
	s_cmp_gt_i32 s10, 28
	s_cbranch_scc0 .LBB7_536
; %bb.522:
	s_cmp_gt_i32 s10, 43
	;; [unrolled: 3-line block ×3, first 2 shown]
	s_cbranch_scc0 .LBB7_526
; %bb.524:
	s_mov_b64 s[0:1], -1
	s_mov_b64 s[8:9], 0
	s_cmp_eq_u32 s10, 46
	s_cbranch_scc0 .LBB7_526
; %bb.525:
	v_cvt_f32_ubyte0_e32 v1, s12
	v_bfe_u32 v3, v1, 16, 1
	v_add_u32_e32 v1, v1, v3
	v_add_u32_e32 v1, 0x7fff, v1
	v_lshrrev_b32_e32 v1, 16, v1
	global_store_dword v[5:6], v1, off
	s_mov_b64 s[0:1], 0
	s_mov_b64 s[6:7], -1
.LBB7_526:
	s_and_b64 vcc, exec, s[8:9]
	s_cbranch_vccz .LBB7_531
; %bb.527:
	s_cmp_eq_u32 s10, 44
	s_mov_b64 s[0:1], -1
	s_cbranch_scc0 .LBB7_531
; %bb.528:
	v_cvt_f32_ubyte0_e32 v1, s12
	v_readfirstlane_b32 s1, v1
	s_lshr_b32 s0, s1, 23
	s_cmpk_eq_i32 s0, 0xff
	v_mov_b32_e32 v1, 0xff
	s_cbranch_scc1 .LBB7_530
; %bb.529:
	s_bitcmp1_b32 s1, 22
	s_cselect_b64 s[6:7], -1, 0
	s_and_b32 s1, s1, 0x3fffff
	s_or_b32 s1, s0, s1
	s_cmp_lg_u32 s1, 0
	s_cselect_b64 s[8:9], -1, 0
	s_and_b64 s[6:7], s[6:7], s[8:9]
	v_cndmask_b32_e64 v1, 0, 1, s[6:7]
	v_add_u32_e32 v1, s0, v1
.LBB7_530:
	s_mov_b64 s[0:1], 0
	s_mov_b64 s[6:7], -1
	global_store_byte v[5:6], v1, off
.LBB7_531:
	s_mov_b64 s[8:9], 0
.LBB7_532:
	s_and_b64 vcc, exec, s[8:9]
	s_cbranch_vccz .LBB7_535
; %bb.533:
	s_cmp_eq_u32 s10, 29
	s_mov_b64 s[0:1], -1
	s_cbranch_scc0 .LBB7_535
; %bb.534:
	s_and_b32 s0, s12, 0xff
	v_mov_b32_e32 v7, s0
	v_mov_b32_e32 v8, 0
	global_store_dwordx2 v[5:6], v[7:8], off
	s_mov_b64 s[0:1], 0
	s_mov_b64 s[6:7], -1
.LBB7_535:
	s_mov_b64 s[8:9], 0
.LBB7_536:
	s_and_b64 vcc, exec, s[8:9]
	s_cbranch_vccz .LBB7_556
; %bb.537:
	s_cmp_lt_i32 s10, 27
	s_mov_b64 s[6:7], -1
	s_cbranch_scc1 .LBB7_543
; %bb.538:
	s_cmp_gt_i32 s10, 27
	s_cbranch_scc0 .LBB7_540
; %bb.539:
	s_and_b32 s6, s12, 0xff
	v_mov_b32_e32 v1, s6
	s_mov_b64 s[6:7], 0
	global_store_dword v[5:6], v1, off
.LBB7_540:
	s_andn2_b64 vcc, exec, s[6:7]
	s_cbranch_vccnz .LBB7_542
; %bb.541:
	s_and_b32 s6, s12, 0xff
	v_mov_b32_e32 v1, s6
	global_store_short v[5:6], v1, off
.LBB7_542:
	s_mov_b64 s[6:7], 0
.LBB7_543:
	s_andn2_b64 vcc, exec, s[6:7]
	s_cbranch_vccnz .LBB7_555
; %bb.544:
	v_cvt_f32_ubyte0_e32 v1, s12
	s_mov_b32 s7, 0x437fffff
	v_cmp_lt_u32_e32 vcc, s7, v1
	v_readfirstlane_b32 s6, v1
	v_mov_b32_e32 v7, 0x80
	s_cbranch_vccnz .LBB7_554
; %bb.545:
	s_cmp_gt_u32 s6, 0x3bffffff
	s_cbranch_scc0 .LBB7_549
; %bb.546:
	s_bfe_u32 s7, s6, 0x10014
	s_add_i32 s6, s6, s7
	s_add_i32 s6, s6, 0x487ffff
	s_lshr_b32 s11, s6, 20
	s_mov_b64 s[8:9], 0
	s_mov_b64 s[6:7], -1
	s_branch .LBB7_550
.LBB7_547:
	s_mov_b64 s[6:7], 0
	s_mov_b64 s[0:1], s[20:21]
	s_cbranch_execnz .LBB7_607
.LBB7_548:
	s_andn2_b64 vcc, exec, s[6:7]
	s_cbranch_vccz .LBB7_645
	s_branch .LBB7_943
.LBB7_549:
	s_mov_b64 s[8:9], -1
	s_mov_b64 s[6:7], 0
                                        ; implicit-def: $sgpr11
.LBB7_550:
	s_andn2_b64 vcc, exec, s[8:9]
	v_mov_b32_e32 v3, s11
	s_cbranch_vccnz .LBB7_552
; %bb.551:
	v_add_f32_e32 v1, 0x46000000, v1
	v_and_b32_e32 v3, 0xff, v1
	v_cmp_ne_u32_e64 s[6:7], 0, v3
.LBB7_552:
	s_andn2_b64 vcc, exec, s[6:7]
	v_mov_b32_e32 v7, 0
	s_cbranch_vccnz .LBB7_554
; %bb.553:
	v_mov_b32_e32 v7, v3
.LBB7_554:
	global_store_byte v[5:6], v7, off
.LBB7_555:
	s_mov_b64 s[6:7], -1
.LBB7_556:
	s_mov_b64 s[8:9], 0
.LBB7_557:
	s_and_b64 vcc, exec, s[8:9]
	s_cbranch_vccz .LBB7_603
; %bb.558:
	s_cmp_gt_i32 s10, 22
	s_mov_b64 s[4:5], -1
	s_cbranch_scc0 .LBB7_596
; %bb.559:
	s_cmp_lt_i32 s10, 24
	s_cbranch_scc1 .LBB7_583
; %bb.560:
	s_cmp_gt_i32 s10, 24
	s_cbranch_scc0 .LBB7_570
; %bb.561:
	v_cvt_f32_ubyte0_e32 v1, s12
	s_mov_b32 s5, 0x477fffff
	v_cmp_lt_u32_e32 vcc, s5, v1
	v_readfirstlane_b32 s4, v1
	v_mov_b32_e32 v7, 0x80
	s_cbranch_vccnz .LBB7_569
; %bb.562:
	s_cmp_gt_u32 s4, 0x37ffffff
	s_cbranch_scc0 .LBB7_564
; %bb.563:
	s_bfe_u32 s5, s4, 0x10015
	s_add_i32 s4, s4, s5
	s_add_i32 s4, s4, 0x88fffff
	s_lshr_b32 s8, s4, 21
	s_mov_b64 s[6:7], 0
	s_mov_b64 s[4:5], -1
	s_branch .LBB7_565
.LBB7_564:
	s_mov_b64 s[6:7], -1
	s_mov_b64 s[4:5], 0
                                        ; implicit-def: $sgpr8
.LBB7_565:
	s_andn2_b64 vcc, exec, s[6:7]
	v_mov_b32_e32 v3, s8
	s_cbranch_vccnz .LBB7_567
; %bb.566:
	v_add_f32_e32 v1, 0x42800000, v1
	v_and_b32_e32 v3, 0xff, v1
	v_cmp_ne_u32_e64 s[4:5], 0, v3
.LBB7_567:
	s_andn2_b64 vcc, exec, s[4:5]
	v_mov_b32_e32 v7, 0
	s_cbranch_vccnz .LBB7_569
; %bb.568:
	v_mov_b32_e32 v7, v3
.LBB7_569:
	s_mov_b64 s[4:5], 0
	global_store_byte v[5:6], v7, off
.LBB7_570:
	s_and_b64 vcc, exec, s[4:5]
	s_cbranch_vccz .LBB7_582
; %bb.571:
	v_cvt_f32_ubyte0_e32 v1, s12
	s_mov_b32 s4, 0x43f00000
	v_cmp_gt_u32_e32 vcc, s4, v1
	v_readfirstlane_b32 s6, v1
	s_cbranch_vccz .LBB7_574
; %bb.572:
	s_cmp_gt_u32 s6, 0x3c7fffff
	s_cbranch_scc0 .LBB7_575
; %bb.573:
	s_bfe_u32 s4, s6, 0x10014
	s_add_i32 s4, s6, s4
	s_add_i32 s4, s4, 0x407ffff
	s_lshr_b32 s5, s4, 20
	s_and_b32 s4, s4, 0xff00000
	s_cmp_lg_u32 s4, 0x7f00000
	s_cselect_b32 s7, s5, 0x7e
	s_mov_b64 s[4:5], 0
	s_branch .LBB7_576
.LBB7_574:
	s_mov_b64 s[4:5], -1
                                        ; implicit-def: $vgpr3
	s_branch .LBB7_579
.LBB7_575:
	s_mov_b64 s[4:5], -1
                                        ; implicit-def: $sgpr7
.LBB7_576:
	s_andn2_b64 vcc, exec, s[4:5]
	v_mov_b32_e32 v3, s7
	s_cbranch_vccnz .LBB7_578
; %bb.577:
	v_add_f32_e32 v3, 0x46800000, v1
.LBB7_578:
	s_mov_b64 s[4:5], 0
.LBB7_579:
	s_andn2_b64 vcc, exec, s[4:5]
	s_cbranch_vccnz .LBB7_581
; %bb.580:
	s_cmp_gt_u32 s6, 0x7f800000
	s_movk_i32 s4, 0x7f
	s_cselect_b32 s4, s4, 0x7e
	v_mov_b32_e32 v3, s4
.LBB7_581:
	global_store_byte v[5:6], v3, off
.LBB7_582:
	s_mov_b64 s[4:5], 0
.LBB7_583:
	s_andn2_b64 vcc, exec, s[4:5]
	s_cbranch_vccnz .LBB7_595
; %bb.584:
	v_cvt_f32_ubyte0_e32 v1, s12
	s_mov_b32 s4, 0x47800000
	v_cmp_gt_u32_e32 vcc, s4, v1
	v_readfirstlane_b32 s6, v1
	s_cbranch_vccz .LBB7_587
; %bb.585:
	s_cmp_gt_u32 s6, 0x387fffff
	s_cbranch_scc0 .LBB7_588
; %bb.586:
	s_bfe_u32 s4, s6, 0x10015
	s_add_i32 s4, s6, s4
	s_add_i32 s4, s4, 0x80fffff
	s_lshr_b32 s7, s4, 21
	s_mov_b64 s[4:5], 0
	s_branch .LBB7_589
.LBB7_587:
	s_mov_b64 s[4:5], -1
                                        ; implicit-def: $vgpr3
	s_branch .LBB7_592
.LBB7_588:
	s_mov_b64 s[4:5], -1
                                        ; implicit-def: $sgpr7
.LBB7_589:
	s_andn2_b64 vcc, exec, s[4:5]
	v_mov_b32_e32 v3, s7
	s_cbranch_vccnz .LBB7_591
; %bb.590:
	v_add_f32_e32 v3, 0x43000000, v1
.LBB7_591:
	s_mov_b64 s[4:5], 0
.LBB7_592:
	s_andn2_b64 vcc, exec, s[4:5]
	s_cbranch_vccnz .LBB7_594
; %bb.593:
	s_cmp_gt_u32 s6, 0x7f800000
	s_movk_i32 s4, 0x7f
	s_cselect_b32 s4, s4, 0x7c
	v_mov_b32_e32 v3, s4
.LBB7_594:
	global_store_byte v[5:6], v3, off
.LBB7_595:
	s_mov_b64 s[4:5], 0
	s_mov_b64 s[6:7], -1
.LBB7_596:
	s_andn2_b64 vcc, exec, s[4:5]
	s_mov_b64 s[4:5], 0
	s_cbranch_vccnz .LBB7_603
; %bb.597:
	s_cmp_gt_i32 s10, 14
	s_mov_b64 s[8:9], -1
	s_cbranch_scc0 .LBB7_601
; %bb.598:
	s_cmp_eq_u32 s10, 15
	s_mov_b64 s[0:1], -1
	s_cbranch_scc0 .LBB7_600
; %bb.599:
	v_cvt_f32_ubyte0_e32 v1, s12
	v_bfe_u32 v3, v1, 16, 1
	v_add_u32_e32 v1, v1, v3
	v_add_u32_e32 v1, 0x7fff, v1
	global_store_short_d16_hi v[5:6], v1, off
	s_mov_b64 s[0:1], 0
	s_mov_b64 s[6:7], -1
.LBB7_600:
	s_mov_b64 s[8:9], 0
.LBB7_601:
	s_and_b64 vcc, exec, s[8:9]
	s_cbranch_vccz .LBB7_603
; %bb.602:
	s_cmp_lg_u32 s10, 11
	s_mov_b64 s[4:5], -1
	s_cselect_b64 s[0:1], -1, 0
.LBB7_603:
	s_and_b64 vcc, exec, s[0:1]
	s_mov_b64 s[0:1], s[20:21]
	s_cbranch_vccnz .LBB7_675
; %bb.604:
	s_andn2_b64 vcc, exec, s[4:5]
	s_cbranch_vccnz .LBB7_606
.LBB7_605:
	s_and_b32 s4, s12, 0xff
	s_cmp_lg_u32 s4, 0
	s_cselect_b64 s[4:5], -1, 0
	v_cndmask_b32_e64 v1, 0, 1, s[4:5]
	global_store_byte v[5:6], v1, off
	s_mov_b64 s[6:7], -1
.LBB7_606:
	s_branch .LBB7_548
.LBB7_607:
	s_and_b32 s6, 0xffff, s13
	s_cmp_lt_i32 s6, 5
	s_mov_b64 s[4:5], -1
	s_cbranch_scc1 .LBB7_628
; %bb.608:
	s_cmp_lt_i32 s6, 8
	s_cbranch_scc1 .LBB7_618
; %bb.609:
	s_cmp_lt_i32 s6, 9
	s_cbranch_scc1 .LBB7_615
; %bb.610:
	s_cmp_gt_i32 s6, 9
	s_cbranch_scc0 .LBB7_612
; %bb.611:
	s_and_b32 s4, s12, 0xff
	v_cvt_f64_u32_e32 v[7:8], s4
	v_mov_b32_e32 v9, 0
	v_mov_b32_e32 v10, v9
	s_mov_b64 s[4:5], 0
	global_store_dwordx4 v[5:6], v[7:10], off
.LBB7_612:
	s_andn2_b64 vcc, exec, s[4:5]
	s_cbranch_vccnz .LBB7_614
; %bb.613:
	v_cvt_f32_ubyte0_e32 v7, s12
	v_mov_b32_e32 v8, 0
	global_store_dwordx2 v[5:6], v[7:8], off
.LBB7_614:
	s_mov_b64 s[4:5], 0
.LBB7_615:
	s_andn2_b64 vcc, exec, s[4:5]
	s_cbranch_vccnz .LBB7_617
; %bb.616:
	s_and_b32 s4, s12, 0xff
	v_cvt_f16_u16_e32 v1, s4
	global_store_dword v[5:6], v1, off
.LBB7_617:
	s_mov_b64 s[4:5], 0
.LBB7_618:
	s_andn2_b64 vcc, exec, s[4:5]
	s_cbranch_vccnz .LBB7_627
; %bb.619:
	s_cmp_lt_i32 s6, 6
	s_mov_b64 s[4:5], -1
	s_cbranch_scc1 .LBB7_625
; %bb.620:
	s_cmp_gt_i32 s6, 6
	s_cbranch_scc0 .LBB7_622
; %bb.621:
	s_and_b32 s4, s12, 0xff
	v_cvt_f64_u32_e32 v[7:8], s4
	s_mov_b64 s[4:5], 0
	global_store_dwordx2 v[5:6], v[7:8], off
.LBB7_622:
	s_andn2_b64 vcc, exec, s[4:5]
	s_cbranch_vccnz .LBB7_624
; %bb.623:
	v_cvt_f32_ubyte0_e32 v1, s12
	global_store_dword v[5:6], v1, off
.LBB7_624:
	s_mov_b64 s[4:5], 0
.LBB7_625:
	s_andn2_b64 vcc, exec, s[4:5]
	s_cbranch_vccnz .LBB7_627
; %bb.626:
	s_and_b32 s4, s12, 0xff
	v_cvt_f16_u16_e32 v1, s4
	global_store_short v[5:6], v1, off
.LBB7_627:
	s_mov_b64 s[4:5], 0
.LBB7_628:
	s_andn2_b64 vcc, exec, s[4:5]
	s_cbranch_vccnz .LBB7_644
; %bb.629:
	s_cmp_lt_i32 s6, 2
	s_mov_b64 s[4:5], -1
	s_cbranch_scc1 .LBB7_639
; %bb.630:
	s_cmp_lt_i32 s6, 3
	s_cbranch_scc1 .LBB7_636
; %bb.631:
	s_cmp_gt_i32 s6, 3
	s_cbranch_scc0 .LBB7_633
; %bb.632:
	s_and_b32 s4, s12, 0xff
	v_mov_b32_e32 v7, s4
	v_mov_b32_e32 v8, 0
	global_store_dwordx2 v[5:6], v[7:8], off
	s_mov_b64 s[4:5], 0
.LBB7_633:
	s_andn2_b64 vcc, exec, s[4:5]
	s_cbranch_vccnz .LBB7_635
; %bb.634:
	s_and_b32 s4, s12, 0xff
	v_mov_b32_e32 v1, s4
	global_store_dword v[5:6], v1, off
.LBB7_635:
	s_mov_b64 s[4:5], 0
.LBB7_636:
	s_andn2_b64 vcc, exec, s[4:5]
	s_cbranch_vccnz .LBB7_638
; %bb.637:
	s_and_b32 s4, s12, 0xff
	v_mov_b32_e32 v1, s4
	global_store_short v[5:6], v1, off
.LBB7_638:
	s_mov_b64 s[4:5], 0
.LBB7_639:
	s_andn2_b64 vcc, exec, s[4:5]
	s_cbranch_vccnz .LBB7_644
; %bb.640:
	s_cmp_gt_i32 s6, 0
	s_mov_b64 s[4:5], -1
	s_cbranch_scc0 .LBB7_642
; %bb.641:
	v_mov_b32_e32 v1, s12
	global_store_byte v[5:6], v1, off
	s_mov_b64 s[4:5], 0
.LBB7_642:
	s_andn2_b64 vcc, exec, s[4:5]
	s_cbranch_vccnz .LBB7_644
; %bb.643:
	v_mov_b32_e32 v1, s12
	global_store_byte v[5:6], v1, off
.LBB7_644:
.LBB7_645:
	v_mov_b32_e32 v1, s3
	s_and_b32 s14, 0xffff, s13
	v_add_co_u32_e32 v3, vcc, s2, v4
	s_cmp_lt_i32 s14, 11
	v_addc_co_u32_e32 v4, vcc, 0, v1, vcc
	s_cbranch_scc1 .LBB7_673
; %bb.646:
	s_mov_b64 s[10:11], -1
	s_mov_b64 s[6:7], 0
	s_cmp_gt_i32 s14, 25
	s_mov_b64 s[8:9], 0
	s_mov_b64 s[4:5], 0
	s_cbranch_scc0 .LBB7_684
; %bb.647:
	s_cmp_gt_i32 s14, 28
	s_cbranch_scc0 .LBB7_662
; %bb.648:
	s_cmp_gt_i32 s14, 43
	;; [unrolled: 3-line block ×3, first 2 shown]
	s_cbranch_scc0 .LBB7_652
; %bb.650:
	s_mov_b64 s[4:5], -1
	s_mov_b64 s[10:11], 0
	s_cmp_eq_u32 s14, 46
	s_cbranch_scc0 .LBB7_652
; %bb.651:
	v_cvt_f32_ubyte0_e32 v1, s12
	v_bfe_u32 v5, v1, 16, 1
	v_add_u32_e32 v1, v1, v5
	v_add_u32_e32 v1, 0x7fff, v1
	v_lshrrev_b32_e32 v1, 16, v1
	global_store_dword v[3:4], v1, off
	s_mov_b64 s[4:5], 0
	s_mov_b64 s[8:9], -1
.LBB7_652:
	s_and_b64 vcc, exec, s[10:11]
	s_cbranch_vccz .LBB7_657
; %bb.653:
	s_cmp_eq_u32 s14, 44
	s_mov_b64 s[4:5], -1
	s_cbranch_scc0 .LBB7_657
; %bb.654:
	v_cvt_f32_ubyte0_e32 v1, s12
	v_readfirstlane_b32 s5, v1
	s_lshr_b32 s4, s5, 23
	s_cmpk_eq_i32 s4, 0xff
	v_mov_b32_e32 v1, 0xff
	s_cbranch_scc1 .LBB7_656
; %bb.655:
	s_bitcmp1_b32 s5, 22
	s_cselect_b64 s[8:9], -1, 0
	s_and_b32 s5, s5, 0x3fffff
	s_or_b32 s5, s4, s5
	s_cmp_lg_u32 s5, 0
	s_cselect_b64 s[10:11], -1, 0
	s_and_b64 s[8:9], s[8:9], s[10:11]
	v_cndmask_b32_e64 v1, 0, 1, s[8:9]
	v_add_u32_e32 v1, s4, v1
.LBB7_656:
	s_mov_b64 s[4:5], 0
	s_mov_b64 s[8:9], -1
	global_store_byte v[3:4], v1, off
.LBB7_657:
	s_mov_b64 s[10:11], 0
.LBB7_658:
	s_and_b64 vcc, exec, s[10:11]
	s_cbranch_vccz .LBB7_661
; %bb.659:
	s_cmp_eq_u32 s14, 29
	s_mov_b64 s[4:5], -1
	s_cbranch_scc0 .LBB7_661
; %bb.660:
	s_and_b32 s4, s12, 0xff
	v_mov_b32_e32 v5, s4
	v_mov_b32_e32 v6, 0
	global_store_dwordx2 v[3:4], v[5:6], off
	s_mov_b64 s[4:5], 0
	s_mov_b64 s[8:9], -1
.LBB7_661:
	s_mov_b64 s[10:11], 0
.LBB7_662:
	s_and_b64 vcc, exec, s[10:11]
	s_cbranch_vccz .LBB7_683
; %bb.663:
	s_cmp_lt_i32 s14, 27
	s_mov_b64 s[8:9], -1
	s_cbranch_scc1 .LBB7_669
; %bb.664:
	s_cmp_gt_i32 s14, 27
	s_cbranch_scc0 .LBB7_666
; %bb.665:
	s_and_b32 s8, s12, 0xff
	v_mov_b32_e32 v1, s8
	s_mov_b64 s[8:9], 0
	global_store_dword v[3:4], v1, off
.LBB7_666:
	s_andn2_b64 vcc, exec, s[8:9]
	s_cbranch_vccnz .LBB7_668
; %bb.667:
	s_and_b32 s8, s12, 0xff
	v_mov_b32_e32 v1, s8
	global_store_short v[3:4], v1, off
.LBB7_668:
	s_mov_b64 s[8:9], 0
.LBB7_669:
	s_andn2_b64 vcc, exec, s[8:9]
	s_cbranch_vccnz .LBB7_682
; %bb.670:
	v_cvt_f32_ubyte0_e32 v1, s12
	s_mov_b32 s9, 0x437fffff
	v_cmp_lt_u32_e32 vcc, s9, v1
	v_readfirstlane_b32 s8, v1
	v_mov_b32_e32 v6, 0x80
	s_cbranch_vccnz .LBB7_681
; %bb.671:
	s_cmp_gt_u32 s8, 0x3bffffff
	s_cbranch_scc0 .LBB7_676
; %bb.672:
	s_bfe_u32 s9, s8, 0x10014
	s_add_i32 s8, s8, s9
	s_add_i32 s8, s8, 0x487ffff
	s_lshr_b32 s15, s8, 20
	s_mov_b64 s[10:11], 0
	s_mov_b64 s[8:9], -1
	s_branch .LBB7_677
.LBB7_673:
	s_mov_b64 s[8:9], 0
	s_cbranch_execnz .LBB7_734
.LBB7_674:
	s_andn2_b64 vcc, exec, s[8:9]
	s_cbranch_vccz .LBB7_772
	s_branch .LBB7_943
.LBB7_675:
	s_or_b64 s[0:1], s[20:21], exec
	s_trap 2
	s_cbranch_execz .LBB7_605
	s_branch .LBB7_606
.LBB7_676:
	s_mov_b64 s[10:11], -1
	s_mov_b64 s[8:9], 0
                                        ; implicit-def: $sgpr15
.LBB7_677:
	s_andn2_b64 vcc, exec, s[10:11]
	v_mov_b32_e32 v5, s15
	s_cbranch_vccnz .LBB7_679
; %bb.678:
	v_add_f32_e32 v1, 0x46000000, v1
	v_and_b32_e32 v5, 0xff, v1
	v_cmp_ne_u32_e64 s[8:9], 0, v5
.LBB7_679:
	s_andn2_b64 vcc, exec, s[8:9]
	v_mov_b32_e32 v6, 0
	s_cbranch_vccnz .LBB7_681
; %bb.680:
	v_mov_b32_e32 v6, v5
.LBB7_681:
	global_store_byte v[3:4], v6, off
.LBB7_682:
	s_mov_b64 s[8:9], -1
.LBB7_683:
	s_mov_b64 s[10:11], 0
.LBB7_684:
	s_and_b64 vcc, exec, s[10:11]
	s_cbranch_vccz .LBB7_730
; %bb.685:
	s_cmp_gt_i32 s14, 22
	s_mov_b64 s[6:7], -1
	s_cbranch_scc0 .LBB7_723
; %bb.686:
	s_cmp_lt_i32 s14, 24
	s_cbranch_scc1 .LBB7_710
; %bb.687:
	s_cmp_gt_i32 s14, 24
	s_cbranch_scc0 .LBB7_697
; %bb.688:
	v_cvt_f32_ubyte0_e32 v1, s12
	s_mov_b32 s7, 0x477fffff
	v_cmp_lt_u32_e32 vcc, s7, v1
	v_readfirstlane_b32 s6, v1
	v_mov_b32_e32 v6, 0x80
	s_cbranch_vccnz .LBB7_696
; %bb.689:
	s_cmp_gt_u32 s6, 0x37ffffff
	s_cbranch_scc0 .LBB7_691
; %bb.690:
	s_bfe_u32 s7, s6, 0x10015
	s_add_i32 s6, s6, s7
	s_add_i32 s6, s6, 0x88fffff
	s_lshr_b32 s10, s6, 21
	s_mov_b64 s[8:9], 0
	s_mov_b64 s[6:7], -1
	s_branch .LBB7_692
.LBB7_691:
	s_mov_b64 s[8:9], -1
	s_mov_b64 s[6:7], 0
                                        ; implicit-def: $sgpr10
.LBB7_692:
	s_andn2_b64 vcc, exec, s[8:9]
	v_mov_b32_e32 v5, s10
	s_cbranch_vccnz .LBB7_694
; %bb.693:
	v_add_f32_e32 v1, 0x42800000, v1
	v_and_b32_e32 v5, 0xff, v1
	v_cmp_ne_u32_e64 s[6:7], 0, v5
.LBB7_694:
	s_andn2_b64 vcc, exec, s[6:7]
	v_mov_b32_e32 v6, 0
	s_cbranch_vccnz .LBB7_696
; %bb.695:
	v_mov_b32_e32 v6, v5
.LBB7_696:
	s_mov_b64 s[6:7], 0
	global_store_byte v[3:4], v6, off
.LBB7_697:
	s_and_b64 vcc, exec, s[6:7]
	s_cbranch_vccz .LBB7_709
; %bb.698:
	v_cvt_f32_ubyte0_e32 v1, s12
	s_mov_b32 s6, 0x43f00000
	v_cmp_gt_u32_e32 vcc, s6, v1
	v_readfirstlane_b32 s8, v1
	s_cbranch_vccz .LBB7_701
; %bb.699:
	s_cmp_gt_u32 s8, 0x3c7fffff
	s_cbranch_scc0 .LBB7_702
; %bb.700:
	s_bfe_u32 s6, s8, 0x10014
	s_add_i32 s6, s8, s6
	s_add_i32 s6, s6, 0x407ffff
	s_lshr_b32 s7, s6, 20
	s_and_b32 s6, s6, 0xff00000
	s_cmp_lg_u32 s6, 0x7f00000
	s_cselect_b32 s9, s7, 0x7e
	s_mov_b64 s[6:7], 0
	s_branch .LBB7_703
.LBB7_701:
	s_mov_b64 s[6:7], -1
                                        ; implicit-def: $vgpr5
	s_branch .LBB7_706
.LBB7_702:
	s_mov_b64 s[6:7], -1
                                        ; implicit-def: $sgpr9
.LBB7_703:
	s_andn2_b64 vcc, exec, s[6:7]
	v_mov_b32_e32 v5, s9
	s_cbranch_vccnz .LBB7_705
; %bb.704:
	v_add_f32_e32 v5, 0x46800000, v1
.LBB7_705:
	s_mov_b64 s[6:7], 0
.LBB7_706:
	s_andn2_b64 vcc, exec, s[6:7]
	s_cbranch_vccnz .LBB7_708
; %bb.707:
	s_cmp_gt_u32 s8, 0x7f800000
	s_movk_i32 s6, 0x7f
	s_cselect_b32 s6, s6, 0x7e
	v_mov_b32_e32 v5, s6
.LBB7_708:
	global_store_byte v[3:4], v5, off
.LBB7_709:
	s_mov_b64 s[6:7], 0
.LBB7_710:
	s_andn2_b64 vcc, exec, s[6:7]
	s_cbranch_vccnz .LBB7_722
; %bb.711:
	v_cvt_f32_ubyte0_e32 v1, s12
	s_mov_b32 s6, 0x47800000
	v_cmp_gt_u32_e32 vcc, s6, v1
	v_readfirstlane_b32 s8, v1
	s_cbranch_vccz .LBB7_714
; %bb.712:
	s_cmp_gt_u32 s8, 0x387fffff
	s_cbranch_scc0 .LBB7_715
; %bb.713:
	s_bfe_u32 s6, s8, 0x10015
	s_add_i32 s6, s8, s6
	s_add_i32 s6, s6, 0x80fffff
	s_lshr_b32 s9, s6, 21
	s_mov_b64 s[6:7], 0
	s_branch .LBB7_716
.LBB7_714:
	s_mov_b64 s[6:7], -1
                                        ; implicit-def: $vgpr5
	s_branch .LBB7_719
.LBB7_715:
	s_mov_b64 s[6:7], -1
                                        ; implicit-def: $sgpr9
.LBB7_716:
	s_andn2_b64 vcc, exec, s[6:7]
	v_mov_b32_e32 v5, s9
	s_cbranch_vccnz .LBB7_718
; %bb.717:
	v_add_f32_e32 v5, 0x43000000, v1
.LBB7_718:
	s_mov_b64 s[6:7], 0
.LBB7_719:
	s_andn2_b64 vcc, exec, s[6:7]
	s_cbranch_vccnz .LBB7_721
; %bb.720:
	s_cmp_gt_u32 s8, 0x7f800000
	s_movk_i32 s6, 0x7f
	s_cselect_b32 s6, s6, 0x7c
	v_mov_b32_e32 v5, s6
.LBB7_721:
	global_store_byte v[3:4], v5, off
.LBB7_722:
	s_mov_b64 s[6:7], 0
	s_mov_b64 s[8:9], -1
.LBB7_723:
	s_andn2_b64 vcc, exec, s[6:7]
	s_mov_b64 s[6:7], 0
	s_cbranch_vccnz .LBB7_730
; %bb.724:
	s_cmp_gt_i32 s14, 14
	s_mov_b64 s[10:11], -1
	s_cbranch_scc0 .LBB7_728
; %bb.725:
	s_cmp_eq_u32 s14, 15
	s_mov_b64 s[4:5], -1
	s_cbranch_scc0 .LBB7_727
; %bb.726:
	v_cvt_f32_ubyte0_e32 v1, s12
	v_bfe_u32 v5, v1, 16, 1
	v_add_u32_e32 v1, v1, v5
	v_add_u32_e32 v1, 0x7fff, v1
	global_store_short_d16_hi v[3:4], v1, off
	s_mov_b64 s[4:5], 0
	s_mov_b64 s[8:9], -1
.LBB7_727:
	s_mov_b64 s[10:11], 0
.LBB7_728:
	s_and_b64 vcc, exec, s[10:11]
	s_cbranch_vccz .LBB7_730
; %bb.729:
	s_cmp_lg_u32 s14, 11
	s_mov_b64 s[6:7], -1
	s_cselect_b64 s[4:5], -1, 0
.LBB7_730:
	s_and_b64 vcc, exec, s[4:5]
	s_cbranch_vccnz .LBB7_832
; %bb.731:
	s_andn2_b64 vcc, exec, s[6:7]
	s_cbranch_vccnz .LBB7_733
.LBB7_732:
	s_and_b32 s4, s12, 0xff
	s_cmp_lg_u32 s4, 0
	s_cselect_b64 s[4:5], -1, 0
	v_cndmask_b32_e64 v1, 0, 1, s[4:5]
	s_mov_b64 s[8:9], -1
	global_store_byte v[3:4], v1, off
.LBB7_733:
	s_branch .LBB7_674
.LBB7_734:
	s_cmp_lt_i32 s14, 5
	s_mov_b64 s[4:5], -1
	s_cbranch_scc1 .LBB7_755
; %bb.735:
	s_cmp_lt_i32 s14, 8
	s_cbranch_scc1 .LBB7_745
; %bb.736:
	s_cmp_lt_i32 s14, 9
	s_cbranch_scc1 .LBB7_742
; %bb.737:
	s_cmp_gt_i32 s14, 9
	s_cbranch_scc0 .LBB7_739
; %bb.738:
	s_and_b32 s4, s12, 0xff
	v_cvt_f64_u32_e32 v[5:6], s4
	v_mov_b32_e32 v7, 0
	v_mov_b32_e32 v8, v7
	s_mov_b64 s[4:5], 0
	global_store_dwordx4 v[3:4], v[5:8], off
.LBB7_739:
	s_andn2_b64 vcc, exec, s[4:5]
	s_cbranch_vccnz .LBB7_741
; %bb.740:
	v_cvt_f32_ubyte0_e32 v5, s12
	v_mov_b32_e32 v6, 0
	global_store_dwordx2 v[3:4], v[5:6], off
.LBB7_741:
	s_mov_b64 s[4:5], 0
.LBB7_742:
	s_andn2_b64 vcc, exec, s[4:5]
	s_cbranch_vccnz .LBB7_744
; %bb.743:
	s_and_b32 s4, s12, 0xff
	v_cvt_f16_u16_e32 v1, s4
	global_store_dword v[3:4], v1, off
.LBB7_744:
	s_mov_b64 s[4:5], 0
.LBB7_745:
	s_andn2_b64 vcc, exec, s[4:5]
	s_cbranch_vccnz .LBB7_754
; %bb.746:
	s_cmp_lt_i32 s14, 6
	s_mov_b64 s[4:5], -1
	s_cbranch_scc1 .LBB7_752
; %bb.747:
	s_cmp_gt_i32 s14, 6
	s_cbranch_scc0 .LBB7_749
; %bb.748:
	s_and_b32 s4, s12, 0xff
	v_cvt_f64_u32_e32 v[5:6], s4
	s_mov_b64 s[4:5], 0
	global_store_dwordx2 v[3:4], v[5:6], off
.LBB7_749:
	s_andn2_b64 vcc, exec, s[4:5]
	s_cbranch_vccnz .LBB7_751
; %bb.750:
	v_cvt_f32_ubyte0_e32 v1, s12
	global_store_dword v[3:4], v1, off
.LBB7_751:
	s_mov_b64 s[4:5], 0
.LBB7_752:
	s_andn2_b64 vcc, exec, s[4:5]
	s_cbranch_vccnz .LBB7_754
; %bb.753:
	s_and_b32 s4, s12, 0xff
	v_cvt_f16_u16_e32 v1, s4
	global_store_short v[3:4], v1, off
.LBB7_754:
	s_mov_b64 s[4:5], 0
.LBB7_755:
	s_andn2_b64 vcc, exec, s[4:5]
	s_cbranch_vccnz .LBB7_771
; %bb.756:
	s_cmp_lt_i32 s14, 2
	s_mov_b64 s[4:5], -1
	s_cbranch_scc1 .LBB7_766
; %bb.757:
	s_cmp_lt_i32 s14, 3
	s_cbranch_scc1 .LBB7_763
; %bb.758:
	s_cmp_gt_i32 s14, 3
	s_cbranch_scc0 .LBB7_760
; %bb.759:
	s_and_b32 s4, s12, 0xff
	v_mov_b32_e32 v5, s4
	v_mov_b32_e32 v6, 0
	global_store_dwordx2 v[3:4], v[5:6], off
	s_mov_b64 s[4:5], 0
.LBB7_760:
	s_andn2_b64 vcc, exec, s[4:5]
	s_cbranch_vccnz .LBB7_762
; %bb.761:
	s_and_b32 s4, s12, 0xff
	v_mov_b32_e32 v1, s4
	global_store_dword v[3:4], v1, off
.LBB7_762:
	s_mov_b64 s[4:5], 0
.LBB7_763:
	s_andn2_b64 vcc, exec, s[4:5]
	s_cbranch_vccnz .LBB7_765
; %bb.764:
	s_and_b32 s4, s12, 0xff
	v_mov_b32_e32 v1, s4
	global_store_short v[3:4], v1, off
.LBB7_765:
	s_mov_b64 s[4:5], 0
.LBB7_766:
	s_andn2_b64 vcc, exec, s[4:5]
	s_cbranch_vccnz .LBB7_771
; %bb.767:
	s_cmp_gt_i32 s14, 0
	s_mov_b64 s[4:5], -1
	s_cbranch_scc0 .LBB7_769
; %bb.768:
	v_mov_b32_e32 v1, s12
	global_store_byte v[3:4], v1, off
	s_mov_b64 s[4:5], 0
.LBB7_769:
	s_andn2_b64 vcc, exec, s[4:5]
	s_cbranch_vccnz .LBB7_771
; %bb.770:
	v_mov_b32_e32 v1, s12
	global_store_byte v[3:4], v1, off
.LBB7_771:
.LBB7_772:
	v_mov_b32_e32 v3, s3
	v_add_co_u32_e32 v1, vcc, s2, v2
	s_cmp_lt_i32 s14, 11
	v_addc_co_u32_e32 v2, vcc, 0, v3, vcc
	s_cbranch_scc1 .LBB7_800
; %bb.773:
	s_mov_b64 s[10:11], -1
	s_mov_b64 s[6:7], 0
	s_cmp_gt_i32 s14, 25
	s_mov_b64 s[8:9], 0
	s_mov_b64 s[4:5], 0
	s_cbranch_scc0 .LBB7_841
; %bb.774:
	s_cmp_gt_i32 s14, 28
	s_cbranch_scc0 .LBB7_789
; %bb.775:
	s_cmp_gt_i32 s14, 43
	;; [unrolled: 3-line block ×3, first 2 shown]
	s_cbranch_scc0 .LBB7_779
; %bb.777:
	s_mov_b64 s[4:5], -1
	s_mov_b64 s[10:11], 0
	s_cmp_eq_u32 s14, 46
	s_cbranch_scc0 .LBB7_779
; %bb.778:
	v_cvt_f32_ubyte0_e32 v3, s12
	v_bfe_u32 v4, v3, 16, 1
	v_add_u32_e32 v3, v3, v4
	v_add_u32_e32 v3, 0x7fff, v3
	v_lshrrev_b32_e32 v3, 16, v3
	global_store_dword v[1:2], v3, off
	s_mov_b64 s[4:5], 0
	s_mov_b64 s[8:9], -1
.LBB7_779:
	s_and_b64 vcc, exec, s[10:11]
	s_cbranch_vccz .LBB7_784
; %bb.780:
	s_cmp_eq_u32 s14, 44
	s_mov_b64 s[4:5], -1
	s_cbranch_scc0 .LBB7_784
; %bb.781:
	v_cvt_f32_ubyte0_e32 v3, s12
	v_readfirstlane_b32 s5, v3
	s_lshr_b32 s4, s5, 23
	s_cmpk_eq_i32 s4, 0xff
	v_mov_b32_e32 v3, 0xff
	s_cbranch_scc1 .LBB7_783
; %bb.782:
	s_bitcmp1_b32 s5, 22
	s_cselect_b64 s[8:9], -1, 0
	s_and_b32 s5, s5, 0x3fffff
	s_or_b32 s5, s4, s5
	s_cmp_lg_u32 s5, 0
	s_cselect_b64 s[10:11], -1, 0
	s_and_b64 s[8:9], s[8:9], s[10:11]
	v_cndmask_b32_e64 v3, 0, 1, s[8:9]
	v_add_u32_e32 v3, s4, v3
.LBB7_783:
	s_mov_b64 s[4:5], 0
	s_mov_b64 s[8:9], -1
	global_store_byte v[1:2], v3, off
.LBB7_784:
	s_mov_b64 s[10:11], 0
.LBB7_785:
	s_and_b64 vcc, exec, s[10:11]
	s_cbranch_vccz .LBB7_788
; %bb.786:
	s_cmp_eq_u32 s14, 29
	s_mov_b64 s[4:5], -1
	s_cbranch_scc0 .LBB7_788
; %bb.787:
	s_and_b32 s4, s12, 0xff
	v_mov_b32_e32 v3, s4
	v_mov_b32_e32 v4, 0
	global_store_dwordx2 v[1:2], v[3:4], off
	s_mov_b64 s[4:5], 0
	s_mov_b64 s[8:9], -1
.LBB7_788:
	s_mov_b64 s[10:11], 0
.LBB7_789:
	s_and_b64 vcc, exec, s[10:11]
	s_cbranch_vccz .LBB7_840
; %bb.790:
	s_cmp_lt_i32 s14, 27
	s_mov_b64 s[8:9], -1
	s_cbranch_scc1 .LBB7_796
; %bb.791:
	s_cmp_gt_i32 s14, 27
	s_cbranch_scc0 .LBB7_793
; %bb.792:
	s_and_b32 s8, s12, 0xff
	v_mov_b32_e32 v3, s8
	s_mov_b64 s[8:9], 0
	global_store_dword v[1:2], v3, off
.LBB7_793:
	s_andn2_b64 vcc, exec, s[8:9]
	s_cbranch_vccnz .LBB7_795
; %bb.794:
	s_and_b32 s8, s12, 0xff
	v_mov_b32_e32 v3, s8
	global_store_short v[1:2], v3, off
.LBB7_795:
	s_mov_b64 s[8:9], 0
.LBB7_796:
	s_andn2_b64 vcc, exec, s[8:9]
	s_cbranch_vccnz .LBB7_839
; %bb.797:
	v_cvt_f32_ubyte0_e32 v3, s12
	s_mov_b32 s9, 0x437fffff
	v_cmp_lt_u32_e32 vcc, s9, v3
	v_readfirstlane_b32 s8, v3
	v_mov_b32_e32 v5, 0x80
	s_cbranch_vccnz .LBB7_838
; %bb.798:
	s_cmp_gt_u32 s8, 0x3bffffff
	s_cbranch_scc0 .LBB7_833
; %bb.799:
	s_bfe_u32 s9, s8, 0x10014
	s_add_i32 s8, s8, s9
	s_add_i32 s8, s8, 0x487ffff
	s_lshr_b32 s15, s8, 20
	s_mov_b64 s[10:11], 0
	s_mov_b64 s[8:9], -1
	s_branch .LBB7_834
.LBB7_800:
	s_mov_b64 s[8:9], 0
	s_cbranch_execnz .LBB7_905
.LBB7_801:
	s_andn2_b64 vcc, exec, s[8:9]
	s_cbranch_vccnz .LBB7_943
.LBB7_802:
	v_mov_b32_e32 v1, s3
	v_add_co_u32_e32 v0, vcc, s2, v0
	s_cmp_lt_i32 s14, 11
	v_addc_co_u32_e32 v1, vcc, 0, v1, vcc
	s_cbranch_scc1 .LBB7_831
; %bb.803:
	s_mov_b64 s[6:7], -1
	s_mov_b64 s[4:5], 0
	s_cmp_gt_i32 s14, 25
	s_mov_b64 s[2:3], 0
	s_cbranch_scc0 .LBB7_855
; %bb.804:
	s_cmp_gt_i32 s14, 28
	s_cbranch_scc0 .LBB7_820
; %bb.805:
	s_cmp_gt_i32 s14, 43
	;; [unrolled: 3-line block ×3, first 2 shown]
	s_cbranch_scc0 .LBB7_810
; %bb.807:
	s_cmp_eq_u32 s14, 46
	s_mov_b64 s[2:3], -1
	s_cbranch_scc0 .LBB7_809
; %bb.808:
	v_cvt_f32_ubyte0_e32 v2, s12
	v_bfe_u32 v3, v2, 16, 1
	v_add_u32_e32 v2, v2, v3
	v_add_u32_e32 v2, 0x7fff, v2
	v_lshrrev_b32_e32 v2, 16, v2
	global_store_dword v[0:1], v2, off
	s_mov_b64 s[2:3], 0
.LBB7_809:
	s_mov_b64 s[6:7], 0
.LBB7_810:
	s_and_b64 vcc, exec, s[6:7]
	s_cbranch_vccz .LBB7_815
; %bb.811:
	s_cmp_eq_u32 s14, 44
	s_mov_b64 s[2:3], -1
	s_cbranch_scc0 .LBB7_815
; %bb.812:
	v_cvt_f32_ubyte0_e32 v2, s12
	v_readfirstlane_b32 s3, v2
	s_lshr_b32 s2, s3, 23
	s_cmpk_eq_i32 s2, 0xff
	v_mov_b32_e32 v2, 0xff
	s_cbranch_scc1 .LBB7_814
; %bb.813:
	s_bitcmp1_b32 s3, 22
	s_cselect_b64 s[6:7], -1, 0
	s_and_b32 s3, s3, 0x3fffff
	s_or_b32 s3, s2, s3
	s_cmp_lg_u32 s3, 0
	s_cselect_b64 s[8:9], -1, 0
	s_and_b64 s[6:7], s[6:7], s[8:9]
	v_cndmask_b32_e64 v2, 0, 1, s[6:7]
	v_add_u32_e32 v2, s2, v2
.LBB7_814:
	s_mov_b64 s[2:3], 0
	global_store_byte v[0:1], v2, off
.LBB7_815:
	s_mov_b64 s[6:7], 0
.LBB7_816:
	s_and_b64 vcc, exec, s[6:7]
	s_cbranch_vccz .LBB7_819
; %bb.817:
	s_cmp_eq_u32 s14, 29
	s_mov_b64 s[2:3], -1
	s_cbranch_scc0 .LBB7_819
; %bb.818:
	s_and_b32 s2, s12, 0xff
	v_mov_b32_e32 v2, s2
	v_mov_b32_e32 v3, 0
	global_store_dwordx2 v[0:1], v[2:3], off
	s_mov_b64 s[2:3], 0
.LBB7_819:
	s_mov_b64 s[6:7], 0
.LBB7_820:
	s_and_b64 vcc, exec, s[6:7]
	s_cbranch_vccz .LBB7_854
; %bb.821:
	s_cmp_lt_i32 s14, 27
	s_mov_b64 s[6:7], -1
	s_cbranch_scc1 .LBB7_827
; %bb.822:
	s_cmp_gt_i32 s14, 27
	s_cbranch_scc0 .LBB7_824
; %bb.823:
	s_and_b32 s6, s12, 0xff
	v_mov_b32_e32 v2, s6
	global_store_dword v[0:1], v2, off
	s_mov_b64 s[6:7], 0
.LBB7_824:
	s_andn2_b64 vcc, exec, s[6:7]
	s_cbranch_vccnz .LBB7_826
; %bb.825:
	s_and_b32 s6, s12, 0xff
	v_mov_b32_e32 v2, s6
	global_store_short v[0:1], v2, off
.LBB7_826:
	s_mov_b64 s[6:7], 0
.LBB7_827:
	s_andn2_b64 vcc, exec, s[6:7]
	s_cbranch_vccnz .LBB7_854
; %bb.828:
	v_cvt_f32_ubyte0_e32 v2, s12
	s_mov_b32 s7, 0x437fffff
	v_cmp_lt_u32_e32 vcc, s7, v2
	v_readfirstlane_b32 s6, v2
	v_mov_b32_e32 v4, 0x80
	s_cbranch_vccnz .LBB7_853
; %bb.829:
	s_cmp_gt_u32 s6, 0x3bffffff
	s_cbranch_scc0 .LBB7_848
; %bb.830:
	s_bfe_u32 s7, s6, 0x10014
	s_add_i32 s6, s6, s7
	s_add_i32 s6, s6, 0x487ffff
	s_lshr_b32 s10, s6, 20
	s_mov_b64 s[8:9], 0
	s_mov_b64 s[6:7], -1
	s_branch .LBB7_849
.LBB7_831:
	s_mov_b64 s[4:5], 0
	s_mov_b64 s[2:3], -1
	s_branch .LBB7_944
.LBB7_832:
	s_trap 2
	s_or_b64 s[0:1], s[0:1], exec
	s_cbranch_execz .LBB7_732
	s_branch .LBB7_733
.LBB7_833:
	s_mov_b64 s[10:11], -1
	s_mov_b64 s[8:9], 0
                                        ; implicit-def: $sgpr15
.LBB7_834:
	s_andn2_b64 vcc, exec, s[10:11]
	v_mov_b32_e32 v4, s15
	s_cbranch_vccnz .LBB7_836
; %bb.835:
	v_add_f32_e32 v3, 0x46000000, v3
	v_and_b32_e32 v4, 0xff, v3
	v_cmp_ne_u32_e64 s[8:9], 0, v4
.LBB7_836:
	s_andn2_b64 vcc, exec, s[8:9]
	v_mov_b32_e32 v5, 0
	s_cbranch_vccnz .LBB7_838
; %bb.837:
	v_mov_b32_e32 v5, v4
.LBB7_838:
	global_store_byte v[1:2], v5, off
.LBB7_839:
	s_mov_b64 s[8:9], -1
.LBB7_840:
	s_mov_b64 s[10:11], 0
.LBB7_841:
	s_and_b64 vcc, exec, s[10:11]
	s_cbranch_vccz .LBB7_901
; %bb.842:
	s_cmp_gt_i32 s14, 22
	s_mov_b64 s[6:7], -1
	s_cbranch_scc0 .LBB7_894
; %bb.843:
	s_cmp_lt_i32 s14, 24
	s_cbranch_scc1 .LBB7_881
; %bb.844:
	s_cmp_gt_i32 s14, 24
	s_cbranch_scc0 .LBB7_868
; %bb.845:
	v_cvt_f32_ubyte0_e32 v3, s12
	s_mov_b32 s7, 0x477fffff
	v_cmp_lt_u32_e32 vcc, s7, v3
	v_readfirstlane_b32 s6, v3
	v_mov_b32_e32 v5, 0x80
	s_cbranch_vccnz .LBB7_867
; %bb.846:
	s_cmp_gt_u32 s6, 0x37ffffff
	s_cbranch_scc0 .LBB7_862
; %bb.847:
	s_bfe_u32 s7, s6, 0x10015
	s_add_i32 s6, s6, s7
	s_add_i32 s6, s6, 0x88fffff
	s_lshr_b32 s10, s6, 21
	s_mov_b64 s[8:9], 0
	s_mov_b64 s[6:7], -1
	s_branch .LBB7_863
.LBB7_848:
	s_mov_b64 s[8:9], -1
	s_mov_b64 s[6:7], 0
                                        ; implicit-def: $sgpr10
.LBB7_849:
	s_andn2_b64 vcc, exec, s[8:9]
	v_mov_b32_e32 v3, s10
	s_cbranch_vccnz .LBB7_851
; %bb.850:
	v_add_f32_e32 v2, 0x46000000, v2
	v_and_b32_e32 v3, 0xff, v2
	v_cmp_ne_u32_e64 s[6:7], 0, v3
.LBB7_851:
	s_andn2_b64 vcc, exec, s[6:7]
	v_mov_b32_e32 v4, 0
	s_cbranch_vccnz .LBB7_853
; %bb.852:
	v_mov_b32_e32 v4, v3
.LBB7_853:
	global_store_byte v[0:1], v4, off
.LBB7_854:
	s_mov_b64 s[6:7], 0
.LBB7_855:
	s_and_b64 vcc, exec, s[6:7]
	s_cbranch_vccz .LBB7_1028
; %bb.856:
	s_cmp_gt_i32 s14, 22
	s_mov_b64 s[4:5], -1
	s_cbranch_scc0 .LBB7_1021
; %bb.857:
	s_cmp_lt_i32 s14, 24
	s_cbranch_scc1 .LBB7_1008
; %bb.858:
	s_cmp_gt_i32 s14, 24
	s_cbranch_scc0 .LBB7_995
; %bb.859:
	v_cvt_f32_ubyte0_e32 v2, s12
	s_mov_b32 s5, 0x477fffff
	v_cmp_lt_u32_e32 vcc, s5, v2
	v_readfirstlane_b32 s4, v2
	v_mov_b32_e32 v4, 0x80
	s_cbranch_vccnz .LBB7_994
; %bb.860:
	s_cmp_gt_u32 s4, 0x37ffffff
	s_cbranch_scc0 .LBB7_989
; %bb.861:
	s_bfe_u32 s5, s4, 0x10015
	s_add_i32 s4, s4, s5
	s_add_i32 s4, s4, 0x88fffff
	s_lshr_b32 s8, s4, 21
	s_mov_b64 s[6:7], 0
	s_mov_b64 s[4:5], -1
	s_branch .LBB7_990
.LBB7_862:
	s_mov_b64 s[8:9], -1
	s_mov_b64 s[6:7], 0
                                        ; implicit-def: $sgpr10
.LBB7_863:
	s_andn2_b64 vcc, exec, s[8:9]
	v_mov_b32_e32 v4, s10
	s_cbranch_vccnz .LBB7_865
; %bb.864:
	v_add_f32_e32 v3, 0x42800000, v3
	v_and_b32_e32 v4, 0xff, v3
	v_cmp_ne_u32_e64 s[6:7], 0, v4
.LBB7_865:
	s_andn2_b64 vcc, exec, s[6:7]
	v_mov_b32_e32 v5, 0
	s_cbranch_vccnz .LBB7_867
; %bb.866:
	v_mov_b32_e32 v5, v4
.LBB7_867:
	s_mov_b64 s[6:7], 0
	global_store_byte v[1:2], v5, off
.LBB7_868:
	s_and_b64 vcc, exec, s[6:7]
	s_cbranch_vccz .LBB7_880
; %bb.869:
	v_cvt_f32_ubyte0_e32 v3, s12
	s_mov_b32 s6, 0x43f00000
	v_cmp_gt_u32_e32 vcc, s6, v3
	v_readfirstlane_b32 s8, v3
	s_cbranch_vccz .LBB7_872
; %bb.870:
	s_cmp_gt_u32 s8, 0x3c7fffff
	s_cbranch_scc0 .LBB7_873
; %bb.871:
	s_bfe_u32 s6, s8, 0x10014
	s_add_i32 s6, s8, s6
	s_add_i32 s6, s6, 0x407ffff
	s_lshr_b32 s7, s6, 20
	s_and_b32 s6, s6, 0xff00000
	s_cmp_lg_u32 s6, 0x7f00000
	s_cselect_b32 s9, s7, 0x7e
	s_mov_b64 s[6:7], 0
	s_branch .LBB7_874
.LBB7_872:
	s_mov_b64 s[6:7], -1
                                        ; implicit-def: $vgpr4
	s_branch .LBB7_877
.LBB7_873:
	s_mov_b64 s[6:7], -1
                                        ; implicit-def: $sgpr9
.LBB7_874:
	s_andn2_b64 vcc, exec, s[6:7]
	v_mov_b32_e32 v4, s9
	s_cbranch_vccnz .LBB7_876
; %bb.875:
	v_add_f32_e32 v4, 0x46800000, v3
.LBB7_876:
	s_mov_b64 s[6:7], 0
.LBB7_877:
	s_andn2_b64 vcc, exec, s[6:7]
	s_cbranch_vccnz .LBB7_879
; %bb.878:
	s_cmp_gt_u32 s8, 0x7f800000
	s_movk_i32 s6, 0x7f
	s_cselect_b32 s6, s6, 0x7e
	v_mov_b32_e32 v4, s6
.LBB7_879:
	global_store_byte v[1:2], v4, off
.LBB7_880:
	s_mov_b64 s[6:7], 0
.LBB7_881:
	s_andn2_b64 vcc, exec, s[6:7]
	s_cbranch_vccnz .LBB7_893
; %bb.882:
	v_cvt_f32_ubyte0_e32 v3, s12
	s_mov_b32 s6, 0x47800000
	v_cmp_gt_u32_e32 vcc, s6, v3
	v_readfirstlane_b32 s8, v3
	s_cbranch_vccz .LBB7_885
; %bb.883:
	s_cmp_gt_u32 s8, 0x387fffff
	s_cbranch_scc0 .LBB7_886
; %bb.884:
	s_bfe_u32 s6, s8, 0x10015
	s_add_i32 s6, s8, s6
	s_add_i32 s6, s6, 0x80fffff
	s_lshr_b32 s9, s6, 21
	s_mov_b64 s[6:7], 0
	s_branch .LBB7_887
.LBB7_885:
	s_mov_b64 s[6:7], -1
                                        ; implicit-def: $vgpr4
	s_branch .LBB7_890
.LBB7_886:
	s_mov_b64 s[6:7], -1
                                        ; implicit-def: $sgpr9
.LBB7_887:
	s_andn2_b64 vcc, exec, s[6:7]
	v_mov_b32_e32 v4, s9
	s_cbranch_vccnz .LBB7_889
; %bb.888:
	v_add_f32_e32 v4, 0x43000000, v3
.LBB7_889:
	s_mov_b64 s[6:7], 0
.LBB7_890:
	s_andn2_b64 vcc, exec, s[6:7]
	s_cbranch_vccnz .LBB7_892
; %bb.891:
	s_cmp_gt_u32 s8, 0x7f800000
	s_movk_i32 s6, 0x7f
	s_cselect_b32 s6, s6, 0x7c
	v_mov_b32_e32 v4, s6
.LBB7_892:
	global_store_byte v[1:2], v4, off
.LBB7_893:
	s_mov_b64 s[6:7], 0
	s_mov_b64 s[8:9], -1
.LBB7_894:
	s_andn2_b64 vcc, exec, s[6:7]
	s_mov_b64 s[6:7], 0
	s_cbranch_vccnz .LBB7_901
; %bb.895:
	s_cmp_gt_i32 s14, 14
	s_mov_b64 s[10:11], -1
	s_cbranch_scc0 .LBB7_899
; %bb.896:
	s_cmp_eq_u32 s14, 15
	s_mov_b64 s[4:5], -1
	s_cbranch_scc0 .LBB7_898
; %bb.897:
	v_cvt_f32_ubyte0_e32 v3, s12
	v_bfe_u32 v4, v3, 16, 1
	v_add_u32_e32 v3, v3, v4
	v_add_u32_e32 v3, 0x7fff, v3
	global_store_short_d16_hi v[1:2], v3, off
	s_mov_b64 s[4:5], 0
	s_mov_b64 s[8:9], -1
.LBB7_898:
	s_mov_b64 s[10:11], 0
.LBB7_899:
	s_and_b64 vcc, exec, s[10:11]
	s_cbranch_vccz .LBB7_901
; %bb.900:
	s_cmp_lg_u32 s14, 11
	s_mov_b64 s[6:7], -1
	s_cselect_b64 s[4:5], -1, 0
.LBB7_901:
	s_and_b64 vcc, exec, s[4:5]
	s_cbranch_vccnz .LBB7_988
; %bb.902:
	s_andn2_b64 vcc, exec, s[6:7]
	s_cbranch_vccnz .LBB7_904
.LBB7_903:
	s_and_b32 s4, s12, 0xff
	s_cmp_lg_u32 s4, 0
	s_cselect_b64 s[4:5], -1, 0
	v_cndmask_b32_e64 v3, 0, 1, s[4:5]
	s_mov_b64 s[8:9], -1
	global_store_byte v[1:2], v3, off
.LBB7_904:
	s_branch .LBB7_801
.LBB7_905:
	s_cmp_lt_i32 s14, 5
	s_mov_b64 s[4:5], -1
	s_cbranch_scc1 .LBB7_926
; %bb.906:
	s_cmp_lt_i32 s14, 8
	s_cbranch_scc1 .LBB7_916
; %bb.907:
	s_cmp_lt_i32 s14, 9
	s_cbranch_scc1 .LBB7_913
; %bb.908:
	s_cmp_gt_i32 s14, 9
	s_cbranch_scc0 .LBB7_910
; %bb.909:
	s_and_b32 s4, s12, 0xff
	v_cvt_f64_u32_e32 v[3:4], s4
	v_mov_b32_e32 v5, 0
	v_mov_b32_e32 v6, v5
	s_mov_b64 s[4:5], 0
	global_store_dwordx4 v[1:2], v[3:6], off
.LBB7_910:
	s_andn2_b64 vcc, exec, s[4:5]
	s_cbranch_vccnz .LBB7_912
; %bb.911:
	v_cvt_f32_ubyte0_e32 v3, s12
	v_mov_b32_e32 v4, 0
	global_store_dwordx2 v[1:2], v[3:4], off
.LBB7_912:
	s_mov_b64 s[4:5], 0
.LBB7_913:
	s_andn2_b64 vcc, exec, s[4:5]
	s_cbranch_vccnz .LBB7_915
; %bb.914:
	s_and_b32 s4, s12, 0xff
	v_cvt_f16_u16_e32 v3, s4
	global_store_dword v[1:2], v3, off
.LBB7_915:
	s_mov_b64 s[4:5], 0
.LBB7_916:
	s_andn2_b64 vcc, exec, s[4:5]
	s_cbranch_vccnz .LBB7_925
; %bb.917:
	s_cmp_lt_i32 s14, 6
	s_mov_b64 s[4:5], -1
	s_cbranch_scc1 .LBB7_923
; %bb.918:
	s_cmp_gt_i32 s14, 6
	s_cbranch_scc0 .LBB7_920
; %bb.919:
	s_and_b32 s4, s12, 0xff
	v_cvt_f64_u32_e32 v[3:4], s4
	s_mov_b64 s[4:5], 0
	global_store_dwordx2 v[1:2], v[3:4], off
.LBB7_920:
	s_andn2_b64 vcc, exec, s[4:5]
	s_cbranch_vccnz .LBB7_922
; %bb.921:
	v_cvt_f32_ubyte0_e32 v3, s12
	global_store_dword v[1:2], v3, off
.LBB7_922:
	s_mov_b64 s[4:5], 0
.LBB7_923:
	s_andn2_b64 vcc, exec, s[4:5]
	s_cbranch_vccnz .LBB7_925
; %bb.924:
	s_and_b32 s4, s12, 0xff
	v_cvt_f16_u16_e32 v3, s4
	global_store_short v[1:2], v3, off
.LBB7_925:
	s_mov_b64 s[4:5], 0
.LBB7_926:
	s_andn2_b64 vcc, exec, s[4:5]
	s_cbranch_vccnz .LBB7_942
; %bb.927:
	s_cmp_lt_i32 s14, 2
	s_mov_b64 s[4:5], -1
	s_cbranch_scc1 .LBB7_937
; %bb.928:
	s_cmp_lt_i32 s14, 3
	s_cbranch_scc1 .LBB7_934
; %bb.929:
	s_cmp_gt_i32 s14, 3
	s_cbranch_scc0 .LBB7_931
; %bb.930:
	s_and_b32 s4, s12, 0xff
	v_mov_b32_e32 v3, s4
	v_mov_b32_e32 v4, 0
	global_store_dwordx2 v[1:2], v[3:4], off
	s_mov_b64 s[4:5], 0
.LBB7_931:
	s_andn2_b64 vcc, exec, s[4:5]
	s_cbranch_vccnz .LBB7_933
; %bb.932:
	s_and_b32 s4, s12, 0xff
	v_mov_b32_e32 v3, s4
	global_store_dword v[1:2], v3, off
.LBB7_933:
	s_mov_b64 s[4:5], 0
.LBB7_934:
	s_andn2_b64 vcc, exec, s[4:5]
	s_cbranch_vccnz .LBB7_936
; %bb.935:
	s_and_b32 s4, s12, 0xff
	v_mov_b32_e32 v3, s4
	global_store_short v[1:2], v3, off
.LBB7_936:
	s_mov_b64 s[4:5], 0
.LBB7_937:
	s_andn2_b64 vcc, exec, s[4:5]
	s_cbranch_vccnz .LBB7_942
; %bb.938:
	s_cmp_gt_i32 s14, 0
	s_mov_b64 s[4:5], -1
	s_cbranch_scc0 .LBB7_940
; %bb.939:
	v_mov_b32_e32 v3, s12
	global_store_byte v[1:2], v3, off
	s_mov_b64 s[4:5], 0
.LBB7_940:
	s_andn2_b64 vcc, exec, s[4:5]
	s_cbranch_vccnz .LBB7_942
; %bb.941:
	v_mov_b32_e32 v3, s12
	global_store_byte v[1:2], v3, off
.LBB7_942:
	s_branch .LBB7_802
.LBB7_943:
	s_mov_b64 s[2:3], 0
	s_mov_b64 s[4:5], 0
                                        ; implicit-def: $sgpr13
                                        ; implicit-def: $vgpr0_vgpr1
.LBB7_944:
	s_and_b64 s[18:19], s[4:5], exec
	s_andn2_b64 s[4:5], s[20:21], exec
	s_and_b64 s[0:1], s[0:1], exec
	s_and_b64 s[2:3], s[2:3], exec
	s_or_b64 s[20:21], s[4:5], s[0:1]
.LBB7_945:
	s_or_b64 exec, exec, s[22:23]
	s_and_saveexec_b64 s[0:1], s[20:21]
	s_cbranch_execz .LBB7_948
; %bb.946:
	; divergent unreachable
	s_or_b64 exec, exec, s[0:1]
	s_and_saveexec_b64 s[0:1], s[18:19]
	s_xor_b64 s[0:1], exec, s[0:1]
	s_cbranch_execnz .LBB7_949
.LBB7_947:
	s_or_b64 exec, exec, s[0:1]
	s_and_saveexec_b64 s[0:1], s[2:3]
	s_cbranch_execnz .LBB7_950
	s_branch .LBB7_987
.LBB7_948:
	s_or_b64 exec, exec, s[0:1]
	s_and_saveexec_b64 s[0:1], s[18:19]
	s_xor_b64 s[0:1], exec, s[0:1]
	s_cbranch_execz .LBB7_947
.LBB7_949:
	s_and_b32 s4, s12, 0xff
	s_cmp_lg_u32 s4, 0
	s_cselect_b64 s[4:5], -1, 0
	v_cndmask_b32_e64 v2, 0, 1, s[4:5]
	global_store_byte v[0:1], v2, off
	s_or_b64 exec, exec, s[0:1]
	s_and_saveexec_b64 s[0:1], s[2:3]
	s_cbranch_execz .LBB7_987
.LBB7_950:
	s_sext_i32_i16 s2, s13
	s_cmp_lt_i32 s2, 5
	s_mov_b64 s[0:1], -1
	s_cbranch_scc1 .LBB7_971
; %bb.951:
	s_cmp_lt_i32 s2, 8
	s_cbranch_scc1 .LBB7_961
; %bb.952:
	s_cmp_lt_i32 s2, 9
	s_cbranch_scc1 .LBB7_958
; %bb.953:
	s_cmp_gt_i32 s2, 9
	s_cbranch_scc0 .LBB7_955
; %bb.954:
	s_and_b32 s0, s12, 0xff
	v_cvt_f64_u32_e32 v[2:3], s0
	v_mov_b32_e32 v4, 0
	v_mov_b32_e32 v5, v4
	s_mov_b64 s[0:1], 0
	global_store_dwordx4 v[0:1], v[2:5], off
.LBB7_955:
	s_andn2_b64 vcc, exec, s[0:1]
	s_cbranch_vccnz .LBB7_957
; %bb.956:
	v_cvt_f32_ubyte0_e32 v2, s12
	v_mov_b32_e32 v3, 0
	global_store_dwordx2 v[0:1], v[2:3], off
.LBB7_957:
	s_mov_b64 s[0:1], 0
.LBB7_958:
	s_andn2_b64 vcc, exec, s[0:1]
	s_cbranch_vccnz .LBB7_960
; %bb.959:
	s_and_b32 s0, s12, 0xff
	v_cvt_f16_u16_e32 v2, s0
	global_store_dword v[0:1], v2, off
.LBB7_960:
	s_mov_b64 s[0:1], 0
.LBB7_961:
	s_andn2_b64 vcc, exec, s[0:1]
	s_cbranch_vccnz .LBB7_970
; %bb.962:
	s_sext_i32_i16 s2, s13
	s_cmp_lt_i32 s2, 6
	s_mov_b64 s[0:1], -1
	s_cbranch_scc1 .LBB7_968
; %bb.963:
	s_cmp_gt_i32 s2, 6
	s_cbranch_scc0 .LBB7_965
; %bb.964:
	s_and_b32 s0, s12, 0xff
	v_cvt_f64_u32_e32 v[2:3], s0
	s_mov_b64 s[0:1], 0
	global_store_dwordx2 v[0:1], v[2:3], off
.LBB7_965:
	s_andn2_b64 vcc, exec, s[0:1]
	s_cbranch_vccnz .LBB7_967
; %bb.966:
	v_cvt_f32_ubyte0_e32 v2, s12
	global_store_dword v[0:1], v2, off
.LBB7_967:
	s_mov_b64 s[0:1], 0
.LBB7_968:
	s_andn2_b64 vcc, exec, s[0:1]
	s_cbranch_vccnz .LBB7_970
; %bb.969:
	s_and_b32 s0, s12, 0xff
	v_cvt_f16_u16_e32 v2, s0
	global_store_short v[0:1], v2, off
.LBB7_970:
	s_mov_b64 s[0:1], 0
.LBB7_971:
	s_andn2_b64 vcc, exec, s[0:1]
	s_cbranch_vccnz .LBB7_987
; %bb.972:
	s_sext_i32_i16 s2, s13
	s_cmp_lt_i32 s2, 2
	s_mov_b64 s[0:1], -1
	s_cbranch_scc1 .LBB7_982
; %bb.973:
	s_cmp_lt_i32 s2, 3
	s_cbranch_scc1 .LBB7_979
; %bb.974:
	s_cmp_gt_i32 s2, 3
	s_cbranch_scc0 .LBB7_976
; %bb.975:
	s_and_b32 s0, s12, 0xff
	v_mov_b32_e32 v2, s0
	v_mov_b32_e32 v3, 0
	global_store_dwordx2 v[0:1], v[2:3], off
	s_mov_b64 s[0:1], 0
.LBB7_976:
	s_andn2_b64 vcc, exec, s[0:1]
	s_cbranch_vccnz .LBB7_978
; %bb.977:
	s_and_b32 s0, s12, 0xff
	v_mov_b32_e32 v2, s0
	global_store_dword v[0:1], v2, off
.LBB7_978:
	s_mov_b64 s[0:1], 0
.LBB7_979:
	s_andn2_b64 vcc, exec, s[0:1]
	s_cbranch_vccnz .LBB7_981
; %bb.980:
	s_and_b32 s0, s12, 0xff
	v_mov_b32_e32 v2, s0
	global_store_short v[0:1], v2, off
.LBB7_981:
	s_mov_b64 s[0:1], 0
.LBB7_982:
	s_andn2_b64 vcc, exec, s[0:1]
	s_cbranch_vccnz .LBB7_987
; %bb.983:
	s_sext_i32_i16 s0, s13
	s_cmp_gt_i32 s0, 0
	s_mov_b64 s[0:1], -1
	s_cbranch_scc0 .LBB7_985
; %bb.984:
	v_mov_b32_e32 v2, s12
	global_store_byte v[0:1], v2, off
	s_mov_b64 s[0:1], 0
.LBB7_985:
	s_andn2_b64 vcc, exec, s[0:1]
	s_cbranch_vccnz .LBB7_987
; %bb.986:
	v_mov_b32_e32 v2, s12
	global_store_byte v[0:1], v2, off
	s_endpgm
.LBB7_987:
	s_endpgm
.LBB7_988:
	s_trap 2
	s_or_b64 s[0:1], s[0:1], exec
	s_cbranch_execz .LBB7_903
	s_branch .LBB7_904
.LBB7_989:
	s_mov_b64 s[6:7], -1
	s_mov_b64 s[4:5], 0
                                        ; implicit-def: $sgpr8
.LBB7_990:
	s_andn2_b64 vcc, exec, s[6:7]
	v_mov_b32_e32 v3, s8
	s_cbranch_vccnz .LBB7_992
; %bb.991:
	v_add_f32_e32 v2, 0x42800000, v2
	v_and_b32_e32 v3, 0xff, v2
	v_cmp_ne_u32_e64 s[4:5], 0, v3
.LBB7_992:
	s_andn2_b64 vcc, exec, s[4:5]
	v_mov_b32_e32 v4, 0
	s_cbranch_vccnz .LBB7_994
; %bb.993:
	v_mov_b32_e32 v4, v3
.LBB7_994:
	s_mov_b64 s[4:5], 0
	global_store_byte v[0:1], v4, off
.LBB7_995:
	s_and_b64 vcc, exec, s[4:5]
	s_cbranch_vccz .LBB7_1007
; %bb.996:
	v_cvt_f32_ubyte0_e32 v2, s12
	s_mov_b32 s4, 0x43f00000
	v_cmp_gt_u32_e32 vcc, s4, v2
	v_readfirstlane_b32 s6, v2
	s_cbranch_vccz .LBB7_999
; %bb.997:
	s_cmp_gt_u32 s6, 0x3c7fffff
	s_cbranch_scc0 .LBB7_1000
; %bb.998:
	s_bfe_u32 s4, s6, 0x10014
	s_add_i32 s4, s6, s4
	s_add_i32 s4, s4, 0x407ffff
	s_lshr_b32 s5, s4, 20
	s_and_b32 s4, s4, 0xff00000
	s_cmp_lg_u32 s4, 0x7f00000
	s_cselect_b32 s7, s5, 0x7e
	s_mov_b64 s[4:5], 0
	s_branch .LBB7_1001
.LBB7_999:
	s_mov_b64 s[4:5], -1
                                        ; implicit-def: $vgpr3
	s_branch .LBB7_1004
.LBB7_1000:
	s_mov_b64 s[4:5], -1
                                        ; implicit-def: $sgpr7
.LBB7_1001:
	s_andn2_b64 vcc, exec, s[4:5]
	v_mov_b32_e32 v3, s7
	s_cbranch_vccnz .LBB7_1003
; %bb.1002:
	v_add_f32_e32 v3, 0x46800000, v2
.LBB7_1003:
	s_mov_b64 s[4:5], 0
.LBB7_1004:
	s_andn2_b64 vcc, exec, s[4:5]
	s_cbranch_vccnz .LBB7_1006
; %bb.1005:
	s_cmp_gt_u32 s6, 0x7f800000
	s_movk_i32 s4, 0x7f
	s_cselect_b32 s4, s4, 0x7e
	v_mov_b32_e32 v3, s4
.LBB7_1006:
	global_store_byte v[0:1], v3, off
.LBB7_1007:
	s_mov_b64 s[4:5], 0
.LBB7_1008:
	s_andn2_b64 vcc, exec, s[4:5]
	s_cbranch_vccnz .LBB7_1020
; %bb.1009:
	v_cvt_f32_ubyte0_e32 v2, s12
	s_mov_b32 s4, 0x47800000
	v_cmp_gt_u32_e32 vcc, s4, v2
	v_readfirstlane_b32 s6, v2
	s_cbranch_vccz .LBB7_1012
; %bb.1010:
	s_cmp_gt_u32 s6, 0x387fffff
	s_cbranch_scc0 .LBB7_1013
; %bb.1011:
	s_bfe_u32 s4, s6, 0x10015
	s_add_i32 s4, s6, s4
	s_add_i32 s4, s4, 0x80fffff
	s_lshr_b32 s7, s4, 21
	s_mov_b64 s[4:5], 0
	s_branch .LBB7_1014
.LBB7_1012:
	s_mov_b64 s[4:5], -1
                                        ; implicit-def: $vgpr3
	s_branch .LBB7_1017
.LBB7_1013:
	s_mov_b64 s[4:5], -1
                                        ; implicit-def: $sgpr7
.LBB7_1014:
	s_andn2_b64 vcc, exec, s[4:5]
	v_mov_b32_e32 v3, s7
	s_cbranch_vccnz .LBB7_1016
; %bb.1015:
	v_add_f32_e32 v3, 0x43000000, v2
.LBB7_1016:
	s_mov_b64 s[4:5], 0
.LBB7_1017:
	s_andn2_b64 vcc, exec, s[4:5]
	s_cbranch_vccnz .LBB7_1019
; %bb.1018:
	s_cmp_gt_u32 s6, 0x7f800000
	s_movk_i32 s4, 0x7f
	s_cselect_b32 s4, s4, 0x7c
	v_mov_b32_e32 v3, s4
.LBB7_1019:
	global_store_byte v[0:1], v3, off
.LBB7_1020:
	s_mov_b64 s[4:5], 0
.LBB7_1021:
	s_andn2_b64 vcc, exec, s[4:5]
	s_mov_b64 s[4:5], 0
	s_cbranch_vccnz .LBB7_1028
; %bb.1022:
	s_cmp_gt_i32 s14, 14
	s_mov_b64 s[6:7], -1
	s_cbranch_scc0 .LBB7_1026
; %bb.1023:
	s_cmp_eq_u32 s14, 15
	s_mov_b64 s[2:3], -1
	s_cbranch_scc0 .LBB7_1025
; %bb.1024:
	v_cvt_f32_ubyte0_e32 v2, s12
	v_bfe_u32 v3, v2, 16, 1
	v_add_u32_e32 v2, v2, v3
	v_add_u32_e32 v2, 0x7fff, v2
	global_store_short_d16_hi v[0:1], v2, off
	s_mov_b64 s[2:3], 0
.LBB7_1025:
	s_mov_b64 s[6:7], 0
.LBB7_1026:
	s_and_b64 vcc, exec, s[6:7]
	s_cbranch_vccz .LBB7_1028
; %bb.1027:
	s_cmp_lg_u32 s14, 11
	s_mov_b64 s[4:5], -1
	s_cselect_b64 s[2:3], -1, 0
.LBB7_1028:
	s_and_b64 vcc, exec, s[2:3]
	s_cbranch_vccnz .LBB7_1030
.LBB7_1029:
	s_mov_b64 s[2:3], 0
	s_branch .LBB7_944
.LBB7_1030:
	s_mov_b64 s[4:5], 0
	s_or_b64 s[0:1], s[0:1], exec
	s_trap 2
	s_branch .LBB7_1029
	.section	.rodata,"a",@progbits
	.p2align	6, 0x0
	.amdhsa_kernel _ZN2at6native32elementwise_kernel_manual_unrollILi128ELi4EZNS0_15gpu_kernel_implINS0_11FillFunctorIhEEEEvRNS_18TensorIteratorBaseERKT_EUlibE0_EEviT1_
		.amdhsa_group_segment_fixed_size 0
		.amdhsa_private_segment_fixed_size 0
		.amdhsa_kernarg_size 288
		.amdhsa_user_sgpr_count 6
		.amdhsa_user_sgpr_private_segment_buffer 1
		.amdhsa_user_sgpr_dispatch_ptr 0
		.amdhsa_user_sgpr_queue_ptr 0
		.amdhsa_user_sgpr_kernarg_segment_ptr 1
		.amdhsa_user_sgpr_dispatch_id 0
		.amdhsa_user_sgpr_flat_scratch_init 0
		.amdhsa_user_sgpr_private_segment_size 0
		.amdhsa_uses_dynamic_stack 0
		.amdhsa_system_sgpr_private_segment_wavefront_offset 0
		.amdhsa_system_sgpr_workgroup_id_x 1
		.amdhsa_system_sgpr_workgroup_id_y 0
		.amdhsa_system_sgpr_workgroup_id_z 0
		.amdhsa_system_sgpr_workgroup_info 0
		.amdhsa_system_vgpr_workitem_id 0
		.amdhsa_next_free_vgpr 26
		.amdhsa_next_free_sgpr 88
		.amdhsa_reserve_vcc 1
		.amdhsa_reserve_flat_scratch 0
		.amdhsa_float_round_mode_32 0
		.amdhsa_float_round_mode_16_64 0
		.amdhsa_float_denorm_mode_32 3
		.amdhsa_float_denorm_mode_16_64 3
		.amdhsa_dx10_clamp 1
		.amdhsa_ieee_mode 1
		.amdhsa_fp16_overflow 0
		.amdhsa_exception_fp_ieee_invalid_op 0
		.amdhsa_exception_fp_denorm_src 0
		.amdhsa_exception_fp_ieee_div_zero 0
		.amdhsa_exception_fp_ieee_overflow 0
		.amdhsa_exception_fp_ieee_underflow 0
		.amdhsa_exception_fp_ieee_inexact 0
		.amdhsa_exception_int_div_zero 0
	.end_amdhsa_kernel
	.section	.text._ZN2at6native32elementwise_kernel_manual_unrollILi128ELi4EZNS0_15gpu_kernel_implINS0_11FillFunctorIhEEEEvRNS_18TensorIteratorBaseERKT_EUlibE0_EEviT1_,"axG",@progbits,_ZN2at6native32elementwise_kernel_manual_unrollILi128ELi4EZNS0_15gpu_kernel_implINS0_11FillFunctorIhEEEEvRNS_18TensorIteratorBaseERKT_EUlibE0_EEviT1_,comdat
.Lfunc_end7:
	.size	_ZN2at6native32elementwise_kernel_manual_unrollILi128ELi4EZNS0_15gpu_kernel_implINS0_11FillFunctorIhEEEEvRNS_18TensorIteratorBaseERKT_EUlibE0_EEviT1_, .Lfunc_end7-_ZN2at6native32elementwise_kernel_manual_unrollILi128ELi4EZNS0_15gpu_kernel_implINS0_11FillFunctorIhEEEEvRNS_18TensorIteratorBaseERKT_EUlibE0_EEviT1_
                                        ; -- End function
	.set _ZN2at6native32elementwise_kernel_manual_unrollILi128ELi4EZNS0_15gpu_kernel_implINS0_11FillFunctorIhEEEEvRNS_18TensorIteratorBaseERKT_EUlibE0_EEviT1_.num_vgpr, 26
	.set _ZN2at6native32elementwise_kernel_manual_unrollILi128ELi4EZNS0_15gpu_kernel_implINS0_11FillFunctorIhEEEEvRNS_18TensorIteratorBaseERKT_EUlibE0_EEviT1_.num_agpr, 0
	.set _ZN2at6native32elementwise_kernel_manual_unrollILi128ELi4EZNS0_15gpu_kernel_implINS0_11FillFunctorIhEEEEvRNS_18TensorIteratorBaseERKT_EUlibE0_EEviT1_.numbered_sgpr, 88
	.set _ZN2at6native32elementwise_kernel_manual_unrollILi128ELi4EZNS0_15gpu_kernel_implINS0_11FillFunctorIhEEEEvRNS_18TensorIteratorBaseERKT_EUlibE0_EEviT1_.num_named_barrier, 0
	.set _ZN2at6native32elementwise_kernel_manual_unrollILi128ELi4EZNS0_15gpu_kernel_implINS0_11FillFunctorIhEEEEvRNS_18TensorIteratorBaseERKT_EUlibE0_EEviT1_.private_seg_size, 0
	.set _ZN2at6native32elementwise_kernel_manual_unrollILi128ELi4EZNS0_15gpu_kernel_implINS0_11FillFunctorIhEEEEvRNS_18TensorIteratorBaseERKT_EUlibE0_EEviT1_.uses_vcc, 1
	.set _ZN2at6native32elementwise_kernel_manual_unrollILi128ELi4EZNS0_15gpu_kernel_implINS0_11FillFunctorIhEEEEvRNS_18TensorIteratorBaseERKT_EUlibE0_EEviT1_.uses_flat_scratch, 0
	.set _ZN2at6native32elementwise_kernel_manual_unrollILi128ELi4EZNS0_15gpu_kernel_implINS0_11FillFunctorIhEEEEvRNS_18TensorIteratorBaseERKT_EUlibE0_EEviT1_.has_dyn_sized_stack, 0
	.set _ZN2at6native32elementwise_kernel_manual_unrollILi128ELi4EZNS0_15gpu_kernel_implINS0_11FillFunctorIhEEEEvRNS_18TensorIteratorBaseERKT_EUlibE0_EEviT1_.has_recursion, 0
	.set _ZN2at6native32elementwise_kernel_manual_unrollILi128ELi4EZNS0_15gpu_kernel_implINS0_11FillFunctorIhEEEEvRNS_18TensorIteratorBaseERKT_EUlibE0_EEviT1_.has_indirect_call, 0
	.section	.AMDGPU.csdata,"",@progbits
; Kernel info:
; codeLenInByte = 16556
; TotalNumSgprs: 92
; NumVgprs: 26
; ScratchSize: 0
; MemoryBound: 0
; FloatMode: 240
; IeeeMode: 1
; LDSByteSize: 0 bytes/workgroup (compile time only)
; SGPRBlocks: 11
; VGPRBlocks: 6
; NumSGPRsForWavesPerEU: 92
; NumVGPRsForWavesPerEU: 26
; Occupancy: 8
; WaveLimiterHint : 1
; COMPUTE_PGM_RSRC2:SCRATCH_EN: 0
; COMPUTE_PGM_RSRC2:USER_SGPR: 6
; COMPUTE_PGM_RSRC2:TRAP_HANDLER: 0
; COMPUTE_PGM_RSRC2:TGID_X_EN: 1
; COMPUTE_PGM_RSRC2:TGID_Y_EN: 0
; COMPUTE_PGM_RSRC2:TGID_Z_EN: 0
; COMPUTE_PGM_RSRC2:TIDIG_COMP_CNT: 0
	.section	.text._ZN2at6native29vectorized_elementwise_kernelILi16ENS0_11FillFunctorIaEESt5arrayIPcLm1EEEEviT0_T1_,"axG",@progbits,_ZN2at6native29vectorized_elementwise_kernelILi16ENS0_11FillFunctorIaEESt5arrayIPcLm1EEEEviT0_T1_,comdat
	.protected	_ZN2at6native29vectorized_elementwise_kernelILi16ENS0_11FillFunctorIaEESt5arrayIPcLm1EEEEviT0_T1_ ; -- Begin function _ZN2at6native29vectorized_elementwise_kernelILi16ENS0_11FillFunctorIaEESt5arrayIPcLm1EEEEviT0_T1_
	.globl	_ZN2at6native29vectorized_elementwise_kernelILi16ENS0_11FillFunctorIaEESt5arrayIPcLm1EEEEviT0_T1_
	.p2align	8
	.type	_ZN2at6native29vectorized_elementwise_kernelILi16ENS0_11FillFunctorIaEESt5arrayIPcLm1EEEEviT0_T1_,@function
_ZN2at6native29vectorized_elementwise_kernelILi16ENS0_11FillFunctorIaEESt5arrayIPcLm1EEEEviT0_T1_: ; @_ZN2at6native29vectorized_elementwise_kernelILi16ENS0_11FillFunctorIaEESt5arrayIPcLm1EEEEviT0_T1_
; %bb.0:
	s_load_dwordx4 s[8:11], s[4:5], 0x0
	s_lshl_b32 s2, s6, 12
	s_mov_b64 s[0:1], -1
	s_waitcnt lgkmcnt(0)
	s_sub_i32 s3, s8, s2
	s_cmpk_gt_i32 s3, 0xfff
	s_cbranch_scc0 .LBB8_2
; %bb.1:
	s_ashr_i32 s1, s2, 31
	s_add_u32 s0, s10, s2
	s_addc_u32 s1, s11, s1
	s_lshl_b32 s4, s9, 8
	s_and_b32 s5, s9, 0xff
	s_or_b32 s4, s5, s4
	s_and_b32 s5, s4, 0xffff
	s_lshl_b32 s4, s4, 16
	s_or_b32 s4, s5, s4
	v_lshlrev_b32_e32 v5, 4, v0
	v_mov_b32_e32 v1, s4
	v_mov_b32_e32 v2, s4
	v_mov_b32_e32 v3, s4
	v_mov_b32_e32 v4, s4
	global_store_dwordx4 v5, v[1:4], s[0:1]
	s_mov_b64 s[0:1], 0
.LBB8_2:
	s_andn2_b64 vcc, exec, s[0:1]
	s_cbranch_vccnz .LBB8_20
; %bb.3:
	s_and_b32 s0, s9, 0xff
	v_mov_b32_e32 v1, s0
	v_cmp_gt_i32_e32 vcc, s3, v0
	v_cndmask_b32_e32 v2, 0, v1, vcc
	v_mov_b32_e32 v6, 0x7060004
	v_or_b32_e32 v5, 0x100, v0
	v_perm_b32 v3, v2, s9, v6
	v_cmp_gt_i32_e64 s[0:1], s3, v5
	v_cndmask_b32_e64 v2, v2, v3, s[0:1]
	v_mov_b32_e32 v7, 0xc0c0304
	v_perm_b32 v4, s9, v2, v7
	v_or_b32_e32 v3, 0x200, v0
	v_lshlrev_b32_e32 v4, 16, v4
	s_mov_b32 s4, 0xffff
	v_and_or_b32 v4, v2, s4, v4
	v_cmp_gt_i32_e64 s[0:1], s3, v3
	v_cndmask_b32_e64 v2, v2, v4, s[0:1]
	v_mov_b32_e32 v8, 0xc0c0006
	v_perm_b32 v4, v2, s9, v8
	v_or_b32_e32 v3, 0x300, v0
	v_lshlrev_b32_e32 v4, 16, v4
	v_and_or_b32 v4, v2, s4, v4
	v_cmp_gt_i32_e64 s[0:1], s3, v3
	v_cndmask_b32_e64 v4, v2, v4, s[0:1]
	v_mov_b32_e32 v2, 0x3020104
	v_perm_b32 v9, s9, 0, v2
	v_or_b32_e32 v2, 0x400, v0
	v_cmp_gt_i32_e64 s[0:1], s3, v2
	v_cndmask_b32_e64 v2, 0, v9, s[0:1]
	v_or_b32_e32 v10, 0x500, v0
	v_perm_b32 v3, v2, s9, v6
	v_cmp_gt_i32_e64 s[0:1], s3, v10
	v_cndmask_b32_e64 v2, v2, v3, s[0:1]
	v_or_b32_e32 v3, 0x600, v0
	v_mov_b32_e32 v10, 0x7000504
	v_perm_b32 v11, v2, s9, v10
	v_cmp_gt_i32_e64 s[0:1], s3, v3
	v_cndmask_b32_e64 v2, v2, v11, s[0:1]
	v_or_b32_e32 v3, 0x700, v0
	v_mov_b32_e32 v11, 0x60504
	v_perm_b32 v12, v2, s9, v11
	v_cmp_gt_i32_e64 s[0:1], s3, v3
	v_cndmask_b32_e64 v3, v2, v12, s[0:1]
	v_or_b32_e32 v2, 0x800, v0
	v_cmp_gt_i32_e64 s[0:1], s3, v2
	v_cndmask_b32_e64 v1, 0, v1, s[0:1]
	v_or_b32_e32 v12, 0x900, v0
	v_perm_b32 v2, v1, s9, v6
	v_cmp_gt_i32_e64 s[0:1], s3, v12
	v_cndmask_b32_e64 v1, v1, v2, s[0:1]
	v_perm_b32 v7, s9, v1, v7
	v_or_b32_e32 v2, 0xa00, v0
	v_lshlrev_b32_e32 v7, 16, v7
	v_and_or_b32 v7, v1, s4, v7
	v_cmp_gt_i32_e64 s[0:1], s3, v2
	v_cndmask_b32_e64 v1, v1, v7, s[0:1]
	v_perm_b32 v7, v1, s9, v8
	v_or_b32_e32 v2, 0xb00, v0
	v_lshlrev_b32_e32 v7, 16, v7
	v_and_or_b32 v7, v1, s4, v7
	v_cmp_gt_i32_e64 s[0:1], s3, v2
	v_cndmask_b32_e64 v2, v1, v7, s[0:1]
	v_or_b32_e32 v1, 0xc00, v0
	v_cmp_gt_i32_e64 s[0:1], s3, v1
	v_cndmask_b32_e64 v1, 0, v9, s[0:1]
	v_or_b32_e32 v7, 0xd00, v0
	v_perm_b32 v6, v1, s9, v6
	v_cmp_gt_i32_e64 s[0:1], s3, v7
	v_cndmask_b32_e64 v1, v1, v6, s[0:1]
	v_or_b32_e32 v6, 0xe00, v0
	v_perm_b32 v7, v1, s9, v10
	;; [unrolled: 4-line block ×3, first 2 shown]
	v_cmp_gt_i32_e64 s[0:1], s3, v6
	v_cndmask_b32_e64 v1, v1, v7, s[0:1]
	s_and_saveexec_b64 s[0:1], vcc
	s_cbranch_execnz .LBB8_21
; %bb.4:
	s_or_b64 exec, exec, s[0:1]
	v_cmp_gt_i32_e32 vcc, s3, v0
	s_and_saveexec_b64 s[0:1], vcc
	s_cbranch_execnz .LBB8_22
.LBB8_5:
	s_or_b64 exec, exec, s[0:1]
	v_cmp_gt_i32_e32 vcc, s3, v0
	s_and_saveexec_b64 s[0:1], vcc
	s_cbranch_execnz .LBB8_23
.LBB8_6:
	s_or_b64 exec, exec, s[0:1]
	v_cmp_gt_i32_e32 vcc, s3, v0
	s_and_saveexec_b64 s[0:1], vcc
	s_cbranch_execnz .LBB8_24
.LBB8_7:
	s_or_b64 exec, exec, s[0:1]
	v_cmp_gt_i32_e32 vcc, s3, v0
	s_and_saveexec_b64 s[0:1], vcc
	s_cbranch_execnz .LBB8_25
.LBB8_8:
	s_or_b64 exec, exec, s[0:1]
	v_cmp_gt_i32_e32 vcc, s3, v0
	s_and_saveexec_b64 s[0:1], vcc
	s_cbranch_execnz .LBB8_26
.LBB8_9:
	s_or_b64 exec, exec, s[0:1]
	v_cmp_gt_i32_e32 vcc, s3, v0
	s_and_saveexec_b64 s[0:1], vcc
	s_cbranch_execnz .LBB8_27
.LBB8_10:
	s_or_b64 exec, exec, s[0:1]
	v_cmp_gt_i32_e32 vcc, s3, v0
	s_and_saveexec_b64 s[0:1], vcc
	s_cbranch_execnz .LBB8_28
.LBB8_11:
	s_or_b64 exec, exec, s[0:1]
	v_cmp_gt_i32_e32 vcc, s3, v0
	s_and_saveexec_b64 s[0:1], vcc
	s_cbranch_execnz .LBB8_29
.LBB8_12:
	s_or_b64 exec, exec, s[0:1]
	v_cmp_gt_i32_e32 vcc, s3, v0
	s_and_saveexec_b64 s[0:1], vcc
	s_cbranch_execnz .LBB8_30
.LBB8_13:
	s_or_b64 exec, exec, s[0:1]
	v_cmp_gt_i32_e32 vcc, s3, v0
	s_and_saveexec_b64 s[0:1], vcc
	s_cbranch_execnz .LBB8_31
.LBB8_14:
	s_or_b64 exec, exec, s[0:1]
	v_cmp_gt_i32_e32 vcc, s3, v0
	s_and_saveexec_b64 s[0:1], vcc
	s_cbranch_execnz .LBB8_32
.LBB8_15:
	s_or_b64 exec, exec, s[0:1]
	v_cmp_gt_i32_e32 vcc, s3, v0
	s_and_saveexec_b64 s[0:1], vcc
	s_cbranch_execnz .LBB8_33
.LBB8_16:
	s_or_b64 exec, exec, s[0:1]
	v_cmp_gt_i32_e32 vcc, s3, v0
	s_and_saveexec_b64 s[0:1], vcc
	s_cbranch_execnz .LBB8_34
.LBB8_17:
	s_or_b64 exec, exec, s[0:1]
	v_cmp_gt_i32_e32 vcc, s3, v0
	s_and_saveexec_b64 s[0:1], vcc
	s_cbranch_execnz .LBB8_35
.LBB8_18:
	s_or_b64 exec, exec, s[0:1]
	v_cmp_gt_i32_e32 vcc, s3, v0
	s_and_saveexec_b64 s[0:1], vcc
	s_cbranch_execz .LBB8_20
.LBB8_19:
	v_lshrrev_b32_e32 v1, 24, v1
	v_add_u32_e32 v0, s2, v0
	global_store_byte v0, v1, s[10:11]
.LBB8_20:
	s_endpgm
.LBB8_21:
	v_or_b32_e32 v0, s2, v0
	global_store_byte v0, v4, s[10:11]
	v_mov_b32_e32 v0, v5
	s_or_b64 exec, exec, s[0:1]
	v_cmp_gt_i32_e32 vcc, s3, v0
	s_and_saveexec_b64 s[0:1], vcc
	s_cbranch_execz .LBB8_5
.LBB8_22:
	v_lshrrev_b32_e32 v5, 8, v4
	v_add_u32_e32 v6, s2, v0
	v_add_u32_e32 v0, 0x100, v0
	global_store_byte v6, v5, s[10:11]
	s_or_b64 exec, exec, s[0:1]
	v_cmp_gt_i32_e32 vcc, s3, v0
	s_and_saveexec_b64 s[0:1], vcc
	s_cbranch_execz .LBB8_6
.LBB8_23:
	v_add_u32_e32 v5, s2, v0
	v_add_u32_e32 v0, 0x100, v0
	global_store_byte_d16_hi v5, v4, s[10:11]
	s_or_b64 exec, exec, s[0:1]
	v_cmp_gt_i32_e32 vcc, s3, v0
	s_and_saveexec_b64 s[0:1], vcc
	s_cbranch_execz .LBB8_7
.LBB8_24:
	v_lshrrev_b32_e32 v4, 24, v4
	v_add_u32_e32 v5, s2, v0
	v_add_u32_e32 v0, 0x100, v0
	global_store_byte v5, v4, s[10:11]
	s_or_b64 exec, exec, s[0:1]
	v_cmp_gt_i32_e32 vcc, s3, v0
	s_and_saveexec_b64 s[0:1], vcc
	s_cbranch_execz .LBB8_8
.LBB8_25:
	v_add_u32_e32 v4, s2, v0
	v_add_u32_e32 v0, 0x100, v0
	global_store_byte v4, v3, s[10:11]
	s_or_b64 exec, exec, s[0:1]
	v_cmp_gt_i32_e32 vcc, s3, v0
	s_and_saveexec_b64 s[0:1], vcc
	s_cbranch_execz .LBB8_9
.LBB8_26:
	v_lshrrev_b32_e32 v4, 8, v3
	v_add_u32_e32 v5, s2, v0
	v_add_u32_e32 v0, 0x100, v0
	global_store_byte v5, v4, s[10:11]
	s_or_b64 exec, exec, s[0:1]
	v_cmp_gt_i32_e32 vcc, s3, v0
	s_and_saveexec_b64 s[0:1], vcc
	s_cbranch_execz .LBB8_10
.LBB8_27:
	v_add_u32_e32 v4, s2, v0
	v_add_u32_e32 v0, 0x100, v0
	global_store_byte_d16_hi v4, v3, s[10:11]
	s_or_b64 exec, exec, s[0:1]
	v_cmp_gt_i32_e32 vcc, s3, v0
	s_and_saveexec_b64 s[0:1], vcc
	s_cbranch_execz .LBB8_11
.LBB8_28:
	v_lshrrev_b32_e32 v3, 24, v3
	v_add_u32_e32 v4, s2, v0
	v_add_u32_e32 v0, 0x100, v0
	global_store_byte v4, v3, s[10:11]
	s_or_b64 exec, exec, s[0:1]
	v_cmp_gt_i32_e32 vcc, s3, v0
	s_and_saveexec_b64 s[0:1], vcc
	s_cbranch_execz .LBB8_12
.LBB8_29:
	v_add_u32_e32 v3, s2, v0
	v_add_u32_e32 v0, 0x100, v0
	global_store_byte v3, v2, s[10:11]
	s_or_b64 exec, exec, s[0:1]
	v_cmp_gt_i32_e32 vcc, s3, v0
	s_and_saveexec_b64 s[0:1], vcc
	s_cbranch_execz .LBB8_13
.LBB8_30:
	v_lshrrev_b32_e32 v3, 8, v2
	v_add_u32_e32 v4, s2, v0
	v_add_u32_e32 v0, 0x100, v0
	global_store_byte v4, v3, s[10:11]
	s_or_b64 exec, exec, s[0:1]
	v_cmp_gt_i32_e32 vcc, s3, v0
	s_and_saveexec_b64 s[0:1], vcc
	s_cbranch_execz .LBB8_14
.LBB8_31:
	v_add_u32_e32 v3, s2, v0
	v_add_u32_e32 v0, 0x100, v0
	global_store_byte_d16_hi v3, v2, s[10:11]
	s_or_b64 exec, exec, s[0:1]
	v_cmp_gt_i32_e32 vcc, s3, v0
	s_and_saveexec_b64 s[0:1], vcc
	s_cbranch_execz .LBB8_15
.LBB8_32:
	v_lshrrev_b32_e32 v2, 24, v2
	v_add_u32_e32 v3, s2, v0
	v_add_u32_e32 v0, 0x100, v0
	global_store_byte v3, v2, s[10:11]
	s_or_b64 exec, exec, s[0:1]
	v_cmp_gt_i32_e32 vcc, s3, v0
	s_and_saveexec_b64 s[0:1], vcc
	s_cbranch_execz .LBB8_16
.LBB8_33:
	v_add_u32_e32 v2, s2, v0
	v_add_u32_e32 v0, 0x100, v0
	global_store_byte v2, v1, s[10:11]
	s_or_b64 exec, exec, s[0:1]
	v_cmp_gt_i32_e32 vcc, s3, v0
	s_and_saveexec_b64 s[0:1], vcc
	s_cbranch_execz .LBB8_17
.LBB8_34:
	v_lshrrev_b32_e32 v2, 8, v1
	v_add_u32_e32 v3, s2, v0
	v_add_u32_e32 v0, 0x100, v0
	global_store_byte v3, v2, s[10:11]
	s_or_b64 exec, exec, s[0:1]
	v_cmp_gt_i32_e32 vcc, s3, v0
	s_and_saveexec_b64 s[0:1], vcc
	s_cbranch_execz .LBB8_18
.LBB8_35:
	v_add_u32_e32 v2, s2, v0
	v_add_u32_e32 v0, 0x100, v0
	global_store_byte_d16_hi v2, v1, s[10:11]
	s_or_b64 exec, exec, s[0:1]
	v_cmp_gt_i32_e32 vcc, s3, v0
	s_and_saveexec_b64 s[0:1], vcc
	s_cbranch_execnz .LBB8_19
	s_branch .LBB8_20
	.section	.rodata,"a",@progbits
	.p2align	6, 0x0
	.amdhsa_kernel _ZN2at6native29vectorized_elementwise_kernelILi16ENS0_11FillFunctorIaEESt5arrayIPcLm1EEEEviT0_T1_
		.amdhsa_group_segment_fixed_size 0
		.amdhsa_private_segment_fixed_size 0
		.amdhsa_kernarg_size 16
		.amdhsa_user_sgpr_count 6
		.amdhsa_user_sgpr_private_segment_buffer 1
		.amdhsa_user_sgpr_dispatch_ptr 0
		.amdhsa_user_sgpr_queue_ptr 0
		.amdhsa_user_sgpr_kernarg_segment_ptr 1
		.amdhsa_user_sgpr_dispatch_id 0
		.amdhsa_user_sgpr_flat_scratch_init 0
		.amdhsa_user_sgpr_private_segment_size 0
		.amdhsa_uses_dynamic_stack 0
		.amdhsa_system_sgpr_private_segment_wavefront_offset 0
		.amdhsa_system_sgpr_workgroup_id_x 1
		.amdhsa_system_sgpr_workgroup_id_y 0
		.amdhsa_system_sgpr_workgroup_id_z 0
		.amdhsa_system_sgpr_workgroup_info 0
		.amdhsa_system_vgpr_workitem_id 0
		.amdhsa_next_free_vgpr 13
		.amdhsa_next_free_sgpr 12
		.amdhsa_reserve_vcc 1
		.amdhsa_reserve_flat_scratch 0
		.amdhsa_float_round_mode_32 0
		.amdhsa_float_round_mode_16_64 0
		.amdhsa_float_denorm_mode_32 3
		.amdhsa_float_denorm_mode_16_64 3
		.amdhsa_dx10_clamp 1
		.amdhsa_ieee_mode 1
		.amdhsa_fp16_overflow 0
		.amdhsa_exception_fp_ieee_invalid_op 0
		.amdhsa_exception_fp_denorm_src 0
		.amdhsa_exception_fp_ieee_div_zero 0
		.amdhsa_exception_fp_ieee_overflow 0
		.amdhsa_exception_fp_ieee_underflow 0
		.amdhsa_exception_fp_ieee_inexact 0
		.amdhsa_exception_int_div_zero 0
	.end_amdhsa_kernel
	.section	.text._ZN2at6native29vectorized_elementwise_kernelILi16ENS0_11FillFunctorIaEESt5arrayIPcLm1EEEEviT0_T1_,"axG",@progbits,_ZN2at6native29vectorized_elementwise_kernelILi16ENS0_11FillFunctorIaEESt5arrayIPcLm1EEEEviT0_T1_,comdat
.Lfunc_end8:
	.size	_ZN2at6native29vectorized_elementwise_kernelILi16ENS0_11FillFunctorIaEESt5arrayIPcLm1EEEEviT0_T1_, .Lfunc_end8-_ZN2at6native29vectorized_elementwise_kernelILi16ENS0_11FillFunctorIaEESt5arrayIPcLm1EEEEviT0_T1_
                                        ; -- End function
	.set _ZN2at6native29vectorized_elementwise_kernelILi16ENS0_11FillFunctorIaEESt5arrayIPcLm1EEEEviT0_T1_.num_vgpr, 13
	.set _ZN2at6native29vectorized_elementwise_kernelILi16ENS0_11FillFunctorIaEESt5arrayIPcLm1EEEEviT0_T1_.num_agpr, 0
	.set _ZN2at6native29vectorized_elementwise_kernelILi16ENS0_11FillFunctorIaEESt5arrayIPcLm1EEEEviT0_T1_.numbered_sgpr, 12
	.set _ZN2at6native29vectorized_elementwise_kernelILi16ENS0_11FillFunctorIaEESt5arrayIPcLm1EEEEviT0_T1_.num_named_barrier, 0
	.set _ZN2at6native29vectorized_elementwise_kernelILi16ENS0_11FillFunctorIaEESt5arrayIPcLm1EEEEviT0_T1_.private_seg_size, 0
	.set _ZN2at6native29vectorized_elementwise_kernelILi16ENS0_11FillFunctorIaEESt5arrayIPcLm1EEEEviT0_T1_.uses_vcc, 1
	.set _ZN2at6native29vectorized_elementwise_kernelILi16ENS0_11FillFunctorIaEESt5arrayIPcLm1EEEEviT0_T1_.uses_flat_scratch, 0
	.set _ZN2at6native29vectorized_elementwise_kernelILi16ENS0_11FillFunctorIaEESt5arrayIPcLm1EEEEviT0_T1_.has_dyn_sized_stack, 0
	.set _ZN2at6native29vectorized_elementwise_kernelILi16ENS0_11FillFunctorIaEESt5arrayIPcLm1EEEEviT0_T1_.has_recursion, 0
	.set _ZN2at6native29vectorized_elementwise_kernelILi16ENS0_11FillFunctorIaEESt5arrayIPcLm1EEEEviT0_T1_.has_indirect_call, 0
	.section	.AMDGPU.csdata,"",@progbits
; Kernel info:
; codeLenInByte = 1540
; TotalNumSgprs: 16
; NumVgprs: 13
; ScratchSize: 0
; MemoryBound: 0
; FloatMode: 240
; IeeeMode: 1
; LDSByteSize: 0 bytes/workgroup (compile time only)
; SGPRBlocks: 1
; VGPRBlocks: 3
; NumSGPRsForWavesPerEU: 16
; NumVGPRsForWavesPerEU: 13
; Occupancy: 10
; WaveLimiterHint : 0
; COMPUTE_PGM_RSRC2:SCRATCH_EN: 0
; COMPUTE_PGM_RSRC2:USER_SGPR: 6
; COMPUTE_PGM_RSRC2:TRAP_HANDLER: 0
; COMPUTE_PGM_RSRC2:TGID_X_EN: 1
; COMPUTE_PGM_RSRC2:TGID_Y_EN: 0
; COMPUTE_PGM_RSRC2:TGID_Z_EN: 0
; COMPUTE_PGM_RSRC2:TIDIG_COMP_CNT: 0
	.section	.text._ZN2at6native29vectorized_elementwise_kernelILi8ENS0_11FillFunctorIaEESt5arrayIPcLm1EEEEviT0_T1_,"axG",@progbits,_ZN2at6native29vectorized_elementwise_kernelILi8ENS0_11FillFunctorIaEESt5arrayIPcLm1EEEEviT0_T1_,comdat
	.protected	_ZN2at6native29vectorized_elementwise_kernelILi8ENS0_11FillFunctorIaEESt5arrayIPcLm1EEEEviT0_T1_ ; -- Begin function _ZN2at6native29vectorized_elementwise_kernelILi8ENS0_11FillFunctorIaEESt5arrayIPcLm1EEEEviT0_T1_
	.globl	_ZN2at6native29vectorized_elementwise_kernelILi8ENS0_11FillFunctorIaEESt5arrayIPcLm1EEEEviT0_T1_
	.p2align	8
	.type	_ZN2at6native29vectorized_elementwise_kernelILi8ENS0_11FillFunctorIaEESt5arrayIPcLm1EEEEviT0_T1_,@function
_ZN2at6native29vectorized_elementwise_kernelILi8ENS0_11FillFunctorIaEESt5arrayIPcLm1EEEEviT0_T1_: ; @_ZN2at6native29vectorized_elementwise_kernelILi8ENS0_11FillFunctorIaEESt5arrayIPcLm1EEEEviT0_T1_
; %bb.0:
	s_load_dwordx4 s[8:11], s[4:5], 0x0
	s_lshl_b32 s2, s6, 12
	s_mov_b64 s[0:1], -1
	s_waitcnt lgkmcnt(0)
	s_sub_i32 s3, s8, s2
	s_cmpk_gt_i32 s3, 0xfff
	s_cbranch_scc0 .LBB9_2
; %bb.1:
	s_lshl_b32 s0, s9, 8
	s_and_b32 s1, s9, 0xff
	s_or_b32 s0, s1, s0
	s_and_b32 s1, s0, 0xffff
	s_lshl_b32 s0, s0, 16
	s_or_b32 s0, s1, s0
	s_mov_b32 s1, s0
	s_ashr_i32 s5, s2, 31
	s_add_u32 s4, s10, s2
	v_mov_b32_e32 v2, s1
	s_addc_u32 s5, s11, s5
	v_lshlrev_b32_e32 v3, 3, v0
	v_mov_b32_e32 v1, s0
	global_store_dwordx2 v3, v[1:2], s[4:5]
	global_store_dwordx2 v3, v[1:2], s[4:5] offset:2048
	s_mov_b64 s[0:1], 0
.LBB9_2:
	s_andn2_b64 vcc, exec, s[0:1]
	s_cbranch_vccnz .LBB9_20
; %bb.3:
	s_and_b32 s0, s9, 0xff
	v_mov_b32_e32 v1, s0
	v_cmp_gt_i32_e32 vcc, s3, v0
	v_cndmask_b32_e32 v2, 0, v1, vcc
	v_mov_b32_e32 v6, 0x7060004
	v_or_b32_e32 v5, 0x100, v0
	v_perm_b32 v3, v2, s9, v6
	v_cmp_gt_i32_e64 s[0:1], s3, v5
	v_cndmask_b32_e64 v2, v2, v3, s[0:1]
	v_mov_b32_e32 v7, 0xc0c0304
	v_perm_b32 v4, s9, v2, v7
	v_or_b32_e32 v3, 0x200, v0
	v_lshlrev_b32_e32 v4, 16, v4
	s_mov_b32 s4, 0xffff
	v_and_or_b32 v4, v2, s4, v4
	v_cmp_gt_i32_e64 s[0:1], s3, v3
	v_cndmask_b32_e64 v2, v2, v4, s[0:1]
	v_mov_b32_e32 v8, 0xc0c0006
	v_perm_b32 v4, v2, s9, v8
	v_or_b32_e32 v3, 0x300, v0
	v_lshlrev_b32_e32 v4, 16, v4
	v_and_or_b32 v4, v2, s4, v4
	v_cmp_gt_i32_e64 s[0:1], s3, v3
	v_cndmask_b32_e64 v4, v2, v4, s[0:1]
	v_mov_b32_e32 v2, 0x3020104
	v_perm_b32 v9, s9, 0, v2
	v_or_b32_e32 v2, 0x400, v0
	v_cmp_gt_i32_e64 s[0:1], s3, v2
	v_cndmask_b32_e64 v2, 0, v9, s[0:1]
	v_or_b32_e32 v10, 0x500, v0
	v_perm_b32 v3, v2, s9, v6
	v_cmp_gt_i32_e64 s[0:1], s3, v10
	v_cndmask_b32_e64 v2, v2, v3, s[0:1]
	v_or_b32_e32 v3, 0x600, v0
	v_mov_b32_e32 v10, 0x7000504
	v_perm_b32 v11, v2, s9, v10
	v_cmp_gt_i32_e64 s[0:1], s3, v3
	v_cndmask_b32_e64 v2, v2, v11, s[0:1]
	v_or_b32_e32 v3, 0x700, v0
	v_mov_b32_e32 v11, 0x60504
	v_perm_b32 v12, v2, s9, v11
	v_cmp_gt_i32_e64 s[0:1], s3, v3
	v_cndmask_b32_e64 v3, v2, v12, s[0:1]
	v_or_b32_e32 v2, 0x800, v0
	v_cmp_gt_i32_e64 s[0:1], s3, v2
	v_cndmask_b32_e64 v1, 0, v1, s[0:1]
	v_or_b32_e32 v12, 0x900, v0
	v_perm_b32 v2, v1, s9, v6
	v_cmp_gt_i32_e64 s[0:1], s3, v12
	v_cndmask_b32_e64 v1, v1, v2, s[0:1]
	v_perm_b32 v7, s9, v1, v7
	v_or_b32_e32 v2, 0xa00, v0
	v_lshlrev_b32_e32 v7, 16, v7
	v_and_or_b32 v7, v1, s4, v7
	v_cmp_gt_i32_e64 s[0:1], s3, v2
	v_cndmask_b32_e64 v1, v1, v7, s[0:1]
	v_perm_b32 v7, v1, s9, v8
	v_or_b32_e32 v2, 0xb00, v0
	v_lshlrev_b32_e32 v7, 16, v7
	v_and_or_b32 v7, v1, s4, v7
	v_cmp_gt_i32_e64 s[0:1], s3, v2
	v_cndmask_b32_e64 v2, v1, v7, s[0:1]
	v_or_b32_e32 v1, 0xc00, v0
	v_cmp_gt_i32_e64 s[0:1], s3, v1
	v_cndmask_b32_e64 v1, 0, v9, s[0:1]
	v_or_b32_e32 v7, 0xd00, v0
	v_perm_b32 v6, v1, s9, v6
	v_cmp_gt_i32_e64 s[0:1], s3, v7
	v_cndmask_b32_e64 v1, v1, v6, s[0:1]
	v_or_b32_e32 v6, 0xe00, v0
	v_perm_b32 v7, v1, s9, v10
	v_cmp_gt_i32_e64 s[0:1], s3, v6
	v_cndmask_b32_e64 v1, v1, v7, s[0:1]
	v_or_b32_e32 v6, 0xf00, v0
	v_perm_b32 v7, v1, s9, v11
	v_cmp_gt_i32_e64 s[0:1], s3, v6
	v_cndmask_b32_e64 v1, v1, v7, s[0:1]
	s_and_saveexec_b64 s[0:1], vcc
	s_cbranch_execnz .LBB9_21
; %bb.4:
	s_or_b64 exec, exec, s[0:1]
	v_cmp_gt_i32_e32 vcc, s3, v0
	s_and_saveexec_b64 s[0:1], vcc
	s_cbranch_execnz .LBB9_22
.LBB9_5:
	s_or_b64 exec, exec, s[0:1]
	v_cmp_gt_i32_e32 vcc, s3, v0
	s_and_saveexec_b64 s[0:1], vcc
	s_cbranch_execnz .LBB9_23
.LBB9_6:
	s_or_b64 exec, exec, s[0:1]
	v_cmp_gt_i32_e32 vcc, s3, v0
	s_and_saveexec_b64 s[0:1], vcc
	s_cbranch_execnz .LBB9_24
.LBB9_7:
	s_or_b64 exec, exec, s[0:1]
	v_cmp_gt_i32_e32 vcc, s3, v0
	s_and_saveexec_b64 s[0:1], vcc
	s_cbranch_execnz .LBB9_25
.LBB9_8:
	s_or_b64 exec, exec, s[0:1]
	v_cmp_gt_i32_e32 vcc, s3, v0
	s_and_saveexec_b64 s[0:1], vcc
	s_cbranch_execnz .LBB9_26
.LBB9_9:
	s_or_b64 exec, exec, s[0:1]
	v_cmp_gt_i32_e32 vcc, s3, v0
	s_and_saveexec_b64 s[0:1], vcc
	s_cbranch_execnz .LBB9_27
.LBB9_10:
	s_or_b64 exec, exec, s[0:1]
	v_cmp_gt_i32_e32 vcc, s3, v0
	s_and_saveexec_b64 s[0:1], vcc
	s_cbranch_execnz .LBB9_28
.LBB9_11:
	s_or_b64 exec, exec, s[0:1]
	v_cmp_gt_i32_e32 vcc, s3, v0
	s_and_saveexec_b64 s[0:1], vcc
	s_cbranch_execnz .LBB9_29
.LBB9_12:
	s_or_b64 exec, exec, s[0:1]
	v_cmp_gt_i32_e32 vcc, s3, v0
	s_and_saveexec_b64 s[0:1], vcc
	s_cbranch_execnz .LBB9_30
.LBB9_13:
	s_or_b64 exec, exec, s[0:1]
	v_cmp_gt_i32_e32 vcc, s3, v0
	s_and_saveexec_b64 s[0:1], vcc
	s_cbranch_execnz .LBB9_31
.LBB9_14:
	s_or_b64 exec, exec, s[0:1]
	v_cmp_gt_i32_e32 vcc, s3, v0
	s_and_saveexec_b64 s[0:1], vcc
	s_cbranch_execnz .LBB9_32
.LBB9_15:
	s_or_b64 exec, exec, s[0:1]
	v_cmp_gt_i32_e32 vcc, s3, v0
	s_and_saveexec_b64 s[0:1], vcc
	s_cbranch_execnz .LBB9_33
.LBB9_16:
	s_or_b64 exec, exec, s[0:1]
	v_cmp_gt_i32_e32 vcc, s3, v0
	s_and_saveexec_b64 s[0:1], vcc
	s_cbranch_execnz .LBB9_34
.LBB9_17:
	s_or_b64 exec, exec, s[0:1]
	v_cmp_gt_i32_e32 vcc, s3, v0
	s_and_saveexec_b64 s[0:1], vcc
	s_cbranch_execnz .LBB9_35
.LBB9_18:
	s_or_b64 exec, exec, s[0:1]
	v_cmp_gt_i32_e32 vcc, s3, v0
	s_and_saveexec_b64 s[0:1], vcc
	s_cbranch_execz .LBB9_20
.LBB9_19:
	v_lshrrev_b32_e32 v1, 24, v1
	v_add_u32_e32 v0, s2, v0
	global_store_byte v0, v1, s[10:11]
.LBB9_20:
	s_endpgm
.LBB9_21:
	v_or_b32_e32 v0, s2, v0
	global_store_byte v0, v4, s[10:11]
	v_mov_b32_e32 v0, v5
	s_or_b64 exec, exec, s[0:1]
	v_cmp_gt_i32_e32 vcc, s3, v0
	s_and_saveexec_b64 s[0:1], vcc
	s_cbranch_execz .LBB9_5
.LBB9_22:
	v_lshrrev_b32_e32 v5, 8, v4
	v_add_u32_e32 v6, s2, v0
	v_add_u32_e32 v0, 0x100, v0
	global_store_byte v6, v5, s[10:11]
	s_or_b64 exec, exec, s[0:1]
	v_cmp_gt_i32_e32 vcc, s3, v0
	s_and_saveexec_b64 s[0:1], vcc
	s_cbranch_execz .LBB9_6
.LBB9_23:
	v_add_u32_e32 v5, s2, v0
	v_add_u32_e32 v0, 0x100, v0
	global_store_byte_d16_hi v5, v4, s[10:11]
	s_or_b64 exec, exec, s[0:1]
	v_cmp_gt_i32_e32 vcc, s3, v0
	s_and_saveexec_b64 s[0:1], vcc
	s_cbranch_execz .LBB9_7
.LBB9_24:
	v_lshrrev_b32_e32 v4, 24, v4
	v_add_u32_e32 v5, s2, v0
	v_add_u32_e32 v0, 0x100, v0
	global_store_byte v5, v4, s[10:11]
	s_or_b64 exec, exec, s[0:1]
	v_cmp_gt_i32_e32 vcc, s3, v0
	s_and_saveexec_b64 s[0:1], vcc
	s_cbranch_execz .LBB9_8
.LBB9_25:
	v_add_u32_e32 v4, s2, v0
	v_add_u32_e32 v0, 0x100, v0
	global_store_byte v4, v3, s[10:11]
	s_or_b64 exec, exec, s[0:1]
	v_cmp_gt_i32_e32 vcc, s3, v0
	s_and_saveexec_b64 s[0:1], vcc
	s_cbranch_execz .LBB9_9
.LBB9_26:
	v_lshrrev_b32_e32 v4, 8, v3
	v_add_u32_e32 v5, s2, v0
	v_add_u32_e32 v0, 0x100, v0
	global_store_byte v5, v4, s[10:11]
	s_or_b64 exec, exec, s[0:1]
	v_cmp_gt_i32_e32 vcc, s3, v0
	s_and_saveexec_b64 s[0:1], vcc
	s_cbranch_execz .LBB9_10
.LBB9_27:
	v_add_u32_e32 v4, s2, v0
	v_add_u32_e32 v0, 0x100, v0
	global_store_byte_d16_hi v4, v3, s[10:11]
	s_or_b64 exec, exec, s[0:1]
	v_cmp_gt_i32_e32 vcc, s3, v0
	s_and_saveexec_b64 s[0:1], vcc
	s_cbranch_execz .LBB9_11
.LBB9_28:
	v_lshrrev_b32_e32 v3, 24, v3
	v_add_u32_e32 v4, s2, v0
	v_add_u32_e32 v0, 0x100, v0
	global_store_byte v4, v3, s[10:11]
	s_or_b64 exec, exec, s[0:1]
	v_cmp_gt_i32_e32 vcc, s3, v0
	s_and_saveexec_b64 s[0:1], vcc
	s_cbranch_execz .LBB9_12
.LBB9_29:
	v_add_u32_e32 v3, s2, v0
	v_add_u32_e32 v0, 0x100, v0
	global_store_byte v3, v2, s[10:11]
	s_or_b64 exec, exec, s[0:1]
	v_cmp_gt_i32_e32 vcc, s3, v0
	s_and_saveexec_b64 s[0:1], vcc
	s_cbranch_execz .LBB9_13
.LBB9_30:
	v_lshrrev_b32_e32 v3, 8, v2
	v_add_u32_e32 v4, s2, v0
	v_add_u32_e32 v0, 0x100, v0
	global_store_byte v4, v3, s[10:11]
	s_or_b64 exec, exec, s[0:1]
	v_cmp_gt_i32_e32 vcc, s3, v0
	s_and_saveexec_b64 s[0:1], vcc
	s_cbranch_execz .LBB9_14
.LBB9_31:
	v_add_u32_e32 v3, s2, v0
	v_add_u32_e32 v0, 0x100, v0
	global_store_byte_d16_hi v3, v2, s[10:11]
	s_or_b64 exec, exec, s[0:1]
	v_cmp_gt_i32_e32 vcc, s3, v0
	s_and_saveexec_b64 s[0:1], vcc
	s_cbranch_execz .LBB9_15
.LBB9_32:
	v_lshrrev_b32_e32 v2, 24, v2
	v_add_u32_e32 v3, s2, v0
	v_add_u32_e32 v0, 0x100, v0
	global_store_byte v3, v2, s[10:11]
	s_or_b64 exec, exec, s[0:1]
	v_cmp_gt_i32_e32 vcc, s3, v0
	s_and_saveexec_b64 s[0:1], vcc
	s_cbranch_execz .LBB9_16
.LBB9_33:
	v_add_u32_e32 v2, s2, v0
	v_add_u32_e32 v0, 0x100, v0
	global_store_byte v2, v1, s[10:11]
	s_or_b64 exec, exec, s[0:1]
	v_cmp_gt_i32_e32 vcc, s3, v0
	s_and_saveexec_b64 s[0:1], vcc
	s_cbranch_execz .LBB9_17
.LBB9_34:
	v_lshrrev_b32_e32 v2, 8, v1
	v_add_u32_e32 v3, s2, v0
	v_add_u32_e32 v0, 0x100, v0
	global_store_byte v3, v2, s[10:11]
	s_or_b64 exec, exec, s[0:1]
	v_cmp_gt_i32_e32 vcc, s3, v0
	s_and_saveexec_b64 s[0:1], vcc
	s_cbranch_execz .LBB9_18
.LBB9_35:
	v_add_u32_e32 v2, s2, v0
	v_add_u32_e32 v0, 0x100, v0
	global_store_byte_d16_hi v2, v1, s[10:11]
	s_or_b64 exec, exec, s[0:1]
	v_cmp_gt_i32_e32 vcc, s3, v0
	s_and_saveexec_b64 s[0:1], vcc
	s_cbranch_execnz .LBB9_19
	s_branch .LBB9_20
	.section	.rodata,"a",@progbits
	.p2align	6, 0x0
	.amdhsa_kernel _ZN2at6native29vectorized_elementwise_kernelILi8ENS0_11FillFunctorIaEESt5arrayIPcLm1EEEEviT0_T1_
		.amdhsa_group_segment_fixed_size 0
		.amdhsa_private_segment_fixed_size 0
		.amdhsa_kernarg_size 16
		.amdhsa_user_sgpr_count 6
		.amdhsa_user_sgpr_private_segment_buffer 1
		.amdhsa_user_sgpr_dispatch_ptr 0
		.amdhsa_user_sgpr_queue_ptr 0
		.amdhsa_user_sgpr_kernarg_segment_ptr 1
		.amdhsa_user_sgpr_dispatch_id 0
		.amdhsa_user_sgpr_flat_scratch_init 0
		.amdhsa_user_sgpr_private_segment_size 0
		.amdhsa_uses_dynamic_stack 0
		.amdhsa_system_sgpr_private_segment_wavefront_offset 0
		.amdhsa_system_sgpr_workgroup_id_x 1
		.amdhsa_system_sgpr_workgroup_id_y 0
		.amdhsa_system_sgpr_workgroup_id_z 0
		.amdhsa_system_sgpr_workgroup_info 0
		.amdhsa_system_vgpr_workitem_id 0
		.amdhsa_next_free_vgpr 13
		.amdhsa_next_free_sgpr 12
		.amdhsa_reserve_vcc 1
		.amdhsa_reserve_flat_scratch 0
		.amdhsa_float_round_mode_32 0
		.amdhsa_float_round_mode_16_64 0
		.amdhsa_float_denorm_mode_32 3
		.amdhsa_float_denorm_mode_16_64 3
		.amdhsa_dx10_clamp 1
		.amdhsa_ieee_mode 1
		.amdhsa_fp16_overflow 0
		.amdhsa_exception_fp_ieee_invalid_op 0
		.amdhsa_exception_fp_denorm_src 0
		.amdhsa_exception_fp_ieee_div_zero 0
		.amdhsa_exception_fp_ieee_overflow 0
		.amdhsa_exception_fp_ieee_underflow 0
		.amdhsa_exception_fp_ieee_inexact 0
		.amdhsa_exception_int_div_zero 0
	.end_amdhsa_kernel
	.section	.text._ZN2at6native29vectorized_elementwise_kernelILi8ENS0_11FillFunctorIaEESt5arrayIPcLm1EEEEviT0_T1_,"axG",@progbits,_ZN2at6native29vectorized_elementwise_kernelILi8ENS0_11FillFunctorIaEESt5arrayIPcLm1EEEEviT0_T1_,comdat
.Lfunc_end9:
	.size	_ZN2at6native29vectorized_elementwise_kernelILi8ENS0_11FillFunctorIaEESt5arrayIPcLm1EEEEviT0_T1_, .Lfunc_end9-_ZN2at6native29vectorized_elementwise_kernelILi8ENS0_11FillFunctorIaEESt5arrayIPcLm1EEEEviT0_T1_
                                        ; -- End function
	.set _ZN2at6native29vectorized_elementwise_kernelILi8ENS0_11FillFunctorIaEESt5arrayIPcLm1EEEEviT0_T1_.num_vgpr, 13
	.set _ZN2at6native29vectorized_elementwise_kernelILi8ENS0_11FillFunctorIaEESt5arrayIPcLm1EEEEviT0_T1_.num_agpr, 0
	.set _ZN2at6native29vectorized_elementwise_kernelILi8ENS0_11FillFunctorIaEESt5arrayIPcLm1EEEEviT0_T1_.numbered_sgpr, 12
	.set _ZN2at6native29vectorized_elementwise_kernelILi8ENS0_11FillFunctorIaEESt5arrayIPcLm1EEEEviT0_T1_.num_named_barrier, 0
	.set _ZN2at6native29vectorized_elementwise_kernelILi8ENS0_11FillFunctorIaEESt5arrayIPcLm1EEEEviT0_T1_.private_seg_size, 0
	.set _ZN2at6native29vectorized_elementwise_kernelILi8ENS0_11FillFunctorIaEESt5arrayIPcLm1EEEEviT0_T1_.uses_vcc, 1
	.set _ZN2at6native29vectorized_elementwise_kernelILi8ENS0_11FillFunctorIaEESt5arrayIPcLm1EEEEviT0_T1_.uses_flat_scratch, 0
	.set _ZN2at6native29vectorized_elementwise_kernelILi8ENS0_11FillFunctorIaEESt5arrayIPcLm1EEEEviT0_T1_.has_dyn_sized_stack, 0
	.set _ZN2at6native29vectorized_elementwise_kernelILi8ENS0_11FillFunctorIaEESt5arrayIPcLm1EEEEviT0_T1_.has_recursion, 0
	.set _ZN2at6native29vectorized_elementwise_kernelILi8ENS0_11FillFunctorIaEESt5arrayIPcLm1EEEEviT0_T1_.has_indirect_call, 0
	.section	.AMDGPU.csdata,"",@progbits
; Kernel info:
; codeLenInByte = 1544
; TotalNumSgprs: 16
; NumVgprs: 13
; ScratchSize: 0
; MemoryBound: 0
; FloatMode: 240
; IeeeMode: 1
; LDSByteSize: 0 bytes/workgroup (compile time only)
; SGPRBlocks: 1
; VGPRBlocks: 3
; NumSGPRsForWavesPerEU: 16
; NumVGPRsForWavesPerEU: 13
; Occupancy: 10
; WaveLimiterHint : 1
; COMPUTE_PGM_RSRC2:SCRATCH_EN: 0
; COMPUTE_PGM_RSRC2:USER_SGPR: 6
; COMPUTE_PGM_RSRC2:TRAP_HANDLER: 0
; COMPUTE_PGM_RSRC2:TGID_X_EN: 1
; COMPUTE_PGM_RSRC2:TGID_Y_EN: 0
; COMPUTE_PGM_RSRC2:TGID_Z_EN: 0
; COMPUTE_PGM_RSRC2:TIDIG_COMP_CNT: 0
	.section	.text._ZN2at6native29vectorized_elementwise_kernelILi4ENS0_11FillFunctorIaEESt5arrayIPcLm1EEEEviT0_T1_,"axG",@progbits,_ZN2at6native29vectorized_elementwise_kernelILi4ENS0_11FillFunctorIaEESt5arrayIPcLm1EEEEviT0_T1_,comdat
	.protected	_ZN2at6native29vectorized_elementwise_kernelILi4ENS0_11FillFunctorIaEESt5arrayIPcLm1EEEEviT0_T1_ ; -- Begin function _ZN2at6native29vectorized_elementwise_kernelILi4ENS0_11FillFunctorIaEESt5arrayIPcLm1EEEEviT0_T1_
	.globl	_ZN2at6native29vectorized_elementwise_kernelILi4ENS0_11FillFunctorIaEESt5arrayIPcLm1EEEEviT0_T1_
	.p2align	8
	.type	_ZN2at6native29vectorized_elementwise_kernelILi4ENS0_11FillFunctorIaEESt5arrayIPcLm1EEEEviT0_T1_,@function
_ZN2at6native29vectorized_elementwise_kernelILi4ENS0_11FillFunctorIaEESt5arrayIPcLm1EEEEviT0_T1_: ; @_ZN2at6native29vectorized_elementwise_kernelILi4ENS0_11FillFunctorIaEESt5arrayIPcLm1EEEEviT0_T1_
; %bb.0:
	s_load_dwordx4 s[8:11], s[4:5], 0x0
	s_lshl_b32 s2, s6, 12
	s_mov_b64 s[0:1], -1
	s_waitcnt lgkmcnt(0)
	s_sub_i32 s3, s8, s2
	s_cmpk_gt_i32 s3, 0xfff
	s_cbranch_scc0 .LBB10_2
; %bb.1:
	s_lshl_b32 s0, s9, 8
	s_and_b32 s1, s9, 0xff
	s_or_b32 s0, s1, s0
	s_and_b32 s1, s0, 0xffff
	s_lshl_b32 s0, s0, 16
	s_or_b32 s4, s1, s0
	s_ashr_i32 s1, s2, 31
	s_add_u32 s0, s10, s2
	s_addc_u32 s1, s11, s1
	v_lshlrev_b32_e32 v1, 2, v0
	v_mov_b32_e32 v2, s4
	global_store_dword v1, v2, s[0:1]
	global_store_dword v1, v2, s[0:1] offset:1024
	global_store_dword v1, v2, s[0:1] offset:2048
	;; [unrolled: 1-line block ×3, first 2 shown]
	s_mov_b64 s[0:1], 0
.LBB10_2:
	s_andn2_b64 vcc, exec, s[0:1]
	s_cbranch_vccnz .LBB10_20
; %bb.3:
	s_and_b32 s0, s9, 0xff
	v_mov_b32_e32 v1, s0
	v_cmp_gt_i32_e32 vcc, s3, v0
	v_cndmask_b32_e32 v2, 0, v1, vcc
	v_mov_b32_e32 v6, 0x7060004
	v_or_b32_e32 v5, 0x100, v0
	v_perm_b32 v3, v2, s9, v6
	v_cmp_gt_i32_e64 s[0:1], s3, v5
	v_cndmask_b32_e64 v2, v2, v3, s[0:1]
	v_mov_b32_e32 v7, 0xc0c0304
	v_perm_b32 v4, s9, v2, v7
	v_or_b32_e32 v3, 0x200, v0
	v_lshlrev_b32_e32 v4, 16, v4
	s_mov_b32 s4, 0xffff
	v_and_or_b32 v4, v2, s4, v4
	v_cmp_gt_i32_e64 s[0:1], s3, v3
	v_cndmask_b32_e64 v2, v2, v4, s[0:1]
	v_mov_b32_e32 v8, 0xc0c0006
	v_perm_b32 v4, v2, s9, v8
	v_or_b32_e32 v3, 0x300, v0
	v_lshlrev_b32_e32 v4, 16, v4
	v_and_or_b32 v4, v2, s4, v4
	v_cmp_gt_i32_e64 s[0:1], s3, v3
	v_cndmask_b32_e64 v4, v2, v4, s[0:1]
	v_mov_b32_e32 v2, 0x3020104
	v_perm_b32 v9, s9, 0, v2
	v_or_b32_e32 v2, 0x400, v0
	v_cmp_gt_i32_e64 s[0:1], s3, v2
	v_cndmask_b32_e64 v2, 0, v9, s[0:1]
	v_or_b32_e32 v10, 0x500, v0
	v_perm_b32 v3, v2, s9, v6
	v_cmp_gt_i32_e64 s[0:1], s3, v10
	v_cndmask_b32_e64 v2, v2, v3, s[0:1]
	v_or_b32_e32 v3, 0x600, v0
	v_mov_b32_e32 v10, 0x7000504
	v_perm_b32 v11, v2, s9, v10
	v_cmp_gt_i32_e64 s[0:1], s3, v3
	v_cndmask_b32_e64 v2, v2, v11, s[0:1]
	v_or_b32_e32 v3, 0x700, v0
	v_mov_b32_e32 v11, 0x60504
	v_perm_b32 v12, v2, s9, v11
	v_cmp_gt_i32_e64 s[0:1], s3, v3
	v_cndmask_b32_e64 v3, v2, v12, s[0:1]
	v_or_b32_e32 v2, 0x800, v0
	v_cmp_gt_i32_e64 s[0:1], s3, v2
	v_cndmask_b32_e64 v1, 0, v1, s[0:1]
	v_or_b32_e32 v12, 0x900, v0
	v_perm_b32 v2, v1, s9, v6
	v_cmp_gt_i32_e64 s[0:1], s3, v12
	v_cndmask_b32_e64 v1, v1, v2, s[0:1]
	v_perm_b32 v7, s9, v1, v7
	v_or_b32_e32 v2, 0xa00, v0
	v_lshlrev_b32_e32 v7, 16, v7
	v_and_or_b32 v7, v1, s4, v7
	v_cmp_gt_i32_e64 s[0:1], s3, v2
	v_cndmask_b32_e64 v1, v1, v7, s[0:1]
	v_perm_b32 v7, v1, s9, v8
	v_or_b32_e32 v2, 0xb00, v0
	v_lshlrev_b32_e32 v7, 16, v7
	v_and_or_b32 v7, v1, s4, v7
	v_cmp_gt_i32_e64 s[0:1], s3, v2
	v_cndmask_b32_e64 v2, v1, v7, s[0:1]
	v_or_b32_e32 v1, 0xc00, v0
	v_cmp_gt_i32_e64 s[0:1], s3, v1
	v_cndmask_b32_e64 v1, 0, v9, s[0:1]
	v_or_b32_e32 v7, 0xd00, v0
	v_perm_b32 v6, v1, s9, v6
	v_cmp_gt_i32_e64 s[0:1], s3, v7
	v_cndmask_b32_e64 v1, v1, v6, s[0:1]
	v_or_b32_e32 v6, 0xe00, v0
	v_perm_b32 v7, v1, s9, v10
	;; [unrolled: 4-line block ×3, first 2 shown]
	v_cmp_gt_i32_e64 s[0:1], s3, v6
	v_cndmask_b32_e64 v1, v1, v7, s[0:1]
	s_and_saveexec_b64 s[0:1], vcc
	s_cbranch_execnz .LBB10_21
; %bb.4:
	s_or_b64 exec, exec, s[0:1]
	v_cmp_gt_i32_e32 vcc, s3, v0
	s_and_saveexec_b64 s[0:1], vcc
	s_cbranch_execnz .LBB10_22
.LBB10_5:
	s_or_b64 exec, exec, s[0:1]
	v_cmp_gt_i32_e32 vcc, s3, v0
	s_and_saveexec_b64 s[0:1], vcc
	s_cbranch_execnz .LBB10_23
.LBB10_6:
	s_or_b64 exec, exec, s[0:1]
	v_cmp_gt_i32_e32 vcc, s3, v0
	s_and_saveexec_b64 s[0:1], vcc
	s_cbranch_execnz .LBB10_24
.LBB10_7:
	s_or_b64 exec, exec, s[0:1]
	v_cmp_gt_i32_e32 vcc, s3, v0
	s_and_saveexec_b64 s[0:1], vcc
	s_cbranch_execnz .LBB10_25
.LBB10_8:
	s_or_b64 exec, exec, s[0:1]
	v_cmp_gt_i32_e32 vcc, s3, v0
	s_and_saveexec_b64 s[0:1], vcc
	s_cbranch_execnz .LBB10_26
.LBB10_9:
	s_or_b64 exec, exec, s[0:1]
	v_cmp_gt_i32_e32 vcc, s3, v0
	s_and_saveexec_b64 s[0:1], vcc
	s_cbranch_execnz .LBB10_27
.LBB10_10:
	s_or_b64 exec, exec, s[0:1]
	v_cmp_gt_i32_e32 vcc, s3, v0
	s_and_saveexec_b64 s[0:1], vcc
	s_cbranch_execnz .LBB10_28
.LBB10_11:
	s_or_b64 exec, exec, s[0:1]
	v_cmp_gt_i32_e32 vcc, s3, v0
	s_and_saveexec_b64 s[0:1], vcc
	s_cbranch_execnz .LBB10_29
.LBB10_12:
	s_or_b64 exec, exec, s[0:1]
	v_cmp_gt_i32_e32 vcc, s3, v0
	s_and_saveexec_b64 s[0:1], vcc
	s_cbranch_execnz .LBB10_30
.LBB10_13:
	s_or_b64 exec, exec, s[0:1]
	v_cmp_gt_i32_e32 vcc, s3, v0
	s_and_saveexec_b64 s[0:1], vcc
	s_cbranch_execnz .LBB10_31
.LBB10_14:
	s_or_b64 exec, exec, s[0:1]
	v_cmp_gt_i32_e32 vcc, s3, v0
	s_and_saveexec_b64 s[0:1], vcc
	s_cbranch_execnz .LBB10_32
.LBB10_15:
	s_or_b64 exec, exec, s[0:1]
	v_cmp_gt_i32_e32 vcc, s3, v0
	s_and_saveexec_b64 s[0:1], vcc
	s_cbranch_execnz .LBB10_33
.LBB10_16:
	s_or_b64 exec, exec, s[0:1]
	v_cmp_gt_i32_e32 vcc, s3, v0
	s_and_saveexec_b64 s[0:1], vcc
	s_cbranch_execnz .LBB10_34
.LBB10_17:
	s_or_b64 exec, exec, s[0:1]
	v_cmp_gt_i32_e32 vcc, s3, v0
	s_and_saveexec_b64 s[0:1], vcc
	s_cbranch_execnz .LBB10_35
.LBB10_18:
	s_or_b64 exec, exec, s[0:1]
	v_cmp_gt_i32_e32 vcc, s3, v0
	s_and_saveexec_b64 s[0:1], vcc
	s_cbranch_execz .LBB10_20
.LBB10_19:
	v_lshrrev_b32_e32 v1, 24, v1
	v_add_u32_e32 v0, s2, v0
	global_store_byte v0, v1, s[10:11]
.LBB10_20:
	s_endpgm
.LBB10_21:
	v_or_b32_e32 v0, s2, v0
	global_store_byte v0, v4, s[10:11]
	v_mov_b32_e32 v0, v5
	s_or_b64 exec, exec, s[0:1]
	v_cmp_gt_i32_e32 vcc, s3, v0
	s_and_saveexec_b64 s[0:1], vcc
	s_cbranch_execz .LBB10_5
.LBB10_22:
	v_lshrrev_b32_e32 v5, 8, v4
	v_add_u32_e32 v6, s2, v0
	v_add_u32_e32 v0, 0x100, v0
	global_store_byte v6, v5, s[10:11]
	s_or_b64 exec, exec, s[0:1]
	v_cmp_gt_i32_e32 vcc, s3, v0
	s_and_saveexec_b64 s[0:1], vcc
	s_cbranch_execz .LBB10_6
.LBB10_23:
	v_add_u32_e32 v5, s2, v0
	v_add_u32_e32 v0, 0x100, v0
	global_store_byte_d16_hi v5, v4, s[10:11]
	s_or_b64 exec, exec, s[0:1]
	v_cmp_gt_i32_e32 vcc, s3, v0
	s_and_saveexec_b64 s[0:1], vcc
	s_cbranch_execz .LBB10_7
.LBB10_24:
	v_lshrrev_b32_e32 v4, 24, v4
	v_add_u32_e32 v5, s2, v0
	v_add_u32_e32 v0, 0x100, v0
	global_store_byte v5, v4, s[10:11]
	s_or_b64 exec, exec, s[0:1]
	v_cmp_gt_i32_e32 vcc, s3, v0
	s_and_saveexec_b64 s[0:1], vcc
	s_cbranch_execz .LBB10_8
.LBB10_25:
	v_add_u32_e32 v4, s2, v0
	v_add_u32_e32 v0, 0x100, v0
	global_store_byte v4, v3, s[10:11]
	s_or_b64 exec, exec, s[0:1]
	v_cmp_gt_i32_e32 vcc, s3, v0
	s_and_saveexec_b64 s[0:1], vcc
	s_cbranch_execz .LBB10_9
.LBB10_26:
	v_lshrrev_b32_e32 v4, 8, v3
	v_add_u32_e32 v5, s2, v0
	v_add_u32_e32 v0, 0x100, v0
	global_store_byte v5, v4, s[10:11]
	s_or_b64 exec, exec, s[0:1]
	v_cmp_gt_i32_e32 vcc, s3, v0
	s_and_saveexec_b64 s[0:1], vcc
	s_cbranch_execz .LBB10_10
.LBB10_27:
	v_add_u32_e32 v4, s2, v0
	v_add_u32_e32 v0, 0x100, v0
	global_store_byte_d16_hi v4, v3, s[10:11]
	s_or_b64 exec, exec, s[0:1]
	v_cmp_gt_i32_e32 vcc, s3, v0
	s_and_saveexec_b64 s[0:1], vcc
	s_cbranch_execz .LBB10_11
.LBB10_28:
	v_lshrrev_b32_e32 v3, 24, v3
	v_add_u32_e32 v4, s2, v0
	v_add_u32_e32 v0, 0x100, v0
	global_store_byte v4, v3, s[10:11]
	s_or_b64 exec, exec, s[0:1]
	v_cmp_gt_i32_e32 vcc, s3, v0
	s_and_saveexec_b64 s[0:1], vcc
	s_cbranch_execz .LBB10_12
.LBB10_29:
	v_add_u32_e32 v3, s2, v0
	v_add_u32_e32 v0, 0x100, v0
	global_store_byte v3, v2, s[10:11]
	s_or_b64 exec, exec, s[0:1]
	v_cmp_gt_i32_e32 vcc, s3, v0
	s_and_saveexec_b64 s[0:1], vcc
	s_cbranch_execz .LBB10_13
.LBB10_30:
	v_lshrrev_b32_e32 v3, 8, v2
	v_add_u32_e32 v4, s2, v0
	v_add_u32_e32 v0, 0x100, v0
	global_store_byte v4, v3, s[10:11]
	s_or_b64 exec, exec, s[0:1]
	v_cmp_gt_i32_e32 vcc, s3, v0
	s_and_saveexec_b64 s[0:1], vcc
	s_cbranch_execz .LBB10_14
.LBB10_31:
	v_add_u32_e32 v3, s2, v0
	v_add_u32_e32 v0, 0x100, v0
	global_store_byte_d16_hi v3, v2, s[10:11]
	s_or_b64 exec, exec, s[0:1]
	v_cmp_gt_i32_e32 vcc, s3, v0
	s_and_saveexec_b64 s[0:1], vcc
	s_cbranch_execz .LBB10_15
.LBB10_32:
	v_lshrrev_b32_e32 v2, 24, v2
	v_add_u32_e32 v3, s2, v0
	v_add_u32_e32 v0, 0x100, v0
	global_store_byte v3, v2, s[10:11]
	s_or_b64 exec, exec, s[0:1]
	v_cmp_gt_i32_e32 vcc, s3, v0
	s_and_saveexec_b64 s[0:1], vcc
	s_cbranch_execz .LBB10_16
.LBB10_33:
	v_add_u32_e32 v2, s2, v0
	v_add_u32_e32 v0, 0x100, v0
	global_store_byte v2, v1, s[10:11]
	s_or_b64 exec, exec, s[0:1]
	v_cmp_gt_i32_e32 vcc, s3, v0
	s_and_saveexec_b64 s[0:1], vcc
	s_cbranch_execz .LBB10_17
.LBB10_34:
	v_lshrrev_b32_e32 v2, 8, v1
	v_add_u32_e32 v3, s2, v0
	v_add_u32_e32 v0, 0x100, v0
	global_store_byte v3, v2, s[10:11]
	s_or_b64 exec, exec, s[0:1]
	v_cmp_gt_i32_e32 vcc, s3, v0
	s_and_saveexec_b64 s[0:1], vcc
	s_cbranch_execz .LBB10_18
.LBB10_35:
	v_add_u32_e32 v2, s2, v0
	v_add_u32_e32 v0, 0x100, v0
	global_store_byte_d16_hi v2, v1, s[10:11]
	s_or_b64 exec, exec, s[0:1]
	v_cmp_gt_i32_e32 vcc, s3, v0
	s_and_saveexec_b64 s[0:1], vcc
	s_cbranch_execnz .LBB10_19
	s_branch .LBB10_20
	.section	.rodata,"a",@progbits
	.p2align	6, 0x0
	.amdhsa_kernel _ZN2at6native29vectorized_elementwise_kernelILi4ENS0_11FillFunctorIaEESt5arrayIPcLm1EEEEviT0_T1_
		.amdhsa_group_segment_fixed_size 0
		.amdhsa_private_segment_fixed_size 0
		.amdhsa_kernarg_size 16
		.amdhsa_user_sgpr_count 6
		.amdhsa_user_sgpr_private_segment_buffer 1
		.amdhsa_user_sgpr_dispatch_ptr 0
		.amdhsa_user_sgpr_queue_ptr 0
		.amdhsa_user_sgpr_kernarg_segment_ptr 1
		.amdhsa_user_sgpr_dispatch_id 0
		.amdhsa_user_sgpr_flat_scratch_init 0
		.amdhsa_user_sgpr_private_segment_size 0
		.amdhsa_uses_dynamic_stack 0
		.amdhsa_system_sgpr_private_segment_wavefront_offset 0
		.amdhsa_system_sgpr_workgroup_id_x 1
		.amdhsa_system_sgpr_workgroup_id_y 0
		.amdhsa_system_sgpr_workgroup_id_z 0
		.amdhsa_system_sgpr_workgroup_info 0
		.amdhsa_system_vgpr_workitem_id 0
		.amdhsa_next_free_vgpr 13
		.amdhsa_next_free_sgpr 12
		.amdhsa_reserve_vcc 1
		.amdhsa_reserve_flat_scratch 0
		.amdhsa_float_round_mode_32 0
		.amdhsa_float_round_mode_16_64 0
		.amdhsa_float_denorm_mode_32 3
		.amdhsa_float_denorm_mode_16_64 3
		.amdhsa_dx10_clamp 1
		.amdhsa_ieee_mode 1
		.amdhsa_fp16_overflow 0
		.amdhsa_exception_fp_ieee_invalid_op 0
		.amdhsa_exception_fp_denorm_src 0
		.amdhsa_exception_fp_ieee_div_zero 0
		.amdhsa_exception_fp_ieee_overflow 0
		.amdhsa_exception_fp_ieee_underflow 0
		.amdhsa_exception_fp_ieee_inexact 0
		.amdhsa_exception_int_div_zero 0
	.end_amdhsa_kernel
	.section	.text._ZN2at6native29vectorized_elementwise_kernelILi4ENS0_11FillFunctorIaEESt5arrayIPcLm1EEEEviT0_T1_,"axG",@progbits,_ZN2at6native29vectorized_elementwise_kernelILi4ENS0_11FillFunctorIaEESt5arrayIPcLm1EEEEviT0_T1_,comdat
.Lfunc_end10:
	.size	_ZN2at6native29vectorized_elementwise_kernelILi4ENS0_11FillFunctorIaEESt5arrayIPcLm1EEEEviT0_T1_, .Lfunc_end10-_ZN2at6native29vectorized_elementwise_kernelILi4ENS0_11FillFunctorIaEESt5arrayIPcLm1EEEEviT0_T1_
                                        ; -- End function
	.set _ZN2at6native29vectorized_elementwise_kernelILi4ENS0_11FillFunctorIaEESt5arrayIPcLm1EEEEviT0_T1_.num_vgpr, 13
	.set _ZN2at6native29vectorized_elementwise_kernelILi4ENS0_11FillFunctorIaEESt5arrayIPcLm1EEEEviT0_T1_.num_agpr, 0
	.set _ZN2at6native29vectorized_elementwise_kernelILi4ENS0_11FillFunctorIaEESt5arrayIPcLm1EEEEviT0_T1_.numbered_sgpr, 12
	.set _ZN2at6native29vectorized_elementwise_kernelILi4ENS0_11FillFunctorIaEESt5arrayIPcLm1EEEEviT0_T1_.num_named_barrier, 0
	.set _ZN2at6native29vectorized_elementwise_kernelILi4ENS0_11FillFunctorIaEESt5arrayIPcLm1EEEEviT0_T1_.private_seg_size, 0
	.set _ZN2at6native29vectorized_elementwise_kernelILi4ENS0_11FillFunctorIaEESt5arrayIPcLm1EEEEviT0_T1_.uses_vcc, 1
	.set _ZN2at6native29vectorized_elementwise_kernelILi4ENS0_11FillFunctorIaEESt5arrayIPcLm1EEEEviT0_T1_.uses_flat_scratch, 0
	.set _ZN2at6native29vectorized_elementwise_kernelILi4ENS0_11FillFunctorIaEESt5arrayIPcLm1EEEEviT0_T1_.has_dyn_sized_stack, 0
	.set _ZN2at6native29vectorized_elementwise_kernelILi4ENS0_11FillFunctorIaEESt5arrayIPcLm1EEEEviT0_T1_.has_recursion, 0
	.set _ZN2at6native29vectorized_elementwise_kernelILi4ENS0_11FillFunctorIaEESt5arrayIPcLm1EEEEviT0_T1_.has_indirect_call, 0
	.section	.AMDGPU.csdata,"",@progbits
; Kernel info:
; codeLenInByte = 1552
; TotalNumSgprs: 16
; NumVgprs: 13
; ScratchSize: 0
; MemoryBound: 0
; FloatMode: 240
; IeeeMode: 1
; LDSByteSize: 0 bytes/workgroup (compile time only)
; SGPRBlocks: 1
; VGPRBlocks: 3
; NumSGPRsForWavesPerEU: 16
; NumVGPRsForWavesPerEU: 13
; Occupancy: 10
; WaveLimiterHint : 1
; COMPUTE_PGM_RSRC2:SCRATCH_EN: 0
; COMPUTE_PGM_RSRC2:USER_SGPR: 6
; COMPUTE_PGM_RSRC2:TRAP_HANDLER: 0
; COMPUTE_PGM_RSRC2:TGID_X_EN: 1
; COMPUTE_PGM_RSRC2:TGID_Y_EN: 0
; COMPUTE_PGM_RSRC2:TGID_Z_EN: 0
; COMPUTE_PGM_RSRC2:TIDIG_COMP_CNT: 0
	.section	.text._ZN2at6native29vectorized_elementwise_kernelILi2ENS0_11FillFunctorIaEESt5arrayIPcLm1EEEEviT0_T1_,"axG",@progbits,_ZN2at6native29vectorized_elementwise_kernelILi2ENS0_11FillFunctorIaEESt5arrayIPcLm1EEEEviT0_T1_,comdat
	.protected	_ZN2at6native29vectorized_elementwise_kernelILi2ENS0_11FillFunctorIaEESt5arrayIPcLm1EEEEviT0_T1_ ; -- Begin function _ZN2at6native29vectorized_elementwise_kernelILi2ENS0_11FillFunctorIaEESt5arrayIPcLm1EEEEviT0_T1_
	.globl	_ZN2at6native29vectorized_elementwise_kernelILi2ENS0_11FillFunctorIaEESt5arrayIPcLm1EEEEviT0_T1_
	.p2align	8
	.type	_ZN2at6native29vectorized_elementwise_kernelILi2ENS0_11FillFunctorIaEESt5arrayIPcLm1EEEEviT0_T1_,@function
_ZN2at6native29vectorized_elementwise_kernelILi2ENS0_11FillFunctorIaEESt5arrayIPcLm1EEEEviT0_T1_: ; @_ZN2at6native29vectorized_elementwise_kernelILi2ENS0_11FillFunctorIaEESt5arrayIPcLm1EEEEviT0_T1_
; %bb.0:
	s_load_dwordx4 s[8:11], s[4:5], 0x0
	s_lshl_b32 s2, s6, 12
	s_mov_b64 s[0:1], -1
	s_waitcnt lgkmcnt(0)
	s_sub_i32 s3, s8, s2
	s_cmpk_gt_i32 s3, 0xfff
	s_cbranch_scc0 .LBB11_2
; %bb.1:
	s_lshl_b32 s0, s9, 8
	s_and_b32 s1, s9, 0xff
	s_or_b32 s4, s1, s0
	s_ashr_i32 s1, s2, 31
	s_add_u32 s0, s10, s2
	s_addc_u32 s1, s11, s1
	v_lshlrev_b32_e32 v1, 1, v0
	v_mov_b32_e32 v2, s4
	global_store_short v1, v2, s[0:1]
	global_store_short v1, v2, s[0:1] offset:512
	global_store_short v1, v2, s[0:1] offset:1024
	;; [unrolled: 1-line block ×7, first 2 shown]
	s_mov_b64 s[0:1], 0
.LBB11_2:
	s_andn2_b64 vcc, exec, s[0:1]
	s_cbranch_vccnz .LBB11_20
; %bb.3:
	s_and_b32 s0, s9, 0xff
	v_mov_b32_e32 v1, s0
	v_cmp_gt_i32_e32 vcc, s3, v0
	v_cndmask_b32_e32 v2, 0, v1, vcc
	v_mov_b32_e32 v6, 0x7060004
	v_or_b32_e32 v5, 0x100, v0
	v_perm_b32 v3, v2, s9, v6
	v_cmp_gt_i32_e64 s[0:1], s3, v5
	v_cndmask_b32_e64 v2, v2, v3, s[0:1]
	v_mov_b32_e32 v7, 0xc0c0304
	v_perm_b32 v4, s9, v2, v7
	v_or_b32_e32 v3, 0x200, v0
	v_lshlrev_b32_e32 v4, 16, v4
	s_mov_b32 s4, 0xffff
	v_and_or_b32 v4, v2, s4, v4
	v_cmp_gt_i32_e64 s[0:1], s3, v3
	v_cndmask_b32_e64 v2, v2, v4, s[0:1]
	v_mov_b32_e32 v8, 0xc0c0006
	v_perm_b32 v4, v2, s9, v8
	v_or_b32_e32 v3, 0x300, v0
	v_lshlrev_b32_e32 v4, 16, v4
	v_and_or_b32 v4, v2, s4, v4
	v_cmp_gt_i32_e64 s[0:1], s3, v3
	v_cndmask_b32_e64 v4, v2, v4, s[0:1]
	v_mov_b32_e32 v2, 0x3020104
	v_perm_b32 v9, s9, 0, v2
	v_or_b32_e32 v2, 0x400, v0
	v_cmp_gt_i32_e64 s[0:1], s3, v2
	v_cndmask_b32_e64 v2, 0, v9, s[0:1]
	v_or_b32_e32 v10, 0x500, v0
	v_perm_b32 v3, v2, s9, v6
	v_cmp_gt_i32_e64 s[0:1], s3, v10
	v_cndmask_b32_e64 v2, v2, v3, s[0:1]
	v_or_b32_e32 v3, 0x600, v0
	v_mov_b32_e32 v10, 0x7000504
	v_perm_b32 v11, v2, s9, v10
	v_cmp_gt_i32_e64 s[0:1], s3, v3
	v_cndmask_b32_e64 v2, v2, v11, s[0:1]
	v_or_b32_e32 v3, 0x700, v0
	v_mov_b32_e32 v11, 0x60504
	v_perm_b32 v12, v2, s9, v11
	v_cmp_gt_i32_e64 s[0:1], s3, v3
	v_cndmask_b32_e64 v3, v2, v12, s[0:1]
	v_or_b32_e32 v2, 0x800, v0
	v_cmp_gt_i32_e64 s[0:1], s3, v2
	v_cndmask_b32_e64 v1, 0, v1, s[0:1]
	v_or_b32_e32 v12, 0x900, v0
	v_perm_b32 v2, v1, s9, v6
	v_cmp_gt_i32_e64 s[0:1], s3, v12
	v_cndmask_b32_e64 v1, v1, v2, s[0:1]
	v_perm_b32 v7, s9, v1, v7
	v_or_b32_e32 v2, 0xa00, v0
	v_lshlrev_b32_e32 v7, 16, v7
	v_and_or_b32 v7, v1, s4, v7
	v_cmp_gt_i32_e64 s[0:1], s3, v2
	v_cndmask_b32_e64 v1, v1, v7, s[0:1]
	v_perm_b32 v7, v1, s9, v8
	v_or_b32_e32 v2, 0xb00, v0
	v_lshlrev_b32_e32 v7, 16, v7
	v_and_or_b32 v7, v1, s4, v7
	v_cmp_gt_i32_e64 s[0:1], s3, v2
	v_cndmask_b32_e64 v2, v1, v7, s[0:1]
	v_or_b32_e32 v1, 0xc00, v0
	v_cmp_gt_i32_e64 s[0:1], s3, v1
	v_cndmask_b32_e64 v1, 0, v9, s[0:1]
	v_or_b32_e32 v7, 0xd00, v0
	v_perm_b32 v6, v1, s9, v6
	v_cmp_gt_i32_e64 s[0:1], s3, v7
	v_cndmask_b32_e64 v1, v1, v6, s[0:1]
	v_or_b32_e32 v6, 0xe00, v0
	v_perm_b32 v7, v1, s9, v10
	;; [unrolled: 4-line block ×3, first 2 shown]
	v_cmp_gt_i32_e64 s[0:1], s3, v6
	v_cndmask_b32_e64 v1, v1, v7, s[0:1]
	s_and_saveexec_b64 s[0:1], vcc
	s_cbranch_execnz .LBB11_21
; %bb.4:
	s_or_b64 exec, exec, s[0:1]
	v_cmp_gt_i32_e32 vcc, s3, v0
	s_and_saveexec_b64 s[0:1], vcc
	s_cbranch_execnz .LBB11_22
.LBB11_5:
	s_or_b64 exec, exec, s[0:1]
	v_cmp_gt_i32_e32 vcc, s3, v0
	s_and_saveexec_b64 s[0:1], vcc
	s_cbranch_execnz .LBB11_23
.LBB11_6:
	s_or_b64 exec, exec, s[0:1]
	v_cmp_gt_i32_e32 vcc, s3, v0
	s_and_saveexec_b64 s[0:1], vcc
	s_cbranch_execnz .LBB11_24
.LBB11_7:
	s_or_b64 exec, exec, s[0:1]
	v_cmp_gt_i32_e32 vcc, s3, v0
	s_and_saveexec_b64 s[0:1], vcc
	s_cbranch_execnz .LBB11_25
.LBB11_8:
	s_or_b64 exec, exec, s[0:1]
	v_cmp_gt_i32_e32 vcc, s3, v0
	s_and_saveexec_b64 s[0:1], vcc
	s_cbranch_execnz .LBB11_26
.LBB11_9:
	s_or_b64 exec, exec, s[0:1]
	v_cmp_gt_i32_e32 vcc, s3, v0
	s_and_saveexec_b64 s[0:1], vcc
	s_cbranch_execnz .LBB11_27
.LBB11_10:
	s_or_b64 exec, exec, s[0:1]
	v_cmp_gt_i32_e32 vcc, s3, v0
	s_and_saveexec_b64 s[0:1], vcc
	s_cbranch_execnz .LBB11_28
.LBB11_11:
	s_or_b64 exec, exec, s[0:1]
	v_cmp_gt_i32_e32 vcc, s3, v0
	s_and_saveexec_b64 s[0:1], vcc
	s_cbranch_execnz .LBB11_29
.LBB11_12:
	s_or_b64 exec, exec, s[0:1]
	v_cmp_gt_i32_e32 vcc, s3, v0
	s_and_saveexec_b64 s[0:1], vcc
	s_cbranch_execnz .LBB11_30
.LBB11_13:
	s_or_b64 exec, exec, s[0:1]
	v_cmp_gt_i32_e32 vcc, s3, v0
	s_and_saveexec_b64 s[0:1], vcc
	s_cbranch_execnz .LBB11_31
.LBB11_14:
	s_or_b64 exec, exec, s[0:1]
	v_cmp_gt_i32_e32 vcc, s3, v0
	s_and_saveexec_b64 s[0:1], vcc
	s_cbranch_execnz .LBB11_32
.LBB11_15:
	s_or_b64 exec, exec, s[0:1]
	v_cmp_gt_i32_e32 vcc, s3, v0
	s_and_saveexec_b64 s[0:1], vcc
	s_cbranch_execnz .LBB11_33
.LBB11_16:
	s_or_b64 exec, exec, s[0:1]
	v_cmp_gt_i32_e32 vcc, s3, v0
	s_and_saveexec_b64 s[0:1], vcc
	s_cbranch_execnz .LBB11_34
.LBB11_17:
	s_or_b64 exec, exec, s[0:1]
	v_cmp_gt_i32_e32 vcc, s3, v0
	s_and_saveexec_b64 s[0:1], vcc
	s_cbranch_execnz .LBB11_35
.LBB11_18:
	s_or_b64 exec, exec, s[0:1]
	v_cmp_gt_i32_e32 vcc, s3, v0
	s_and_saveexec_b64 s[0:1], vcc
	s_cbranch_execz .LBB11_20
.LBB11_19:
	v_lshrrev_b32_e32 v1, 24, v1
	v_add_u32_e32 v0, s2, v0
	global_store_byte v0, v1, s[10:11]
.LBB11_20:
	s_endpgm
.LBB11_21:
	v_or_b32_e32 v0, s2, v0
	global_store_byte v0, v4, s[10:11]
	v_mov_b32_e32 v0, v5
	s_or_b64 exec, exec, s[0:1]
	v_cmp_gt_i32_e32 vcc, s3, v0
	s_and_saveexec_b64 s[0:1], vcc
	s_cbranch_execz .LBB11_5
.LBB11_22:
	v_lshrrev_b32_e32 v5, 8, v4
	v_add_u32_e32 v6, s2, v0
	v_add_u32_e32 v0, 0x100, v0
	global_store_byte v6, v5, s[10:11]
	s_or_b64 exec, exec, s[0:1]
	v_cmp_gt_i32_e32 vcc, s3, v0
	s_and_saveexec_b64 s[0:1], vcc
	s_cbranch_execz .LBB11_6
.LBB11_23:
	v_add_u32_e32 v5, s2, v0
	v_add_u32_e32 v0, 0x100, v0
	global_store_byte_d16_hi v5, v4, s[10:11]
	s_or_b64 exec, exec, s[0:1]
	v_cmp_gt_i32_e32 vcc, s3, v0
	s_and_saveexec_b64 s[0:1], vcc
	s_cbranch_execz .LBB11_7
.LBB11_24:
	v_lshrrev_b32_e32 v4, 24, v4
	v_add_u32_e32 v5, s2, v0
	v_add_u32_e32 v0, 0x100, v0
	global_store_byte v5, v4, s[10:11]
	s_or_b64 exec, exec, s[0:1]
	v_cmp_gt_i32_e32 vcc, s3, v0
	s_and_saveexec_b64 s[0:1], vcc
	s_cbranch_execz .LBB11_8
.LBB11_25:
	v_add_u32_e32 v4, s2, v0
	v_add_u32_e32 v0, 0x100, v0
	global_store_byte v4, v3, s[10:11]
	s_or_b64 exec, exec, s[0:1]
	v_cmp_gt_i32_e32 vcc, s3, v0
	s_and_saveexec_b64 s[0:1], vcc
	s_cbranch_execz .LBB11_9
.LBB11_26:
	v_lshrrev_b32_e32 v4, 8, v3
	v_add_u32_e32 v5, s2, v0
	v_add_u32_e32 v0, 0x100, v0
	global_store_byte v5, v4, s[10:11]
	s_or_b64 exec, exec, s[0:1]
	v_cmp_gt_i32_e32 vcc, s3, v0
	s_and_saveexec_b64 s[0:1], vcc
	s_cbranch_execz .LBB11_10
.LBB11_27:
	v_add_u32_e32 v4, s2, v0
	v_add_u32_e32 v0, 0x100, v0
	global_store_byte_d16_hi v4, v3, s[10:11]
	s_or_b64 exec, exec, s[0:1]
	v_cmp_gt_i32_e32 vcc, s3, v0
	s_and_saveexec_b64 s[0:1], vcc
	s_cbranch_execz .LBB11_11
.LBB11_28:
	v_lshrrev_b32_e32 v3, 24, v3
	v_add_u32_e32 v4, s2, v0
	v_add_u32_e32 v0, 0x100, v0
	global_store_byte v4, v3, s[10:11]
	s_or_b64 exec, exec, s[0:1]
	v_cmp_gt_i32_e32 vcc, s3, v0
	s_and_saveexec_b64 s[0:1], vcc
	s_cbranch_execz .LBB11_12
.LBB11_29:
	v_add_u32_e32 v3, s2, v0
	v_add_u32_e32 v0, 0x100, v0
	global_store_byte v3, v2, s[10:11]
	s_or_b64 exec, exec, s[0:1]
	v_cmp_gt_i32_e32 vcc, s3, v0
	s_and_saveexec_b64 s[0:1], vcc
	s_cbranch_execz .LBB11_13
.LBB11_30:
	v_lshrrev_b32_e32 v3, 8, v2
	v_add_u32_e32 v4, s2, v0
	v_add_u32_e32 v0, 0x100, v0
	global_store_byte v4, v3, s[10:11]
	s_or_b64 exec, exec, s[0:1]
	v_cmp_gt_i32_e32 vcc, s3, v0
	s_and_saveexec_b64 s[0:1], vcc
	s_cbranch_execz .LBB11_14
.LBB11_31:
	v_add_u32_e32 v3, s2, v0
	v_add_u32_e32 v0, 0x100, v0
	global_store_byte_d16_hi v3, v2, s[10:11]
	s_or_b64 exec, exec, s[0:1]
	v_cmp_gt_i32_e32 vcc, s3, v0
	s_and_saveexec_b64 s[0:1], vcc
	s_cbranch_execz .LBB11_15
.LBB11_32:
	v_lshrrev_b32_e32 v2, 24, v2
	v_add_u32_e32 v3, s2, v0
	v_add_u32_e32 v0, 0x100, v0
	global_store_byte v3, v2, s[10:11]
	s_or_b64 exec, exec, s[0:1]
	v_cmp_gt_i32_e32 vcc, s3, v0
	s_and_saveexec_b64 s[0:1], vcc
	s_cbranch_execz .LBB11_16
.LBB11_33:
	v_add_u32_e32 v2, s2, v0
	v_add_u32_e32 v0, 0x100, v0
	global_store_byte v2, v1, s[10:11]
	s_or_b64 exec, exec, s[0:1]
	v_cmp_gt_i32_e32 vcc, s3, v0
	s_and_saveexec_b64 s[0:1], vcc
	s_cbranch_execz .LBB11_17
.LBB11_34:
	v_lshrrev_b32_e32 v2, 8, v1
	v_add_u32_e32 v3, s2, v0
	v_add_u32_e32 v0, 0x100, v0
	global_store_byte v3, v2, s[10:11]
	s_or_b64 exec, exec, s[0:1]
	v_cmp_gt_i32_e32 vcc, s3, v0
	s_and_saveexec_b64 s[0:1], vcc
	s_cbranch_execz .LBB11_18
.LBB11_35:
	v_add_u32_e32 v2, s2, v0
	v_add_u32_e32 v0, 0x100, v0
	global_store_byte_d16_hi v2, v1, s[10:11]
	s_or_b64 exec, exec, s[0:1]
	v_cmp_gt_i32_e32 vcc, s3, v0
	s_and_saveexec_b64 s[0:1], vcc
	s_cbranch_execnz .LBB11_19
	s_branch .LBB11_20
	.section	.rodata,"a",@progbits
	.p2align	6, 0x0
	.amdhsa_kernel _ZN2at6native29vectorized_elementwise_kernelILi2ENS0_11FillFunctorIaEESt5arrayIPcLm1EEEEviT0_T1_
		.amdhsa_group_segment_fixed_size 0
		.amdhsa_private_segment_fixed_size 0
		.amdhsa_kernarg_size 16
		.amdhsa_user_sgpr_count 6
		.amdhsa_user_sgpr_private_segment_buffer 1
		.amdhsa_user_sgpr_dispatch_ptr 0
		.amdhsa_user_sgpr_queue_ptr 0
		.amdhsa_user_sgpr_kernarg_segment_ptr 1
		.amdhsa_user_sgpr_dispatch_id 0
		.amdhsa_user_sgpr_flat_scratch_init 0
		.amdhsa_user_sgpr_private_segment_size 0
		.amdhsa_uses_dynamic_stack 0
		.amdhsa_system_sgpr_private_segment_wavefront_offset 0
		.amdhsa_system_sgpr_workgroup_id_x 1
		.amdhsa_system_sgpr_workgroup_id_y 0
		.amdhsa_system_sgpr_workgroup_id_z 0
		.amdhsa_system_sgpr_workgroup_info 0
		.amdhsa_system_vgpr_workitem_id 0
		.amdhsa_next_free_vgpr 13
		.amdhsa_next_free_sgpr 12
		.amdhsa_reserve_vcc 1
		.amdhsa_reserve_flat_scratch 0
		.amdhsa_float_round_mode_32 0
		.amdhsa_float_round_mode_16_64 0
		.amdhsa_float_denorm_mode_32 3
		.amdhsa_float_denorm_mode_16_64 3
		.amdhsa_dx10_clamp 1
		.amdhsa_ieee_mode 1
		.amdhsa_fp16_overflow 0
		.amdhsa_exception_fp_ieee_invalid_op 0
		.amdhsa_exception_fp_denorm_src 0
		.amdhsa_exception_fp_ieee_div_zero 0
		.amdhsa_exception_fp_ieee_overflow 0
		.amdhsa_exception_fp_ieee_underflow 0
		.amdhsa_exception_fp_ieee_inexact 0
		.amdhsa_exception_int_div_zero 0
	.end_amdhsa_kernel
	.section	.text._ZN2at6native29vectorized_elementwise_kernelILi2ENS0_11FillFunctorIaEESt5arrayIPcLm1EEEEviT0_T1_,"axG",@progbits,_ZN2at6native29vectorized_elementwise_kernelILi2ENS0_11FillFunctorIaEESt5arrayIPcLm1EEEEviT0_T1_,comdat
.Lfunc_end11:
	.size	_ZN2at6native29vectorized_elementwise_kernelILi2ENS0_11FillFunctorIaEESt5arrayIPcLm1EEEEviT0_T1_, .Lfunc_end11-_ZN2at6native29vectorized_elementwise_kernelILi2ENS0_11FillFunctorIaEESt5arrayIPcLm1EEEEviT0_T1_
                                        ; -- End function
	.set _ZN2at6native29vectorized_elementwise_kernelILi2ENS0_11FillFunctorIaEESt5arrayIPcLm1EEEEviT0_T1_.num_vgpr, 13
	.set _ZN2at6native29vectorized_elementwise_kernelILi2ENS0_11FillFunctorIaEESt5arrayIPcLm1EEEEviT0_T1_.num_agpr, 0
	.set _ZN2at6native29vectorized_elementwise_kernelILi2ENS0_11FillFunctorIaEESt5arrayIPcLm1EEEEviT0_T1_.numbered_sgpr, 12
	.set _ZN2at6native29vectorized_elementwise_kernelILi2ENS0_11FillFunctorIaEESt5arrayIPcLm1EEEEviT0_T1_.num_named_barrier, 0
	.set _ZN2at6native29vectorized_elementwise_kernelILi2ENS0_11FillFunctorIaEESt5arrayIPcLm1EEEEviT0_T1_.private_seg_size, 0
	.set _ZN2at6native29vectorized_elementwise_kernelILi2ENS0_11FillFunctorIaEESt5arrayIPcLm1EEEEviT0_T1_.uses_vcc, 1
	.set _ZN2at6native29vectorized_elementwise_kernelILi2ENS0_11FillFunctorIaEESt5arrayIPcLm1EEEEviT0_T1_.uses_flat_scratch, 0
	.set _ZN2at6native29vectorized_elementwise_kernelILi2ENS0_11FillFunctorIaEESt5arrayIPcLm1EEEEviT0_T1_.has_dyn_sized_stack, 0
	.set _ZN2at6native29vectorized_elementwise_kernelILi2ENS0_11FillFunctorIaEESt5arrayIPcLm1EEEEviT0_T1_.has_recursion, 0
	.set _ZN2at6native29vectorized_elementwise_kernelILi2ENS0_11FillFunctorIaEESt5arrayIPcLm1EEEEviT0_T1_.has_indirect_call, 0
	.section	.AMDGPU.csdata,"",@progbits
; Kernel info:
; codeLenInByte = 1568
; TotalNumSgprs: 16
; NumVgprs: 13
; ScratchSize: 0
; MemoryBound: 0
; FloatMode: 240
; IeeeMode: 1
; LDSByteSize: 0 bytes/workgroup (compile time only)
; SGPRBlocks: 1
; VGPRBlocks: 3
; NumSGPRsForWavesPerEU: 16
; NumVGPRsForWavesPerEU: 13
; Occupancy: 10
; WaveLimiterHint : 1
; COMPUTE_PGM_RSRC2:SCRATCH_EN: 0
; COMPUTE_PGM_RSRC2:USER_SGPR: 6
; COMPUTE_PGM_RSRC2:TRAP_HANDLER: 0
; COMPUTE_PGM_RSRC2:TGID_X_EN: 1
; COMPUTE_PGM_RSRC2:TGID_Y_EN: 0
; COMPUTE_PGM_RSRC2:TGID_Z_EN: 0
; COMPUTE_PGM_RSRC2:TIDIG_COMP_CNT: 0
	.section	.text._ZN2at6native27unrolled_elementwise_kernelINS0_11FillFunctorIaEESt5arrayIPcLm1EELi4E23TrivialOffsetCalculatorILi0EjES7_ILi1EjENS0_6memory15LoadWithoutCastENSA_16StoreWithoutCastEEEviT_T0_T2_T3_T4_T5_,"axG",@progbits,_ZN2at6native27unrolled_elementwise_kernelINS0_11FillFunctorIaEESt5arrayIPcLm1EELi4E23TrivialOffsetCalculatorILi0EjES7_ILi1EjENS0_6memory15LoadWithoutCastENSA_16StoreWithoutCastEEEviT_T0_T2_T3_T4_T5_,comdat
	.protected	_ZN2at6native27unrolled_elementwise_kernelINS0_11FillFunctorIaEESt5arrayIPcLm1EELi4E23TrivialOffsetCalculatorILi0EjES7_ILi1EjENS0_6memory15LoadWithoutCastENSA_16StoreWithoutCastEEEviT_T0_T2_T3_T4_T5_ ; -- Begin function _ZN2at6native27unrolled_elementwise_kernelINS0_11FillFunctorIaEESt5arrayIPcLm1EELi4E23TrivialOffsetCalculatorILi0EjES7_ILi1EjENS0_6memory15LoadWithoutCastENSA_16StoreWithoutCastEEEviT_T0_T2_T3_T4_T5_
	.globl	_ZN2at6native27unrolled_elementwise_kernelINS0_11FillFunctorIaEESt5arrayIPcLm1EELi4E23TrivialOffsetCalculatorILi0EjES7_ILi1EjENS0_6memory15LoadWithoutCastENSA_16StoreWithoutCastEEEviT_T0_T2_T3_T4_T5_
	.p2align	8
	.type	_ZN2at6native27unrolled_elementwise_kernelINS0_11FillFunctorIaEESt5arrayIPcLm1EELi4E23TrivialOffsetCalculatorILi0EjES7_ILi1EjENS0_6memory15LoadWithoutCastENSA_16StoreWithoutCastEEEviT_T0_T2_T3_T4_T5_,@function
_ZN2at6native27unrolled_elementwise_kernelINS0_11FillFunctorIaEESt5arrayIPcLm1EELi4E23TrivialOffsetCalculatorILi0EjES7_ILi1EjENS0_6memory15LoadWithoutCastENSA_16StoreWithoutCastEEEviT_T0_T2_T3_T4_T5_: ; @_ZN2at6native27unrolled_elementwise_kernelINS0_11FillFunctorIaEESt5arrayIPcLm1EELi4E23TrivialOffsetCalculatorILi0EjES7_ILi1EjENS0_6memory15LoadWithoutCastENSA_16StoreWithoutCastEEEviT_T0_T2_T3_T4_T5_
; %bb.0:
	s_load_dwordx4 s[8:11], s[4:5], 0x0
	s_lshl_b32 s2, s6, 10
	v_or_b32_e32 v2, 0x100, v0
	v_mov_b32_e32 v4, 0xc0c0304
	s_mov_b32 s4, 0xffff
	s_waitcnt lgkmcnt(0)
	s_sub_i32 s3, s8, s2
	s_and_b32 s0, s9, 0xff
	v_mov_b32_e32 v1, s0
	v_cmp_gt_i32_e32 vcc, s3, v0
	v_cndmask_b32_e32 v1, 0, v1, vcc
	v_lshl_or_b32 v3, s9, 8, v1
	v_and_b32_e32 v3, 0xffff, v3
	v_cmp_gt_i32_e64 s[0:1], s3, v2
	v_cndmask_b32_e64 v1, v1, v3, s[0:1]
	v_or_b32_e32 v3, 0x200, v0
	v_perm_b32 v4, s9, v1, v4
	v_lshl_or_b32 v4, v4, 16, v1
	v_cmp_gt_i32_e64 s[0:1], s3, v3
	v_cndmask_b32_e64 v1, v1, v4, s[0:1]
	v_mov_b32_e32 v4, 0xc0c0006
	v_perm_b32 v4, v1, s9, v4
	v_or_b32_e32 v3, 0x300, v0
	v_lshlrev_b32_e32 v4, 16, v4
	v_and_or_b32 v4, v1, s4, v4
	v_cmp_gt_i32_e64 s[0:1], s3, v3
	v_cndmask_b32_e64 v1, v1, v4, s[0:1]
	s_and_saveexec_b64 s[0:1], vcc
	s_cbranch_execnz .LBB12_5
; %bb.1:
	s_or_b64 exec, exec, s[0:1]
	v_cmp_gt_i32_e32 vcc, s3, v0
	s_and_saveexec_b64 s[0:1], vcc
	s_cbranch_execnz .LBB12_6
.LBB12_2:
	s_or_b64 exec, exec, s[0:1]
	v_cmp_gt_i32_e32 vcc, s3, v0
	s_and_saveexec_b64 s[0:1], vcc
	s_cbranch_execnz .LBB12_7
.LBB12_3:
	s_or_b64 exec, exec, s[0:1]
	v_cmp_gt_i32_e32 vcc, s3, v0
	s_and_saveexec_b64 s[0:1], vcc
	s_cbranch_execnz .LBB12_8
.LBB12_4:
	s_endpgm
.LBB12_5:
	v_or_b32_e32 v0, s2, v0
	global_store_byte v0, v1, s[10:11]
	v_mov_b32_e32 v0, v2
	s_or_b64 exec, exec, s[0:1]
	v_cmp_gt_i32_e32 vcc, s3, v0
	s_and_saveexec_b64 s[0:1], vcc
	s_cbranch_execz .LBB12_2
.LBB12_6:
	v_add_u32_e32 v2, 0x100, v0
	v_add_u32_e32 v0, s2, v0
	v_lshrrev_b32_e32 v3, 8, v1
	global_store_byte v0, v3, s[10:11]
	v_mov_b32_e32 v0, v2
	s_or_b64 exec, exec, s[0:1]
	v_cmp_gt_i32_e32 vcc, s3, v0
	s_and_saveexec_b64 s[0:1], vcc
	s_cbranch_execz .LBB12_3
.LBB12_7:
	v_add_u32_e32 v2, 0x100, v0
	v_add_u32_e32 v0, s2, v0
	global_store_byte_d16_hi v0, v1, s[10:11]
	v_mov_b32_e32 v0, v2
	s_or_b64 exec, exec, s[0:1]
	v_cmp_gt_i32_e32 vcc, s3, v0
	s_and_saveexec_b64 s[0:1], vcc
	s_cbranch_execz .LBB12_4
.LBB12_8:
	v_add_u32_e32 v0, s2, v0
	v_lshrrev_b32_e32 v1, 24, v1
	global_store_byte v0, v1, s[10:11]
	s_endpgm
	.section	.rodata,"a",@progbits
	.p2align	6, 0x0
	.amdhsa_kernel _ZN2at6native27unrolled_elementwise_kernelINS0_11FillFunctorIaEESt5arrayIPcLm1EELi4E23TrivialOffsetCalculatorILi0EjES7_ILi1EjENS0_6memory15LoadWithoutCastENSA_16StoreWithoutCastEEEviT_T0_T2_T3_T4_T5_
		.amdhsa_group_segment_fixed_size 0
		.amdhsa_private_segment_fixed_size 0
		.amdhsa_kernarg_size 20
		.amdhsa_user_sgpr_count 6
		.amdhsa_user_sgpr_private_segment_buffer 1
		.amdhsa_user_sgpr_dispatch_ptr 0
		.amdhsa_user_sgpr_queue_ptr 0
		.amdhsa_user_sgpr_kernarg_segment_ptr 1
		.amdhsa_user_sgpr_dispatch_id 0
		.amdhsa_user_sgpr_flat_scratch_init 0
		.amdhsa_user_sgpr_private_segment_size 0
		.amdhsa_uses_dynamic_stack 0
		.amdhsa_system_sgpr_private_segment_wavefront_offset 0
		.amdhsa_system_sgpr_workgroup_id_x 1
		.amdhsa_system_sgpr_workgroup_id_y 0
		.amdhsa_system_sgpr_workgroup_id_z 0
		.amdhsa_system_sgpr_workgroup_info 0
		.amdhsa_system_vgpr_workitem_id 0
		.amdhsa_next_free_vgpr 5
		.amdhsa_next_free_sgpr 12
		.amdhsa_reserve_vcc 1
		.amdhsa_reserve_flat_scratch 0
		.amdhsa_float_round_mode_32 0
		.amdhsa_float_round_mode_16_64 0
		.amdhsa_float_denorm_mode_32 3
		.amdhsa_float_denorm_mode_16_64 3
		.amdhsa_dx10_clamp 1
		.amdhsa_ieee_mode 1
		.amdhsa_fp16_overflow 0
		.amdhsa_exception_fp_ieee_invalid_op 0
		.amdhsa_exception_fp_denorm_src 0
		.amdhsa_exception_fp_ieee_div_zero 0
		.amdhsa_exception_fp_ieee_overflow 0
		.amdhsa_exception_fp_ieee_underflow 0
		.amdhsa_exception_fp_ieee_inexact 0
		.amdhsa_exception_int_div_zero 0
	.end_amdhsa_kernel
	.section	.text._ZN2at6native27unrolled_elementwise_kernelINS0_11FillFunctorIaEESt5arrayIPcLm1EELi4E23TrivialOffsetCalculatorILi0EjES7_ILi1EjENS0_6memory15LoadWithoutCastENSA_16StoreWithoutCastEEEviT_T0_T2_T3_T4_T5_,"axG",@progbits,_ZN2at6native27unrolled_elementwise_kernelINS0_11FillFunctorIaEESt5arrayIPcLm1EELi4E23TrivialOffsetCalculatorILi0EjES7_ILi1EjENS0_6memory15LoadWithoutCastENSA_16StoreWithoutCastEEEviT_T0_T2_T3_T4_T5_,comdat
.Lfunc_end12:
	.size	_ZN2at6native27unrolled_elementwise_kernelINS0_11FillFunctorIaEESt5arrayIPcLm1EELi4E23TrivialOffsetCalculatorILi0EjES7_ILi1EjENS0_6memory15LoadWithoutCastENSA_16StoreWithoutCastEEEviT_T0_T2_T3_T4_T5_, .Lfunc_end12-_ZN2at6native27unrolled_elementwise_kernelINS0_11FillFunctorIaEESt5arrayIPcLm1EELi4E23TrivialOffsetCalculatorILi0EjES7_ILi1EjENS0_6memory15LoadWithoutCastENSA_16StoreWithoutCastEEEviT_T0_T2_T3_T4_T5_
                                        ; -- End function
	.set _ZN2at6native27unrolled_elementwise_kernelINS0_11FillFunctorIaEESt5arrayIPcLm1EELi4E23TrivialOffsetCalculatorILi0EjES7_ILi1EjENS0_6memory15LoadWithoutCastENSA_16StoreWithoutCastEEEviT_T0_T2_T3_T4_T5_.num_vgpr, 5
	.set _ZN2at6native27unrolled_elementwise_kernelINS0_11FillFunctorIaEESt5arrayIPcLm1EELi4E23TrivialOffsetCalculatorILi0EjES7_ILi1EjENS0_6memory15LoadWithoutCastENSA_16StoreWithoutCastEEEviT_T0_T2_T3_T4_T5_.num_agpr, 0
	.set _ZN2at6native27unrolled_elementwise_kernelINS0_11FillFunctorIaEESt5arrayIPcLm1EELi4E23TrivialOffsetCalculatorILi0EjES7_ILi1EjENS0_6memory15LoadWithoutCastENSA_16StoreWithoutCastEEEviT_T0_T2_T3_T4_T5_.numbered_sgpr, 12
	.set _ZN2at6native27unrolled_elementwise_kernelINS0_11FillFunctorIaEESt5arrayIPcLm1EELi4E23TrivialOffsetCalculatorILi0EjES7_ILi1EjENS0_6memory15LoadWithoutCastENSA_16StoreWithoutCastEEEviT_T0_T2_T3_T4_T5_.num_named_barrier, 0
	.set _ZN2at6native27unrolled_elementwise_kernelINS0_11FillFunctorIaEESt5arrayIPcLm1EELi4E23TrivialOffsetCalculatorILi0EjES7_ILi1EjENS0_6memory15LoadWithoutCastENSA_16StoreWithoutCastEEEviT_T0_T2_T3_T4_T5_.private_seg_size, 0
	.set _ZN2at6native27unrolled_elementwise_kernelINS0_11FillFunctorIaEESt5arrayIPcLm1EELi4E23TrivialOffsetCalculatorILi0EjES7_ILi1EjENS0_6memory15LoadWithoutCastENSA_16StoreWithoutCastEEEviT_T0_T2_T3_T4_T5_.uses_vcc, 1
	.set _ZN2at6native27unrolled_elementwise_kernelINS0_11FillFunctorIaEESt5arrayIPcLm1EELi4E23TrivialOffsetCalculatorILi0EjES7_ILi1EjENS0_6memory15LoadWithoutCastENSA_16StoreWithoutCastEEEviT_T0_T2_T3_T4_T5_.uses_flat_scratch, 0
	.set _ZN2at6native27unrolled_elementwise_kernelINS0_11FillFunctorIaEESt5arrayIPcLm1EELi4E23TrivialOffsetCalculatorILi0EjES7_ILi1EjENS0_6memory15LoadWithoutCastENSA_16StoreWithoutCastEEEviT_T0_T2_T3_T4_T5_.has_dyn_sized_stack, 0
	.set _ZN2at6native27unrolled_elementwise_kernelINS0_11FillFunctorIaEESt5arrayIPcLm1EELi4E23TrivialOffsetCalculatorILi0EjES7_ILi1EjENS0_6memory15LoadWithoutCastENSA_16StoreWithoutCastEEEviT_T0_T2_T3_T4_T5_.has_recursion, 0
	.set _ZN2at6native27unrolled_elementwise_kernelINS0_11FillFunctorIaEESt5arrayIPcLm1EELi4E23TrivialOffsetCalculatorILi0EjES7_ILi1EjENS0_6memory15LoadWithoutCastENSA_16StoreWithoutCastEEEviT_T0_T2_T3_T4_T5_.has_indirect_call, 0
	.section	.AMDGPU.csdata,"",@progbits
; Kernel info:
; codeLenInByte = 384
; TotalNumSgprs: 16
; NumVgprs: 5
; ScratchSize: 0
; MemoryBound: 0
; FloatMode: 240
; IeeeMode: 1
; LDSByteSize: 0 bytes/workgroup (compile time only)
; SGPRBlocks: 1
; VGPRBlocks: 1
; NumSGPRsForWavesPerEU: 16
; NumVGPRsForWavesPerEU: 5
; Occupancy: 10
; WaveLimiterHint : 0
; COMPUTE_PGM_RSRC2:SCRATCH_EN: 0
; COMPUTE_PGM_RSRC2:USER_SGPR: 6
; COMPUTE_PGM_RSRC2:TRAP_HANDLER: 0
; COMPUTE_PGM_RSRC2:TGID_X_EN: 1
; COMPUTE_PGM_RSRC2:TGID_Y_EN: 0
; COMPUTE_PGM_RSRC2:TGID_Z_EN: 0
; COMPUTE_PGM_RSRC2:TIDIG_COMP_CNT: 0
	.section	.text._ZN2at6native32elementwise_kernel_manual_unrollILi128ELi8EZNS0_22gpu_kernel_impl_nocastINS0_11FillFunctorIaEEEEvRNS_18TensorIteratorBaseERKT_EUlibE_EEviT1_,"axG",@progbits,_ZN2at6native32elementwise_kernel_manual_unrollILi128ELi8EZNS0_22gpu_kernel_impl_nocastINS0_11FillFunctorIaEEEEvRNS_18TensorIteratorBaseERKT_EUlibE_EEviT1_,comdat
	.protected	_ZN2at6native32elementwise_kernel_manual_unrollILi128ELi8EZNS0_22gpu_kernel_impl_nocastINS0_11FillFunctorIaEEEEvRNS_18TensorIteratorBaseERKT_EUlibE_EEviT1_ ; -- Begin function _ZN2at6native32elementwise_kernel_manual_unrollILi128ELi8EZNS0_22gpu_kernel_impl_nocastINS0_11FillFunctorIaEEEEvRNS_18TensorIteratorBaseERKT_EUlibE_EEviT1_
	.globl	_ZN2at6native32elementwise_kernel_manual_unrollILi128ELi8EZNS0_22gpu_kernel_impl_nocastINS0_11FillFunctorIaEEEEvRNS_18TensorIteratorBaseERKT_EUlibE_EEviT1_
	.p2align	8
	.type	_ZN2at6native32elementwise_kernel_manual_unrollILi128ELi8EZNS0_22gpu_kernel_impl_nocastINS0_11FillFunctorIaEEEEvRNS_18TensorIteratorBaseERKT_EUlibE_EEviT1_,@function
_ZN2at6native32elementwise_kernel_manual_unrollILi128ELi8EZNS0_22gpu_kernel_impl_nocastINS0_11FillFunctorIaEEEEvRNS_18TensorIteratorBaseERKT_EUlibE_EEviT1_: ; @_ZN2at6native32elementwise_kernel_manual_unrollILi128ELi8EZNS0_22gpu_kernel_impl_nocastINS0_11FillFunctorIaEEEEvRNS_18TensorIteratorBaseERKT_EUlibE_EEviT1_
; %bb.0:
	s_load_dword s48, s[4:5], 0x0
	s_load_dword s33, s[4:5], 0x8
	s_add_u32 s20, s4, 8
	s_addc_u32 s21, s5, 0
	v_lshl_or_b32 v7, s6, 10, v0
	v_or_b32_e32 v9, 0x380, v7
	s_waitcnt lgkmcnt(0)
	s_add_i32 s46, s33, -1
	s_cmp_gt_u32 s46, 1
	v_cmp_le_i32_e32 vcc, s48, v9
	s_cselect_b64 s[22:23], -1, 0
	s_and_saveexec_b64 s[0:1], vcc
	s_xor_b64 s[24:25], exec, s[0:1]
	s_cbranch_execz .LBB13_7
; %bb.1:
	s_load_dwordx4 s[8:11], s[20:21], 0x4
	s_load_dwordx2 s[30:31], s[20:21], 0x14
	s_load_dwordx2 s[28:29], s[20:21], 0xc4
	;; [unrolled: 1-line block ×3, first 2 shown]
	s_load_dword s47, s[20:21], 0x110
	s_cmp_lg_u32 s33, 0
	s_cselect_b64 s[38:39], -1, 0
	s_add_u32 s36, s20, 0xc4
	s_addc_u32 s37, s21, 0
	s_min_u32 s49, s46, 15
	s_cmp_gt_u32 s33, 1
	s_cselect_b64 s[34:35], -1, 0
	v_cmp_gt_i32_e32 vcc, s48, v7
	s_and_saveexec_b64 s[40:41], vcc
	s_cbranch_execz .LBB13_14
; %bb.2:
	s_andn2_b64 vcc, exec, s[22:23]
	s_cbranch_vccnz .LBB13_21
; %bb.3:
	s_andn2_b64 vcc, exec, s[38:39]
	s_cbranch_vccnz .LBB13_129
; %bb.4:
	s_add_i32 s51, s49, 1
	s_cmp_eq_u32 s46, 2
	s_cbranch_scc1 .LBB13_131
; %bb.5:
	s_and_b32 s50, s51, 28
	s_mov_b32 s52, 0
	v_mov_b32_e32 v0, 0
	s_mov_b64 s[42:43], s[20:21]
	s_mov_b64 s[44:45], s[36:37]
	v_mov_b32_e32 v1, v7
.LBB13_6:                               ; =>This Inner Loop Header: Depth=1
	s_load_dwordx8 s[0:7], s[42:43], 0x4
	s_load_dwordx4 s[12:15], s[42:43], 0x24
	s_load_dwordx4 s[16:19], s[44:45], 0x0
	s_add_u32 s42, s42, 48
	s_addc_u32 s43, s43, 0
	s_waitcnt lgkmcnt(0)
	v_mul_hi_u32 v2, s1, v1
	s_add_i32 s52, s52, 4
	s_add_u32 s44, s44, 16
	s_addc_u32 s45, s45, 0
	v_add_u32_e32 v2, v1, v2
	v_lshrrev_b32_e32 v2, s2, v2
	v_mul_lo_u32 v3, v2, s0
	v_mul_hi_u32 v4, s4, v2
	s_cmp_lg_u32 s50, s52
	v_sub_u32_e32 v1, v1, v3
	v_add_u32_e32 v3, v2, v4
	v_lshrrev_b32_e32 v3, s5, v3
	v_mul_lo_u32 v4, v1, s16
	v_mul_hi_u32 v1, s7, v3
	v_mul_lo_u32 v6, v3, s3
	v_add_u32_e32 v1, v3, v1
	v_lshrrev_b32_e32 v5, s12, v1
	v_mul_hi_u32 v1, s14, v5
	v_sub_u32_e32 v2, v2, v6
	v_mul_lo_u32 v6, v5, s6
	v_mul_lo_u32 v2, v2, s17
	v_add_u32_e32 v1, v5, v1
	v_lshrrev_b32_e32 v1, s15, v1
	v_mul_lo_u32 v8, v1, s13
	v_sub_u32_e32 v3, v3, v6
	v_mul_lo_u32 v3, v3, s18
	v_add3_u32 v0, v4, v0, v2
	v_sub_u32_e32 v5, v5, v8
	v_mul_lo_u32 v5, v5, s19
	v_add3_u32 v0, v3, v0, v5
	s_cbranch_scc1 .LBB13_6
	s_branch .LBB13_132
.LBB13_7:
	s_andn2_saveexec_b64 s[0:1], s[24:25]
	s_cbranch_execz .LBB13_221
.LBB13_8:
	v_cndmask_b32_e64 v0, 0, 1, s[22:23]
	v_cmp_ne_u32_e64 s[0:1], 1, v0
	s_andn2_b64 vcc, exec, s[22:23]
	s_cbranch_vccnz .LBB13_20
; %bb.9:
	s_cmp_lg_u32 s33, 0
	s_mov_b32 s24, 0
	s_cbranch_scc0 .LBB13_23
; %bb.10:
	s_min_u32 s25, s46, 15
	s_add_i32 s25, s25, 1
	s_cmp_eq_u32 s46, 2
	s_cbranch_scc1 .LBB13_24
; %bb.11:
	s_and_b32 s24, s25, 28
	s_add_u32 s2, s20, 0xc4
	s_addc_u32 s3, s21, 0
	s_waitcnt lgkmcnt(0)
	s_mov_b32 s26, 0
	v_mov_b32_e32 v0, 0
	s_mov_b64 s[22:23], s[20:21]
	v_mov_b32_e32 v1, v7
.LBB13_12:                              ; =>This Inner Loop Header: Depth=1
	s_load_dwordx8 s[4:11], s[22:23], 0x4
	s_load_dwordx4 s[12:15], s[22:23], 0x24
	s_load_dwordx4 s[16:19], s[2:3], 0x0
	s_add_u32 s22, s22, 48
	s_addc_u32 s23, s23, 0
	s_waitcnt lgkmcnt(0)
	v_mul_hi_u32 v2, s5, v1
	s_add_i32 s26, s26, 4
	s_add_u32 s2, s2, 16
	s_addc_u32 s3, s3, 0
	v_add_u32_e32 v2, v1, v2
	v_lshrrev_b32_e32 v2, s6, v2
	v_mul_lo_u32 v3, v2, s4
	v_mul_hi_u32 v4, s8, v2
	s_cmp_lg_u32 s24, s26
	v_sub_u32_e32 v1, v1, v3
	v_add_u32_e32 v3, v2, v4
	v_lshrrev_b32_e32 v3, s9, v3
	v_mul_lo_u32 v4, v1, s16
	v_mul_hi_u32 v1, s11, v3
	v_mul_lo_u32 v6, v3, s7
	v_add_u32_e32 v1, v3, v1
	v_lshrrev_b32_e32 v5, s12, v1
	v_mul_hi_u32 v1, s14, v5
	v_sub_u32_e32 v2, v2, v6
	v_mul_lo_u32 v6, v5, s10
	v_mul_lo_u32 v2, v2, s17
	v_add_u32_e32 v1, v5, v1
	v_lshrrev_b32_e32 v1, s15, v1
	v_mul_lo_u32 v8, v1, s13
	v_sub_u32_e32 v3, v3, v6
	v_mul_lo_u32 v3, v3, s18
	v_add3_u32 v0, v4, v0, v2
	v_sub_u32_e32 v5, v5, v8
	v_mul_lo_u32 v5, v5, s19
	v_add3_u32 v0, v3, v0, v5
	s_cbranch_scc1 .LBB13_12
; %bb.13:
	s_and_b32 s6, s25, 3
	s_cmp_eq_u32 s6, 0
	s_cbranch_scc0 .LBB13_25
	s_branch .LBB13_27
.LBB13_14:
	s_or_b64 exec, exec, s[40:41]
	v_cmp_gt_i32_e32 vcc, s48, v7
	s_and_saveexec_b64 s[40:41], vcc
	s_cbranch_execz .LBB13_139
.LBB13_15:
	s_andn2_b64 vcc, exec, s[22:23]
	s_cbranch_vccnz .LBB13_22
; %bb.16:
	s_andn2_b64 vcc, exec, s[38:39]
	s_cbranch_vccnz .LBB13_130
; %bb.17:
	s_add_i32 s51, s49, 1
	s_cmp_eq_u32 s46, 2
	s_cbranch_scc1 .LBB13_147
; %bb.18:
	s_and_b32 s50, s51, 28
	s_mov_b32 s52, 0
	v_mov_b32_e32 v0, 0
	s_mov_b64 s[42:43], s[20:21]
	s_mov_b64 s[44:45], s[36:37]
	v_mov_b32_e32 v1, v7
.LBB13_19:                              ; =>This Inner Loop Header: Depth=1
	s_load_dwordx8 s[0:7], s[42:43], 0x4
	s_load_dwordx4 s[12:15], s[42:43], 0x24
	s_load_dwordx4 s[16:19], s[44:45], 0x0
	s_add_u32 s42, s42, 48
	s_addc_u32 s43, s43, 0
	s_waitcnt lgkmcnt(0)
	v_mul_hi_u32 v2, s1, v1
	s_add_i32 s52, s52, 4
	s_add_u32 s44, s44, 16
	s_addc_u32 s45, s45, 0
	v_add_u32_e32 v2, v1, v2
	v_lshrrev_b32_e32 v2, s2, v2
	v_mul_lo_u32 v3, v2, s0
	v_mul_hi_u32 v4, s4, v2
	s_cmp_eq_u32 s50, s52
	v_sub_u32_e32 v1, v1, v3
	v_add_u32_e32 v3, v2, v4
	v_lshrrev_b32_e32 v3, s5, v3
	v_mul_lo_u32 v4, v1, s16
	v_mul_hi_u32 v1, s7, v3
	v_mul_lo_u32 v6, v3, s3
	v_add_u32_e32 v1, v3, v1
	v_lshrrev_b32_e32 v5, s12, v1
	v_mul_hi_u32 v1, s14, v5
	v_sub_u32_e32 v2, v2, v6
	v_mul_lo_u32 v6, v5, s6
	v_mul_lo_u32 v2, v2, s17
	v_add_u32_e32 v1, v5, v1
	v_lshrrev_b32_e32 v1, s15, v1
	v_mul_lo_u32 v8, v1, s13
	v_sub_u32_e32 v3, v3, v6
	v_mul_lo_u32 v3, v3, s18
	v_add3_u32 v0, v4, v0, v2
	v_sub_u32_e32 v5, v5, v8
	v_mul_lo_u32 v5, v5, s19
	v_add3_u32 v0, v3, v0, v5
	s_cbranch_scc0 .LBB13_19
	s_branch .LBB13_148
.LBB13_20:
                                        ; implicit-def: $vgpr0
	s_branch .LBB13_28
.LBB13_21:
                                        ; implicit-def: $vgpr0
	s_branch .LBB13_136
.LBB13_22:
                                        ; implicit-def: $vgpr0
	s_branch .LBB13_152
.LBB13_23:
	v_mov_b32_e32 v0, 0
	s_branch .LBB13_27
.LBB13_24:
	v_mov_b32_e32 v0, 0
	v_mov_b32_e32 v1, v7
	s_and_b32 s6, s25, 3
	s_cmp_eq_u32 s6, 0
	s_cbranch_scc1 .LBB13_27
.LBB13_25:
	s_lshl_b32 s2, s24, 2
	s_add_u32 s2, s20, s2
	s_addc_u32 s3, s21, 0
	s_add_u32 s2, s2, 0xc4
	s_addc_u32 s3, s3, 0
	s_mul_i32 s4, s24, 12
	s_add_u32 s4, s20, s4
	s_addc_u32 s5, s21, 0
.LBB13_26:                              ; =>This Inner Loop Header: Depth=1
	s_waitcnt lgkmcnt(0)
	s_load_dwordx2 s[8:9], s[4:5], 0x4
	s_load_dword s7, s[4:5], 0xc
	s_add_u32 s4, s4, 12
	s_addc_u32 s5, s5, 0
	s_waitcnt lgkmcnt(0)
	v_mul_hi_u32 v2, s9, v1
	s_load_dword s9, s[2:3], 0x0
	s_add_u32 s2, s2, 4
	s_addc_u32 s3, s3, 0
	v_add_u32_e32 v2, v1, v2
	v_lshrrev_b32_e32 v2, s7, v2
	v_mul_lo_u32 v3, v2, s8
	s_add_i32 s6, s6, -1
	s_cmp_lg_u32 s6, 0
	v_sub_u32_e32 v1, v1, v3
	s_waitcnt lgkmcnt(0)
	v_mad_u64_u32 v[0:1], s[8:9], v1, s9, v[0:1]
	v_mov_b32_e32 v1, v2
	s_cbranch_scc1 .LBB13_26
.LBB13_27:
	s_cbranch_execnz .LBB13_30
.LBB13_28:
	s_load_dwordx4 s[4:7], s[20:21], 0x4
	s_load_dword s2, s[20:21], 0xc4
	s_cmp_lt_u32 s33, 2
	s_waitcnt lgkmcnt(0)
	v_mul_hi_u32 v0, s5, v7
	v_add_u32_e32 v0, v7, v0
	v_lshrrev_b32_e32 v1, s6, v0
	v_mul_lo_u32 v0, v1, s4
	v_sub_u32_e32 v0, v7, v0
	v_mul_lo_u32 v0, v0, s2
	s_cbranch_scc1 .LBB13_30
; %bb.29:
	s_load_dwordx4 s[4:7], s[20:21], 0x10
	s_load_dword s2, s[20:21], 0xc8
	s_waitcnt lgkmcnt(0)
	v_mul_hi_u32 v2, s5, v1
	v_add_u32_e32 v2, v1, v2
	v_lshrrev_b32_e32 v2, s6, v2
	v_mul_lo_u32 v2, v2, s4
	v_sub_u32_e32 v1, v1, v2
	v_mad_u64_u32 v[0:1], s[2:3], v1, s2, v[0:1]
.LBB13_30:
	s_and_b64 vcc, exec, s[0:1]
	v_add_u32_e32 v3, 0x80, v7
	s_cbranch_vccnz .LBB13_36
; %bb.31:
	s_cmp_lg_u32 s33, 0
	s_mov_b32 s24, 0
	s_cbranch_scc0 .LBB13_37
; %bb.32:
	s_min_u32 s25, s46, 15
	s_add_i32 s25, s25, 1
	s_cmp_eq_u32 s46, 2
	s_cbranch_scc1 .LBB13_38
; %bb.33:
	s_and_b32 s24, s25, 28
	s_add_u32 s2, s20, 0xc4
	s_addc_u32 s3, s21, 0
	s_waitcnt lgkmcnt(0)
	s_mov_b32 s26, 0
	v_mov_b32_e32 v1, 0
	s_mov_b64 s[22:23], s[20:21]
	v_mov_b32_e32 v2, v3
.LBB13_34:                              ; =>This Inner Loop Header: Depth=1
	s_load_dwordx8 s[4:11], s[22:23], 0x4
	s_load_dwordx4 s[12:15], s[22:23], 0x24
	s_load_dwordx4 s[16:19], s[2:3], 0x0
	s_add_u32 s22, s22, 48
	s_addc_u32 s23, s23, 0
	s_waitcnt lgkmcnt(0)
	v_mul_hi_u32 v4, s5, v2
	s_add_i32 s26, s26, 4
	s_add_u32 s2, s2, 16
	s_addc_u32 s3, s3, 0
	v_add_u32_e32 v4, v2, v4
	v_lshrrev_b32_e32 v4, s6, v4
	v_mul_lo_u32 v5, v4, s4
	v_mul_hi_u32 v6, s8, v4
	s_cmp_lg_u32 s24, s26
	v_sub_u32_e32 v2, v2, v5
	v_add_u32_e32 v5, v4, v6
	v_lshrrev_b32_e32 v5, s9, v5
	v_mul_lo_u32 v6, v2, s16
	v_mul_hi_u32 v2, s11, v5
	v_mul_lo_u32 v10, v5, s7
	v_add_u32_e32 v2, v5, v2
	v_lshrrev_b32_e32 v8, s12, v2
	v_mul_hi_u32 v2, s14, v8
	v_sub_u32_e32 v4, v4, v10
	v_mul_lo_u32 v10, v8, s10
	v_mul_lo_u32 v4, v4, s17
	v_add_u32_e32 v2, v8, v2
	v_lshrrev_b32_e32 v2, s15, v2
	v_mul_lo_u32 v11, v2, s13
	v_sub_u32_e32 v5, v5, v10
	v_mul_lo_u32 v5, v5, s18
	v_add3_u32 v1, v6, v1, v4
	v_sub_u32_e32 v8, v8, v11
	v_mul_lo_u32 v8, v8, s19
	v_add3_u32 v1, v5, v1, v8
	s_cbranch_scc1 .LBB13_34
; %bb.35:
	s_and_b32 s6, s25, 3
	s_cmp_eq_u32 s6, 0
	s_cbranch_scc0 .LBB13_39
	s_branch .LBB13_41
.LBB13_36:
                                        ; implicit-def: $vgpr1
	s_branch .LBB13_42
.LBB13_37:
	v_mov_b32_e32 v1, 0
	s_branch .LBB13_41
.LBB13_38:
	v_mov_b32_e32 v1, 0
	v_mov_b32_e32 v2, v3
	s_and_b32 s6, s25, 3
	s_cmp_eq_u32 s6, 0
	s_cbranch_scc1 .LBB13_41
.LBB13_39:
	s_lshl_b32 s2, s24, 2
	s_add_u32 s2, s20, s2
	s_addc_u32 s3, s21, 0
	s_add_u32 s2, s2, 0xc4
	s_addc_u32 s3, s3, 0
	s_mul_i32 s4, s24, 12
	s_add_u32 s4, s20, s4
	s_addc_u32 s5, s21, 0
.LBB13_40:                              ; =>This Inner Loop Header: Depth=1
	s_waitcnt lgkmcnt(0)
	s_load_dwordx2 s[8:9], s[4:5], 0x4
	s_load_dword s7, s[4:5], 0xc
	s_add_u32 s4, s4, 12
	s_addc_u32 s5, s5, 0
	s_waitcnt lgkmcnt(0)
	v_mul_hi_u32 v4, s9, v2
	s_load_dword s9, s[2:3], 0x0
	s_add_u32 s2, s2, 4
	s_addc_u32 s3, s3, 0
	v_add_u32_e32 v4, v2, v4
	v_lshrrev_b32_e32 v4, s7, v4
	v_mul_lo_u32 v5, v4, s8
	s_add_i32 s6, s6, -1
	s_cmp_lg_u32 s6, 0
	v_sub_u32_e32 v2, v2, v5
	s_waitcnt lgkmcnt(0)
	v_mad_u64_u32 v[1:2], s[8:9], v2, s9, v[1:2]
	v_mov_b32_e32 v2, v4
	s_cbranch_scc1 .LBB13_40
.LBB13_41:
	s_cbranch_execnz .LBB13_44
.LBB13_42:
	s_load_dwordx4 s[4:7], s[20:21], 0x4
	s_load_dword s2, s[20:21], 0xc4
	s_cmp_lt_u32 s33, 2
	s_waitcnt lgkmcnt(0)
	v_mul_hi_u32 v1, s5, v3
	v_add_u32_e32 v1, v3, v1
	v_lshrrev_b32_e32 v2, s6, v1
	v_mul_lo_u32 v1, v2, s4
	v_sub_u32_e32 v1, v3, v1
	v_mul_lo_u32 v1, v1, s2
	s_cbranch_scc1 .LBB13_44
; %bb.43:
	s_load_dwordx4 s[4:7], s[20:21], 0x10
	s_load_dword s2, s[20:21], 0xc8
	s_waitcnt lgkmcnt(0)
	v_mul_hi_u32 v3, s5, v2
	v_add_u32_e32 v3, v2, v3
	v_lshrrev_b32_e32 v3, s6, v3
	v_mul_lo_u32 v3, v3, s4
	v_sub_u32_e32 v2, v2, v3
	v_mad_u64_u32 v[1:2], s[2:3], v2, s2, v[1:2]
.LBB13_44:
	s_and_b64 vcc, exec, s[0:1]
	v_add_u32_e32 v4, 0x100, v7
	s_cbranch_vccnz .LBB13_50
; %bb.45:
	s_cmp_lg_u32 s33, 0
	s_mov_b32 s24, 0
	s_cbranch_scc0 .LBB13_51
; %bb.46:
	s_min_u32 s25, s46, 15
	s_add_i32 s25, s25, 1
	s_cmp_eq_u32 s46, 2
	s_cbranch_scc1 .LBB13_52
; %bb.47:
	s_and_b32 s24, s25, 28
	s_add_u32 s2, s20, 0xc4
	s_addc_u32 s3, s21, 0
	s_waitcnt lgkmcnt(0)
	s_mov_b32 s26, 0
	v_mov_b32_e32 v2, 0
	s_mov_b64 s[22:23], s[20:21]
	v_mov_b32_e32 v3, v4
.LBB13_48:                              ; =>This Inner Loop Header: Depth=1
	s_load_dwordx8 s[4:11], s[22:23], 0x4
	s_load_dwordx4 s[12:15], s[22:23], 0x24
	s_load_dwordx4 s[16:19], s[2:3], 0x0
	s_add_u32 s22, s22, 48
	s_addc_u32 s23, s23, 0
	s_waitcnt lgkmcnt(0)
	v_mul_hi_u32 v5, s5, v3
	s_add_i32 s26, s26, 4
	s_add_u32 s2, s2, 16
	s_addc_u32 s3, s3, 0
	v_add_u32_e32 v5, v3, v5
	v_lshrrev_b32_e32 v5, s6, v5
	v_mul_lo_u32 v6, v5, s4
	v_mul_hi_u32 v8, s8, v5
	s_cmp_lg_u32 s24, s26
	v_sub_u32_e32 v3, v3, v6
	v_add_u32_e32 v6, v5, v8
	v_lshrrev_b32_e32 v6, s9, v6
	v_mul_lo_u32 v8, v3, s16
	v_mul_hi_u32 v3, s11, v6
	v_mul_lo_u32 v11, v6, s7
	v_add_u32_e32 v3, v6, v3
	v_lshrrev_b32_e32 v10, s12, v3
	v_mul_hi_u32 v3, s14, v10
	v_sub_u32_e32 v5, v5, v11
	v_mul_lo_u32 v11, v10, s10
	v_mul_lo_u32 v5, v5, s17
	v_add_u32_e32 v3, v10, v3
	v_lshrrev_b32_e32 v3, s15, v3
	v_mul_lo_u32 v12, v3, s13
	v_sub_u32_e32 v6, v6, v11
	v_mul_lo_u32 v6, v6, s18
	v_add3_u32 v2, v8, v2, v5
	v_sub_u32_e32 v10, v10, v12
	v_mul_lo_u32 v10, v10, s19
	v_add3_u32 v2, v6, v2, v10
	s_cbranch_scc1 .LBB13_48
; %bb.49:
	s_and_b32 s6, s25, 3
	s_cmp_eq_u32 s6, 0
	s_cbranch_scc0 .LBB13_53
	s_branch .LBB13_55
.LBB13_50:
                                        ; implicit-def: $vgpr2
	s_branch .LBB13_56
.LBB13_51:
	v_mov_b32_e32 v2, 0
	s_branch .LBB13_55
.LBB13_52:
	v_mov_b32_e32 v2, 0
	v_mov_b32_e32 v3, v4
	s_and_b32 s6, s25, 3
	s_cmp_eq_u32 s6, 0
	s_cbranch_scc1 .LBB13_55
.LBB13_53:
	s_lshl_b32 s2, s24, 2
	s_add_u32 s2, s20, s2
	s_addc_u32 s3, s21, 0
	s_add_u32 s2, s2, 0xc4
	s_addc_u32 s3, s3, 0
	s_mul_i32 s4, s24, 12
	s_add_u32 s4, s20, s4
	s_addc_u32 s5, s21, 0
.LBB13_54:                              ; =>This Inner Loop Header: Depth=1
	s_waitcnt lgkmcnt(0)
	s_load_dwordx2 s[8:9], s[4:5], 0x4
	s_load_dword s7, s[4:5], 0xc
	s_add_u32 s4, s4, 12
	s_addc_u32 s5, s5, 0
	s_waitcnt lgkmcnt(0)
	v_mul_hi_u32 v5, s9, v3
	s_load_dword s9, s[2:3], 0x0
	s_add_u32 s2, s2, 4
	s_addc_u32 s3, s3, 0
	v_add_u32_e32 v5, v3, v5
	v_lshrrev_b32_e32 v5, s7, v5
	v_mul_lo_u32 v6, v5, s8
	s_add_i32 s6, s6, -1
	s_cmp_lg_u32 s6, 0
	v_sub_u32_e32 v3, v3, v6
	s_waitcnt lgkmcnt(0)
	v_mad_u64_u32 v[2:3], s[8:9], v3, s9, v[2:3]
	v_mov_b32_e32 v3, v5
	s_cbranch_scc1 .LBB13_54
.LBB13_55:
	s_cbranch_execnz .LBB13_58
.LBB13_56:
	s_load_dwordx4 s[4:7], s[20:21], 0x4
	s_load_dword s2, s[20:21], 0xc4
	s_cmp_lt_u32 s33, 2
	s_waitcnt lgkmcnt(0)
	v_mul_hi_u32 v2, s5, v4
	v_add_u32_e32 v2, v4, v2
	v_lshrrev_b32_e32 v3, s6, v2
	v_mul_lo_u32 v2, v3, s4
	v_sub_u32_e32 v2, v4, v2
	v_mul_lo_u32 v2, v2, s2
	s_cbranch_scc1 .LBB13_58
; %bb.57:
	s_load_dwordx4 s[4:7], s[20:21], 0x10
	s_load_dword s2, s[20:21], 0xc8
	s_waitcnt lgkmcnt(0)
	v_mul_hi_u32 v4, s5, v3
	v_add_u32_e32 v4, v3, v4
	v_lshrrev_b32_e32 v4, s6, v4
	v_mul_lo_u32 v4, v4, s4
	v_sub_u32_e32 v3, v3, v4
	v_mad_u64_u32 v[2:3], s[2:3], v3, s2, v[2:3]
.LBB13_58:
	s_and_b64 vcc, exec, s[0:1]
	v_add_u32_e32 v5, 0x180, v7
	s_cbranch_vccnz .LBB13_64
; %bb.59:
	s_cmp_lg_u32 s33, 0
	s_mov_b32 s24, 0
	s_cbranch_scc0 .LBB13_65
; %bb.60:
	s_min_u32 s25, s46, 15
	s_add_i32 s25, s25, 1
	s_cmp_eq_u32 s46, 2
	s_cbranch_scc1 .LBB13_66
; %bb.61:
	s_and_b32 s24, s25, 28
	s_add_u32 s2, s20, 0xc4
	s_addc_u32 s3, s21, 0
	s_waitcnt lgkmcnt(0)
	s_mov_b32 s26, 0
	v_mov_b32_e32 v3, 0
	s_mov_b64 s[22:23], s[20:21]
	v_mov_b32_e32 v4, v5
.LBB13_62:                              ; =>This Inner Loop Header: Depth=1
	s_load_dwordx8 s[4:11], s[22:23], 0x4
	s_load_dwordx4 s[12:15], s[22:23], 0x24
	s_load_dwordx4 s[16:19], s[2:3], 0x0
	s_add_u32 s22, s22, 48
	s_addc_u32 s23, s23, 0
	s_waitcnt lgkmcnt(0)
	v_mul_hi_u32 v6, s5, v4
	s_add_i32 s26, s26, 4
	s_add_u32 s2, s2, 16
	s_addc_u32 s3, s3, 0
	v_add_u32_e32 v6, v4, v6
	v_lshrrev_b32_e32 v6, s6, v6
	v_mul_lo_u32 v8, v6, s4
	v_mul_hi_u32 v10, s8, v6
	s_cmp_lg_u32 s24, s26
	v_sub_u32_e32 v4, v4, v8
	v_add_u32_e32 v8, v6, v10
	v_lshrrev_b32_e32 v8, s9, v8
	v_mul_lo_u32 v10, v4, s16
	v_mul_hi_u32 v4, s11, v8
	v_mul_lo_u32 v12, v8, s7
	v_add_u32_e32 v4, v8, v4
	v_lshrrev_b32_e32 v11, s12, v4
	v_mul_hi_u32 v4, s14, v11
	v_sub_u32_e32 v6, v6, v12
	v_mul_lo_u32 v12, v11, s10
	v_mul_lo_u32 v6, v6, s17
	v_add_u32_e32 v4, v11, v4
	v_lshrrev_b32_e32 v4, s15, v4
	v_mul_lo_u32 v13, v4, s13
	v_sub_u32_e32 v8, v8, v12
	v_mul_lo_u32 v8, v8, s18
	v_add3_u32 v3, v10, v3, v6
	v_sub_u32_e32 v11, v11, v13
	v_mul_lo_u32 v11, v11, s19
	v_add3_u32 v3, v8, v3, v11
	s_cbranch_scc1 .LBB13_62
; %bb.63:
	s_and_b32 s6, s25, 3
	s_cmp_eq_u32 s6, 0
	s_cbranch_scc0 .LBB13_67
	s_branch .LBB13_69
.LBB13_64:
                                        ; implicit-def: $vgpr3
	s_branch .LBB13_70
.LBB13_65:
	v_mov_b32_e32 v3, 0
	s_branch .LBB13_69
.LBB13_66:
	v_mov_b32_e32 v3, 0
	v_mov_b32_e32 v4, v5
	s_and_b32 s6, s25, 3
	s_cmp_eq_u32 s6, 0
	s_cbranch_scc1 .LBB13_69
.LBB13_67:
	s_lshl_b32 s2, s24, 2
	s_add_u32 s2, s20, s2
	s_addc_u32 s3, s21, 0
	s_add_u32 s2, s2, 0xc4
	s_addc_u32 s3, s3, 0
	s_mul_i32 s4, s24, 12
	s_add_u32 s4, s20, s4
	s_addc_u32 s5, s21, 0
.LBB13_68:                              ; =>This Inner Loop Header: Depth=1
	s_waitcnt lgkmcnt(0)
	s_load_dwordx2 s[8:9], s[4:5], 0x4
	s_load_dword s7, s[4:5], 0xc
	s_add_u32 s4, s4, 12
	s_addc_u32 s5, s5, 0
	s_waitcnt lgkmcnt(0)
	v_mul_hi_u32 v6, s9, v4
	s_load_dword s9, s[2:3], 0x0
	s_add_u32 s2, s2, 4
	s_addc_u32 s3, s3, 0
	v_add_u32_e32 v6, v4, v6
	v_lshrrev_b32_e32 v6, s7, v6
	v_mul_lo_u32 v8, v6, s8
	s_add_i32 s6, s6, -1
	s_cmp_lg_u32 s6, 0
	v_sub_u32_e32 v4, v4, v8
	s_waitcnt lgkmcnt(0)
	v_mad_u64_u32 v[3:4], s[8:9], v4, s9, v[3:4]
	v_mov_b32_e32 v4, v6
	s_cbranch_scc1 .LBB13_68
.LBB13_69:
	s_cbranch_execnz .LBB13_72
.LBB13_70:
	s_load_dwordx4 s[4:7], s[20:21], 0x4
	s_load_dword s2, s[20:21], 0xc4
	s_cmp_lt_u32 s33, 2
	s_waitcnt lgkmcnt(0)
	v_mul_hi_u32 v3, s5, v5
	v_add_u32_e32 v3, v5, v3
	v_lshrrev_b32_e32 v4, s6, v3
	v_mul_lo_u32 v3, v4, s4
	v_sub_u32_e32 v3, v5, v3
	v_mul_lo_u32 v3, v3, s2
	s_cbranch_scc1 .LBB13_72
; %bb.71:
	s_load_dwordx4 s[4:7], s[20:21], 0x10
	s_load_dword s2, s[20:21], 0xc8
	s_waitcnt lgkmcnt(0)
	v_mul_hi_u32 v5, s5, v4
	v_add_u32_e32 v5, v4, v5
	v_lshrrev_b32_e32 v5, s6, v5
	v_mul_lo_u32 v5, v5, s4
	v_sub_u32_e32 v4, v4, v5
	v_mad_u64_u32 v[3:4], s[2:3], v4, s2, v[3:4]
.LBB13_72:
	s_and_b64 vcc, exec, s[0:1]
	v_add_u32_e32 v6, 0x200, v7
	s_cbranch_vccnz .LBB13_78
; %bb.73:
	s_cmp_lg_u32 s33, 0
	s_mov_b32 s24, 0
	s_cbranch_scc0 .LBB13_79
; %bb.74:
	s_min_u32 s25, s46, 15
	s_add_i32 s25, s25, 1
	s_cmp_eq_u32 s46, 2
	s_cbranch_scc1 .LBB13_80
; %bb.75:
	s_and_b32 s24, s25, 28
	s_add_u32 s2, s20, 0xc4
	s_addc_u32 s3, s21, 0
	s_waitcnt lgkmcnt(0)
	s_mov_b32 s26, 0
	v_mov_b32_e32 v4, 0
	s_mov_b64 s[22:23], s[20:21]
	v_mov_b32_e32 v5, v6
.LBB13_76:                              ; =>This Inner Loop Header: Depth=1
	s_load_dwordx8 s[4:11], s[22:23], 0x4
	s_load_dwordx4 s[12:15], s[22:23], 0x24
	s_load_dwordx4 s[16:19], s[2:3], 0x0
	s_add_u32 s22, s22, 48
	s_addc_u32 s23, s23, 0
	s_waitcnt lgkmcnt(0)
	v_mul_hi_u32 v8, s5, v5
	s_add_i32 s26, s26, 4
	s_add_u32 s2, s2, 16
	s_addc_u32 s3, s3, 0
	v_add_u32_e32 v8, v5, v8
	v_lshrrev_b32_e32 v8, s6, v8
	v_mul_lo_u32 v10, v8, s4
	v_mul_hi_u32 v11, s8, v8
	s_cmp_lg_u32 s24, s26
	v_sub_u32_e32 v5, v5, v10
	v_add_u32_e32 v10, v8, v11
	v_lshrrev_b32_e32 v10, s9, v10
	v_mul_lo_u32 v11, v5, s16
	v_mul_hi_u32 v5, s11, v10
	v_mul_lo_u32 v13, v10, s7
	v_add_u32_e32 v5, v10, v5
	v_lshrrev_b32_e32 v12, s12, v5
	v_mul_hi_u32 v5, s14, v12
	v_sub_u32_e32 v8, v8, v13
	v_mul_lo_u32 v13, v12, s10
	v_mul_lo_u32 v8, v8, s17
	v_add_u32_e32 v5, v12, v5
	v_lshrrev_b32_e32 v5, s15, v5
	v_mul_lo_u32 v14, v5, s13
	v_sub_u32_e32 v10, v10, v13
	v_mul_lo_u32 v10, v10, s18
	v_add3_u32 v4, v11, v4, v8
	v_sub_u32_e32 v12, v12, v14
	v_mul_lo_u32 v12, v12, s19
	v_add3_u32 v4, v10, v4, v12
	s_cbranch_scc1 .LBB13_76
; %bb.77:
	s_and_b32 s6, s25, 3
	s_cmp_eq_u32 s6, 0
	s_cbranch_scc0 .LBB13_81
	s_branch .LBB13_83
.LBB13_78:
                                        ; implicit-def: $vgpr4
	s_branch .LBB13_84
.LBB13_79:
	v_mov_b32_e32 v4, 0
	s_branch .LBB13_83
.LBB13_80:
	v_mov_b32_e32 v4, 0
	v_mov_b32_e32 v5, v6
	s_and_b32 s6, s25, 3
	s_cmp_eq_u32 s6, 0
	s_cbranch_scc1 .LBB13_83
.LBB13_81:
	s_lshl_b32 s2, s24, 2
	s_add_u32 s2, s20, s2
	s_addc_u32 s3, s21, 0
	s_add_u32 s2, s2, 0xc4
	s_addc_u32 s3, s3, 0
	s_mul_i32 s4, s24, 12
	s_add_u32 s4, s20, s4
	s_addc_u32 s5, s21, 0
.LBB13_82:                              ; =>This Inner Loop Header: Depth=1
	s_waitcnt lgkmcnt(0)
	s_load_dwordx2 s[8:9], s[4:5], 0x4
	s_load_dword s7, s[4:5], 0xc
	s_add_u32 s4, s4, 12
	s_addc_u32 s5, s5, 0
	s_waitcnt lgkmcnt(0)
	v_mul_hi_u32 v8, s9, v5
	s_load_dword s9, s[2:3], 0x0
	s_add_u32 s2, s2, 4
	s_addc_u32 s3, s3, 0
	v_add_u32_e32 v8, v5, v8
	v_lshrrev_b32_e32 v8, s7, v8
	v_mul_lo_u32 v10, v8, s8
	s_add_i32 s6, s6, -1
	s_cmp_lg_u32 s6, 0
	v_sub_u32_e32 v5, v5, v10
	s_waitcnt lgkmcnt(0)
	v_mad_u64_u32 v[4:5], s[8:9], v5, s9, v[4:5]
	v_mov_b32_e32 v5, v8
	s_cbranch_scc1 .LBB13_82
.LBB13_83:
	s_cbranch_execnz .LBB13_86
.LBB13_84:
	s_load_dwordx4 s[4:7], s[20:21], 0x4
	s_load_dword s2, s[20:21], 0xc4
	s_cmp_lt_u32 s33, 2
	s_waitcnt lgkmcnt(0)
	v_mul_hi_u32 v4, s5, v6
	v_add_u32_e32 v4, v6, v4
	v_lshrrev_b32_e32 v5, s6, v4
	v_mul_lo_u32 v4, v5, s4
	v_sub_u32_e32 v4, v6, v4
	v_mul_lo_u32 v4, v4, s2
	s_cbranch_scc1 .LBB13_86
; %bb.85:
	s_load_dwordx4 s[4:7], s[20:21], 0x10
	s_load_dword s2, s[20:21], 0xc8
	s_waitcnt lgkmcnt(0)
	v_mul_hi_u32 v6, s5, v5
	v_add_u32_e32 v6, v5, v6
	v_lshrrev_b32_e32 v6, s6, v6
	v_mul_lo_u32 v6, v6, s4
	v_sub_u32_e32 v5, v5, v6
	v_mad_u64_u32 v[4:5], s[2:3], v5, s2, v[4:5]
.LBB13_86:
	s_and_b64 vcc, exec, s[0:1]
	v_add_u32_e32 v8, 0x280, v7
	s_cbranch_vccnz .LBB13_92
; %bb.87:
	s_cmp_lg_u32 s33, 0
	s_mov_b32 s24, 0
	s_cbranch_scc0 .LBB13_93
; %bb.88:
	s_min_u32 s25, s46, 15
	s_add_i32 s25, s25, 1
	s_cmp_eq_u32 s46, 2
	s_cbranch_scc1 .LBB13_94
; %bb.89:
	s_and_b32 s24, s25, 28
	s_add_u32 s2, s20, 0xc4
	s_addc_u32 s3, s21, 0
	s_waitcnt lgkmcnt(0)
	s_mov_b32 s26, 0
	v_mov_b32_e32 v5, 0
	s_mov_b64 s[22:23], s[20:21]
	v_mov_b32_e32 v6, v8
.LBB13_90:                              ; =>This Inner Loop Header: Depth=1
	s_load_dwordx8 s[4:11], s[22:23], 0x4
	s_load_dwordx4 s[12:15], s[22:23], 0x24
	s_load_dwordx4 s[16:19], s[2:3], 0x0
	s_add_u32 s22, s22, 48
	s_addc_u32 s23, s23, 0
	s_waitcnt lgkmcnt(0)
	v_mul_hi_u32 v10, s5, v6
	s_add_i32 s26, s26, 4
	s_add_u32 s2, s2, 16
	s_addc_u32 s3, s3, 0
	v_add_u32_e32 v10, v6, v10
	v_lshrrev_b32_e32 v10, s6, v10
	v_mul_lo_u32 v11, v10, s4
	v_mul_hi_u32 v12, s8, v10
	s_cmp_lg_u32 s24, s26
	v_sub_u32_e32 v6, v6, v11
	v_add_u32_e32 v11, v10, v12
	v_lshrrev_b32_e32 v11, s9, v11
	v_mul_lo_u32 v12, v6, s16
	v_mul_hi_u32 v6, s11, v11
	v_mul_lo_u32 v14, v11, s7
	v_add_u32_e32 v6, v11, v6
	v_lshrrev_b32_e32 v13, s12, v6
	v_mul_hi_u32 v6, s14, v13
	v_sub_u32_e32 v10, v10, v14
	v_mul_lo_u32 v14, v13, s10
	v_mul_lo_u32 v10, v10, s17
	v_add_u32_e32 v6, v13, v6
	v_lshrrev_b32_e32 v6, s15, v6
	v_mul_lo_u32 v15, v6, s13
	v_sub_u32_e32 v11, v11, v14
	v_mul_lo_u32 v11, v11, s18
	v_add3_u32 v5, v12, v5, v10
	v_sub_u32_e32 v13, v13, v15
	v_mul_lo_u32 v13, v13, s19
	v_add3_u32 v5, v11, v5, v13
	s_cbranch_scc1 .LBB13_90
; %bb.91:
	s_and_b32 s6, s25, 3
	s_cmp_eq_u32 s6, 0
	s_cbranch_scc0 .LBB13_95
	s_branch .LBB13_97
.LBB13_92:
                                        ; implicit-def: $vgpr5
	s_branch .LBB13_98
.LBB13_93:
	v_mov_b32_e32 v5, 0
	s_branch .LBB13_97
.LBB13_94:
	v_mov_b32_e32 v5, 0
	v_mov_b32_e32 v6, v8
	s_and_b32 s6, s25, 3
	s_cmp_eq_u32 s6, 0
	s_cbranch_scc1 .LBB13_97
.LBB13_95:
	s_lshl_b32 s2, s24, 2
	s_add_u32 s2, s20, s2
	s_addc_u32 s3, s21, 0
	s_add_u32 s2, s2, 0xc4
	s_addc_u32 s3, s3, 0
	s_mul_i32 s4, s24, 12
	s_add_u32 s4, s20, s4
	s_addc_u32 s5, s21, 0
.LBB13_96:                              ; =>This Inner Loop Header: Depth=1
	s_waitcnt lgkmcnt(0)
	s_load_dwordx2 s[8:9], s[4:5], 0x4
	s_load_dword s7, s[4:5], 0xc
	s_add_u32 s4, s4, 12
	s_addc_u32 s5, s5, 0
	s_waitcnt lgkmcnt(0)
	v_mul_hi_u32 v10, s9, v6
	s_load_dword s9, s[2:3], 0x0
	s_add_u32 s2, s2, 4
	s_addc_u32 s3, s3, 0
	v_add_u32_e32 v10, v6, v10
	v_lshrrev_b32_e32 v10, s7, v10
	v_mul_lo_u32 v11, v10, s8
	s_add_i32 s6, s6, -1
	s_cmp_lg_u32 s6, 0
	v_sub_u32_e32 v6, v6, v11
	s_waitcnt lgkmcnt(0)
	v_mad_u64_u32 v[5:6], s[8:9], v6, s9, v[5:6]
	v_mov_b32_e32 v6, v10
	s_cbranch_scc1 .LBB13_96
.LBB13_97:
	s_cbranch_execnz .LBB13_100
.LBB13_98:
	s_load_dwordx4 s[4:7], s[20:21], 0x4
	s_load_dword s2, s[20:21], 0xc4
	s_cmp_lt_u32 s33, 2
	s_waitcnt lgkmcnt(0)
	v_mul_hi_u32 v5, s5, v8
	v_add_u32_e32 v5, v8, v5
	v_lshrrev_b32_e32 v6, s6, v5
	v_mul_lo_u32 v5, v6, s4
	v_sub_u32_e32 v5, v8, v5
	v_mul_lo_u32 v5, v5, s2
	s_cbranch_scc1 .LBB13_100
; %bb.99:
	s_load_dwordx4 s[4:7], s[20:21], 0x10
	s_load_dword s2, s[20:21], 0xc8
	s_waitcnt lgkmcnt(0)
	v_mul_hi_u32 v8, s5, v6
	v_add_u32_e32 v8, v6, v8
	v_lshrrev_b32_e32 v8, s6, v8
	v_mul_lo_u32 v8, v8, s4
	v_sub_u32_e32 v6, v6, v8
	v_mad_u64_u32 v[5:6], s[2:3], v6, s2, v[5:6]
.LBB13_100:
	s_and_b64 vcc, exec, s[0:1]
	v_add_u32_e32 v8, 0x300, v7
	s_cbranch_vccnz .LBB13_106
; %bb.101:
	s_cmp_lg_u32 s33, 0
	s_mov_b32 s24, 0
	s_cbranch_scc0 .LBB13_107
; %bb.102:
	s_min_u32 s25, s46, 15
	s_add_i32 s25, s25, 1
	s_cmp_eq_u32 s46, 2
	s_cbranch_scc1 .LBB13_108
; %bb.103:
	s_and_b32 s24, s25, 28
	s_add_u32 s2, s20, 0xc4
	s_addc_u32 s3, s21, 0
	s_waitcnt lgkmcnt(0)
	s_mov_b32 s26, 0
	v_mov_b32_e32 v6, 0
	s_mov_b64 s[22:23], s[20:21]
	v_mov_b32_e32 v7, v8
.LBB13_104:                             ; =>This Inner Loop Header: Depth=1
	s_load_dwordx8 s[4:11], s[22:23], 0x4
	s_load_dwordx4 s[12:15], s[22:23], 0x24
	s_load_dwordx4 s[16:19], s[2:3], 0x0
	s_add_u32 s22, s22, 48
	s_addc_u32 s23, s23, 0
	s_waitcnt lgkmcnt(0)
	v_mul_hi_u32 v10, s5, v7
	s_add_i32 s26, s26, 4
	s_add_u32 s2, s2, 16
	s_addc_u32 s3, s3, 0
	v_add_u32_e32 v10, v7, v10
	v_lshrrev_b32_e32 v10, s6, v10
	v_mul_lo_u32 v11, v10, s4
	v_mul_hi_u32 v12, s8, v10
	s_cmp_lg_u32 s24, s26
	v_sub_u32_e32 v7, v7, v11
	v_add_u32_e32 v11, v10, v12
	v_lshrrev_b32_e32 v11, s9, v11
	v_mul_lo_u32 v12, v7, s16
	v_mul_hi_u32 v7, s11, v11
	v_mul_lo_u32 v14, v11, s7
	v_add_u32_e32 v7, v11, v7
	v_lshrrev_b32_e32 v13, s12, v7
	v_mul_hi_u32 v7, s14, v13
	v_sub_u32_e32 v10, v10, v14
	v_mul_lo_u32 v14, v13, s10
	v_mul_lo_u32 v10, v10, s17
	v_add_u32_e32 v7, v13, v7
	v_lshrrev_b32_e32 v7, s15, v7
	v_mul_lo_u32 v15, v7, s13
	v_sub_u32_e32 v11, v11, v14
	v_mul_lo_u32 v11, v11, s18
	v_add3_u32 v6, v12, v6, v10
	v_sub_u32_e32 v13, v13, v15
	v_mul_lo_u32 v13, v13, s19
	v_add3_u32 v6, v11, v6, v13
	s_cbranch_scc1 .LBB13_104
; %bb.105:
	s_and_b32 s6, s25, 3
	s_cmp_eq_u32 s6, 0
	s_cbranch_scc0 .LBB13_109
	s_branch .LBB13_111
.LBB13_106:
                                        ; implicit-def: $vgpr6
	s_branch .LBB13_112
.LBB13_107:
	v_mov_b32_e32 v6, 0
	s_branch .LBB13_111
.LBB13_108:
	v_mov_b32_e32 v6, 0
	v_mov_b32_e32 v7, v8
	s_and_b32 s6, s25, 3
	s_cmp_eq_u32 s6, 0
	s_cbranch_scc1 .LBB13_111
.LBB13_109:
	s_lshl_b32 s2, s24, 2
	s_add_u32 s2, s20, s2
	s_addc_u32 s3, s21, 0
	s_add_u32 s2, s2, 0xc4
	s_addc_u32 s3, s3, 0
	s_mul_i32 s4, s24, 12
	s_add_u32 s4, s20, s4
	s_addc_u32 s5, s21, 0
.LBB13_110:                             ; =>This Inner Loop Header: Depth=1
	s_waitcnt lgkmcnt(0)
	s_load_dwordx2 s[8:9], s[4:5], 0x4
	s_load_dword s7, s[4:5], 0xc
	s_add_u32 s4, s4, 12
	s_addc_u32 s5, s5, 0
	s_waitcnt lgkmcnt(0)
	v_mul_hi_u32 v10, s9, v7
	s_load_dword s9, s[2:3], 0x0
	s_add_u32 s2, s2, 4
	s_addc_u32 s3, s3, 0
	v_add_u32_e32 v10, v7, v10
	v_lshrrev_b32_e32 v10, s7, v10
	v_mul_lo_u32 v11, v10, s8
	s_add_i32 s6, s6, -1
	s_cmp_lg_u32 s6, 0
	v_sub_u32_e32 v7, v7, v11
	s_waitcnt lgkmcnt(0)
	v_mad_u64_u32 v[6:7], s[8:9], v7, s9, v[6:7]
	v_mov_b32_e32 v7, v10
	s_cbranch_scc1 .LBB13_110
.LBB13_111:
	s_cbranch_execnz .LBB13_114
.LBB13_112:
	s_load_dwordx4 s[4:7], s[20:21], 0x4
	s_load_dword s2, s[20:21], 0xc4
	s_cmp_lt_u32 s33, 2
	s_waitcnt lgkmcnt(0)
	v_mul_hi_u32 v6, s5, v8
	v_add_u32_e32 v6, v8, v6
	v_lshrrev_b32_e32 v7, s6, v6
	v_mul_lo_u32 v6, v7, s4
	v_sub_u32_e32 v6, v8, v6
	v_mul_lo_u32 v6, v6, s2
	s_cbranch_scc1 .LBB13_114
; %bb.113:
	s_load_dwordx4 s[4:7], s[20:21], 0x10
	s_load_dword s2, s[20:21], 0xc8
	s_waitcnt lgkmcnt(0)
	v_mul_hi_u32 v8, s5, v7
	v_add_u32_e32 v8, v7, v8
	v_lshrrev_b32_e32 v8, s6, v8
	v_mul_lo_u32 v8, v8, s4
	v_sub_u32_e32 v7, v7, v8
	v_mad_u64_u32 v[6:7], s[2:3], v7, s2, v[6:7]
.LBB13_114:
	s_and_b64 vcc, exec, s[0:1]
	s_cbranch_vccnz .LBB13_120
; %bb.115:
	s_cmp_lg_u32 s33, 0
	s_mov_b32 s22, 0
	s_cbranch_scc0 .LBB13_121
; %bb.116:
	s_min_u32 s23, s46, 15
	s_add_i32 s23, s23, 1
	s_cmp_eq_u32 s46, 2
	s_cbranch_scc1 .LBB13_122
; %bb.117:
	s_and_b32 s22, s23, 28
	s_add_u32 s16, s20, 0xc4
	s_addc_u32 s17, s21, 0
	s_mov_b32 s24, 0
	v_mov_b32_e32 v7, 0
	s_mov_b64 s[18:19], s[20:21]
	v_mov_b32_e32 v8, v9
.LBB13_118:                             ; =>This Inner Loop Header: Depth=1
	s_load_dwordx8 s[0:7], s[18:19], 0x4
	s_waitcnt lgkmcnt(0)
	s_load_dwordx4 s[8:11], s[18:19], 0x24
	s_load_dwordx4 s[12:15], s[16:17], 0x0
	s_add_u32 s18, s18, 48
	s_addc_u32 s19, s19, 0
	v_mul_hi_u32 v10, s1, v8
	s_add_i32 s24, s24, 4
	s_add_u32 s16, s16, 16
	s_addc_u32 s17, s17, 0
	v_add_u32_e32 v10, v8, v10
	v_lshrrev_b32_e32 v10, s2, v10
	v_mul_lo_u32 v11, v10, s0
	v_mul_hi_u32 v12, s4, v10
	s_cmp_lg_u32 s22, s24
	v_sub_u32_e32 v8, v8, v11
	v_add_u32_e32 v11, v10, v12
	v_lshrrev_b32_e32 v11, s5, v11
	s_waitcnt lgkmcnt(0)
	v_mul_lo_u32 v12, v8, s12
	v_mul_hi_u32 v8, s7, v11
	v_mul_lo_u32 v14, v11, s3
	v_add_u32_e32 v8, v11, v8
	v_lshrrev_b32_e32 v13, s8, v8
	v_mul_hi_u32 v8, s10, v13
	v_sub_u32_e32 v10, v10, v14
	v_mul_lo_u32 v14, v13, s6
	v_mul_lo_u32 v10, v10, s13
	v_add_u32_e32 v8, v13, v8
	v_lshrrev_b32_e32 v8, s11, v8
	v_mul_lo_u32 v15, v8, s9
	v_sub_u32_e32 v11, v11, v14
	v_mul_lo_u32 v11, v11, s14
	v_add3_u32 v7, v12, v7, v10
	v_sub_u32_e32 v13, v13, v15
	v_mul_lo_u32 v13, v13, s15
	v_add3_u32 v7, v11, v7, v13
	s_cbranch_scc1 .LBB13_118
; %bb.119:
	s_and_b32 s4, s23, 3
	s_cmp_eq_u32 s4, 0
	s_cbranch_scc0 .LBB13_123
	s_branch .LBB13_125
.LBB13_120:
                                        ; implicit-def: $vgpr7
	s_branch .LBB13_126
.LBB13_121:
	v_mov_b32_e32 v7, 0
	s_branch .LBB13_125
.LBB13_122:
	v_mov_b32_e32 v7, 0
	v_mov_b32_e32 v8, v9
	s_and_b32 s4, s23, 3
	s_cmp_eq_u32 s4, 0
	s_cbranch_scc1 .LBB13_125
.LBB13_123:
	s_lshl_b32 s0, s22, 2
	s_add_u32 s0, s20, s0
	s_addc_u32 s1, s21, 0
	s_add_u32 s0, s0, 0xc4
	s_addc_u32 s1, s1, 0
	s_mul_i32 s2, s22, 12
	s_add_u32 s2, s20, s2
	s_addc_u32 s3, s21, 0
.LBB13_124:                             ; =>This Inner Loop Header: Depth=1
	s_load_dwordx2 s[6:7], s[2:3], 0x4
	s_load_dword s5, s[2:3], 0xc
	s_add_u32 s2, s2, 12
	s_addc_u32 s3, s3, 0
	s_waitcnt lgkmcnt(0)
	v_mul_hi_u32 v10, s7, v8
	s_load_dword s7, s[0:1], 0x0
	s_add_u32 s0, s0, 4
	s_addc_u32 s1, s1, 0
	v_add_u32_e32 v10, v8, v10
	v_lshrrev_b32_e32 v10, s5, v10
	v_mul_lo_u32 v11, v10, s6
	s_add_i32 s4, s4, -1
	s_cmp_lg_u32 s4, 0
	v_sub_u32_e32 v8, v8, v11
	s_waitcnt lgkmcnt(0)
	v_mad_u64_u32 v[7:8], s[6:7], v8, s7, v[7:8]
	v_mov_b32_e32 v8, v10
	s_cbranch_scc1 .LBB13_124
.LBB13_125:
	s_cbranch_execnz .LBB13_128
.LBB13_126:
	s_load_dwordx4 s[0:3], s[20:21], 0x4
	s_waitcnt lgkmcnt(0)
	s_load_dword s3, s[20:21], 0xc4
	s_cmp_lt_u32 s33, 2
	v_mul_hi_u32 v7, s1, v9
	v_add_u32_e32 v7, v9, v7
	v_lshrrev_b32_e32 v8, s2, v7
	v_mul_lo_u32 v7, v8, s0
	v_sub_u32_e32 v7, v9, v7
	s_waitcnt lgkmcnt(0)
	v_mul_lo_u32 v7, v7, s3
	s_cbranch_scc1 .LBB13_128
; %bb.127:
	s_load_dwordx4 s[0:3], s[20:21], 0x10
	s_waitcnt lgkmcnt(0)
	s_load_dword s3, s[20:21], 0xc8
	v_mul_hi_u32 v9, s1, v8
	v_add_u32_e32 v9, v8, v9
	v_lshrrev_b32_e32 v9, s2, v9
	v_mul_lo_u32 v9, v9, s0
	v_sub_u32_e32 v8, v8, v9
	s_waitcnt lgkmcnt(0)
	v_mad_u64_u32 v[7:8], s[0:1], v8, s3, v[7:8]
.LBB13_128:
	s_load_dword s2, s[20:21], 0x110
	s_load_dwordx2 s[0:1], s[20:21], 0x108
	s_waitcnt lgkmcnt(0)
	v_mov_b32_e32 v8, s2
	s_nop 0
	global_store_byte v0, v8, s[0:1]
	global_store_byte v1, v8, s[0:1]
	;; [unrolled: 1-line block ×8, first 2 shown]
	s_endpgm
.LBB13_129:
	v_mov_b32_e32 v0, 0
	s_branch .LBB13_135
.LBB13_130:
	v_mov_b32_e32 v0, 0
	s_branch .LBB13_151
.LBB13_131:
	v_mov_b32_e32 v0, 0
	s_mov_b32 s50, 0
	v_mov_b32_e32 v1, v7
.LBB13_132:
	s_and_b32 s4, s51, 3
	s_cmp_eq_u32 s4, 0
	s_cbranch_scc1 .LBB13_135
; %bb.133:
	s_lshl_b32 s0, s50, 2
	s_add_u32 s0, s20, s0
	s_addc_u32 s1, s21, 0
	s_add_u32 s0, s0, 0xc4
	s_addc_u32 s1, s1, 0
	s_mul_i32 s2, s50, 12
	s_add_u32 s2, s20, s2
	s_addc_u32 s3, s21, 0
.LBB13_134:                             ; =>This Inner Loop Header: Depth=1
	s_load_dwordx2 s[6:7], s[2:3], 0x4
	s_load_dword s5, s[2:3], 0xc
	s_add_u32 s2, s2, 12
	s_addc_u32 s3, s3, 0
	s_waitcnt lgkmcnt(0)
	v_mul_hi_u32 v2, s7, v1
	s_load_dword s7, s[0:1], 0x0
	s_add_u32 s0, s0, 4
	s_addc_u32 s1, s1, 0
	v_add_u32_e32 v2, v1, v2
	v_lshrrev_b32_e32 v2, s5, v2
	v_mul_lo_u32 v3, v2, s6
	s_add_i32 s4, s4, -1
	s_cmp_lg_u32 s4, 0
	v_sub_u32_e32 v1, v1, v3
	s_waitcnt lgkmcnt(0)
	v_mad_u64_u32 v[0:1], s[6:7], v1, s7, v[0:1]
	v_mov_b32_e32 v1, v2
	s_cbranch_scc1 .LBB13_134
.LBB13_135:
	s_cbranch_execnz .LBB13_138
.LBB13_136:
	s_waitcnt lgkmcnt(0)
	v_mul_hi_u32 v0, s9, v7
	s_andn2_b64 vcc, exec, s[34:35]
	v_add_u32_e32 v0, v7, v0
	v_lshrrev_b32_e32 v1, s10, v0
	v_mul_lo_u32 v0, v1, s8
	v_sub_u32_e32 v0, v7, v0
	v_mul_lo_u32 v0, v0, s28
	s_cbranch_vccnz .LBB13_138
; %bb.137:
	v_mul_hi_u32 v2, s30, v1
	v_add_u32_e32 v2, v1, v2
	v_lshrrev_b32_e32 v2, s31, v2
	v_mul_lo_u32 v2, v2, s11
	v_sub_u32_e32 v1, v1, v2
	v_mad_u64_u32 v[0:1], s[0:1], v1, s29, v[0:1]
.LBB13_138:
	s_waitcnt lgkmcnt(0)
	v_mov_b32_e32 v1, s47
	v_add_u32_e32 v7, 0x80, v7
	global_store_byte v0, v1, s[26:27]
	s_or_b64 exec, exec, s[40:41]
	v_cmp_gt_i32_e32 vcc, s48, v7
	s_and_saveexec_b64 s[40:41], vcc
	s_cbranch_execnz .LBB13_15
.LBB13_139:
	s_or_b64 exec, exec, s[40:41]
	v_cmp_gt_i32_e32 vcc, s48, v7
	s_and_saveexec_b64 s[40:41], vcc
	s_cbranch_execz .LBB13_155
.LBB13_140:
	s_andn2_b64 vcc, exec, s[22:23]
	s_cbranch_vccnz .LBB13_145
; %bb.141:
	s_andn2_b64 vcc, exec, s[38:39]
	s_cbranch_vccnz .LBB13_146
; %bb.142:
	s_add_i32 s51, s49, 1
	s_cmp_eq_u32 s46, 2
	s_cbranch_scc1 .LBB13_163
; %bb.143:
	s_and_b32 s50, s51, 28
	s_mov_b32 s52, 0
	v_mov_b32_e32 v0, 0
	s_mov_b64 s[42:43], s[20:21]
	s_mov_b64 s[44:45], s[36:37]
	v_mov_b32_e32 v1, v7
.LBB13_144:                             ; =>This Inner Loop Header: Depth=1
	s_load_dwordx8 s[0:7], s[42:43], 0x4
	s_load_dwordx4 s[12:15], s[42:43], 0x24
	s_load_dwordx4 s[16:19], s[44:45], 0x0
	s_add_u32 s42, s42, 48
	s_addc_u32 s43, s43, 0
	s_waitcnt lgkmcnt(0)
	v_mul_hi_u32 v2, s1, v1
	s_add_i32 s52, s52, 4
	s_add_u32 s44, s44, 16
	s_addc_u32 s45, s45, 0
	v_add_u32_e32 v2, v1, v2
	v_lshrrev_b32_e32 v2, s2, v2
	v_mul_lo_u32 v3, v2, s0
	v_mul_hi_u32 v4, s4, v2
	s_cmp_eq_u32 s50, s52
	v_sub_u32_e32 v1, v1, v3
	v_add_u32_e32 v3, v2, v4
	v_lshrrev_b32_e32 v3, s5, v3
	v_mul_lo_u32 v4, v1, s16
	v_mul_hi_u32 v1, s7, v3
	v_mul_lo_u32 v6, v3, s3
	v_add_u32_e32 v1, v3, v1
	v_lshrrev_b32_e32 v5, s12, v1
	v_mul_hi_u32 v1, s14, v5
	v_sub_u32_e32 v2, v2, v6
	v_mul_lo_u32 v6, v5, s6
	v_mul_lo_u32 v2, v2, s17
	v_add_u32_e32 v1, v5, v1
	v_lshrrev_b32_e32 v1, s15, v1
	v_mul_lo_u32 v8, v1, s13
	v_sub_u32_e32 v3, v3, v6
	v_mul_lo_u32 v3, v3, s18
	v_add3_u32 v0, v4, v0, v2
	v_sub_u32_e32 v5, v5, v8
	v_mul_lo_u32 v5, v5, s19
	v_add3_u32 v0, v3, v0, v5
	s_cbranch_scc0 .LBB13_144
	s_branch .LBB13_164
.LBB13_145:
                                        ; implicit-def: $vgpr0
	s_branch .LBB13_168
.LBB13_146:
	v_mov_b32_e32 v0, 0
	s_branch .LBB13_167
.LBB13_147:
	v_mov_b32_e32 v0, 0
	s_mov_b32 s50, 0
	v_mov_b32_e32 v1, v7
.LBB13_148:
	s_and_b32 s4, s51, 3
	s_cmp_eq_u32 s4, 0
	s_cbranch_scc1 .LBB13_151
; %bb.149:
	s_lshl_b32 s0, s50, 2
	s_add_u32 s0, s20, s0
	s_addc_u32 s1, s21, 0
	s_add_u32 s0, s0, 0xc4
	s_addc_u32 s1, s1, 0
	s_mul_i32 s2, s50, 12
	s_add_u32 s2, s20, s2
	s_addc_u32 s3, s21, 0
.LBB13_150:                             ; =>This Inner Loop Header: Depth=1
	s_load_dwordx2 s[6:7], s[2:3], 0x4
	s_load_dword s5, s[2:3], 0xc
	s_add_u32 s2, s2, 12
	s_addc_u32 s3, s3, 0
	s_waitcnt lgkmcnt(0)
	v_mul_hi_u32 v2, s7, v1
	s_load_dword s7, s[0:1], 0x0
	s_add_u32 s0, s0, 4
	s_addc_u32 s1, s1, 0
	v_add_u32_e32 v2, v1, v2
	v_lshrrev_b32_e32 v2, s5, v2
	v_mul_lo_u32 v3, v2, s6
	s_add_i32 s4, s4, -1
	s_cmp_lg_u32 s4, 0
	v_sub_u32_e32 v1, v1, v3
	s_waitcnt lgkmcnt(0)
	v_mad_u64_u32 v[0:1], s[6:7], v1, s7, v[0:1]
	v_mov_b32_e32 v1, v2
	s_cbranch_scc1 .LBB13_150
.LBB13_151:
	s_cbranch_execnz .LBB13_154
.LBB13_152:
	s_waitcnt lgkmcnt(0)
	v_mul_hi_u32 v0, s9, v7
	s_andn2_b64 vcc, exec, s[34:35]
	v_add_u32_e32 v0, v7, v0
	v_lshrrev_b32_e32 v1, s10, v0
	v_mul_lo_u32 v0, v1, s8
	v_sub_u32_e32 v0, v7, v0
	v_mul_lo_u32 v0, v0, s28
	s_cbranch_vccnz .LBB13_154
; %bb.153:
	v_mul_hi_u32 v2, s30, v1
	v_add_u32_e32 v2, v1, v2
	v_lshrrev_b32_e32 v2, s31, v2
	v_mul_lo_u32 v2, v2, s11
	v_sub_u32_e32 v1, v1, v2
	v_mad_u64_u32 v[0:1], s[0:1], v1, s29, v[0:1]
.LBB13_154:
	s_waitcnt lgkmcnt(0)
	v_mov_b32_e32 v1, s47
	v_add_u32_e32 v7, 0x80, v7
	global_store_byte v0, v1, s[26:27]
	s_or_b64 exec, exec, s[40:41]
	v_cmp_gt_i32_e32 vcc, s48, v7
	s_and_saveexec_b64 s[40:41], vcc
	s_cbranch_execnz .LBB13_140
.LBB13_155:
	s_or_b64 exec, exec, s[40:41]
	v_cmp_gt_i32_e32 vcc, s48, v7
	s_and_saveexec_b64 s[40:41], vcc
	s_cbranch_execz .LBB13_171
.LBB13_156:
	s_andn2_b64 vcc, exec, s[22:23]
	s_cbranch_vccnz .LBB13_161
; %bb.157:
	s_andn2_b64 vcc, exec, s[38:39]
	s_cbranch_vccnz .LBB13_162
; %bb.158:
	s_add_i32 s51, s49, 1
	s_cmp_eq_u32 s46, 2
	s_cbranch_scc1 .LBB13_179
; %bb.159:
	s_and_b32 s50, s51, 28
	s_mov_b32 s52, 0
	v_mov_b32_e32 v0, 0
	s_mov_b64 s[42:43], s[20:21]
	s_mov_b64 s[44:45], s[36:37]
	v_mov_b32_e32 v1, v7
.LBB13_160:                             ; =>This Inner Loop Header: Depth=1
	s_load_dwordx8 s[0:7], s[42:43], 0x4
	s_load_dwordx4 s[12:15], s[42:43], 0x24
	s_load_dwordx4 s[16:19], s[44:45], 0x0
	s_add_u32 s42, s42, 48
	s_addc_u32 s43, s43, 0
	s_waitcnt lgkmcnt(0)
	v_mul_hi_u32 v2, s1, v1
	s_add_i32 s52, s52, 4
	s_add_u32 s44, s44, 16
	s_addc_u32 s45, s45, 0
	v_add_u32_e32 v2, v1, v2
	v_lshrrev_b32_e32 v2, s2, v2
	v_mul_lo_u32 v3, v2, s0
	v_mul_hi_u32 v4, s4, v2
	s_cmp_eq_u32 s50, s52
	v_sub_u32_e32 v1, v1, v3
	v_add_u32_e32 v3, v2, v4
	v_lshrrev_b32_e32 v3, s5, v3
	v_mul_lo_u32 v4, v1, s16
	v_mul_hi_u32 v1, s7, v3
	v_mul_lo_u32 v6, v3, s3
	v_add_u32_e32 v1, v3, v1
	v_lshrrev_b32_e32 v5, s12, v1
	v_mul_hi_u32 v1, s14, v5
	v_sub_u32_e32 v2, v2, v6
	v_mul_lo_u32 v6, v5, s6
	v_mul_lo_u32 v2, v2, s17
	v_add_u32_e32 v1, v5, v1
	v_lshrrev_b32_e32 v1, s15, v1
	v_mul_lo_u32 v8, v1, s13
	v_sub_u32_e32 v3, v3, v6
	v_mul_lo_u32 v3, v3, s18
	v_add3_u32 v0, v4, v0, v2
	v_sub_u32_e32 v5, v5, v8
	v_mul_lo_u32 v5, v5, s19
	v_add3_u32 v0, v3, v0, v5
	s_cbranch_scc0 .LBB13_160
	s_branch .LBB13_180
.LBB13_161:
                                        ; implicit-def: $vgpr0
	s_branch .LBB13_184
.LBB13_162:
	v_mov_b32_e32 v0, 0
	s_branch .LBB13_183
.LBB13_163:
	v_mov_b32_e32 v0, 0
	s_mov_b32 s50, 0
	v_mov_b32_e32 v1, v7
.LBB13_164:
	s_and_b32 s4, s51, 3
	s_cmp_eq_u32 s4, 0
	s_cbranch_scc1 .LBB13_167
; %bb.165:
	s_lshl_b32 s0, s50, 2
	s_add_u32 s0, s20, s0
	s_addc_u32 s1, s21, 0
	s_add_u32 s0, s0, 0xc4
	s_addc_u32 s1, s1, 0
	s_mul_i32 s2, s50, 12
	s_add_u32 s2, s20, s2
	s_addc_u32 s3, s21, 0
.LBB13_166:                             ; =>This Inner Loop Header: Depth=1
	s_load_dwordx2 s[6:7], s[2:3], 0x4
	s_load_dword s5, s[2:3], 0xc
	s_add_u32 s2, s2, 12
	s_addc_u32 s3, s3, 0
	s_waitcnt lgkmcnt(0)
	v_mul_hi_u32 v2, s7, v1
	s_load_dword s7, s[0:1], 0x0
	s_add_u32 s0, s0, 4
	s_addc_u32 s1, s1, 0
	v_add_u32_e32 v2, v1, v2
	v_lshrrev_b32_e32 v2, s5, v2
	v_mul_lo_u32 v3, v2, s6
	s_add_i32 s4, s4, -1
	s_cmp_lg_u32 s4, 0
	v_sub_u32_e32 v1, v1, v3
	s_waitcnt lgkmcnt(0)
	v_mad_u64_u32 v[0:1], s[6:7], v1, s7, v[0:1]
	v_mov_b32_e32 v1, v2
	s_cbranch_scc1 .LBB13_166
.LBB13_167:
	s_cbranch_execnz .LBB13_170
.LBB13_168:
	s_waitcnt lgkmcnt(0)
	v_mul_hi_u32 v0, s9, v7
	s_andn2_b64 vcc, exec, s[34:35]
	v_add_u32_e32 v0, v7, v0
	v_lshrrev_b32_e32 v1, s10, v0
	v_mul_lo_u32 v0, v1, s8
	v_sub_u32_e32 v0, v7, v0
	v_mul_lo_u32 v0, v0, s28
	s_cbranch_vccnz .LBB13_170
; %bb.169:
	v_mul_hi_u32 v2, s30, v1
	v_add_u32_e32 v2, v1, v2
	v_lshrrev_b32_e32 v2, s31, v2
	v_mul_lo_u32 v2, v2, s11
	v_sub_u32_e32 v1, v1, v2
	v_mad_u64_u32 v[0:1], s[0:1], v1, s29, v[0:1]
.LBB13_170:
	s_waitcnt lgkmcnt(0)
	v_mov_b32_e32 v1, s47
	v_add_u32_e32 v7, 0x80, v7
	global_store_byte v0, v1, s[26:27]
	s_or_b64 exec, exec, s[40:41]
	v_cmp_gt_i32_e32 vcc, s48, v7
	s_and_saveexec_b64 s[40:41], vcc
	s_cbranch_execnz .LBB13_156
.LBB13_171:
	s_or_b64 exec, exec, s[40:41]
	v_cmp_gt_i32_e32 vcc, s48, v7
	s_and_saveexec_b64 s[40:41], vcc
	s_cbranch_execz .LBB13_187
.LBB13_172:
	s_andn2_b64 vcc, exec, s[22:23]
	s_cbranch_vccnz .LBB13_177
; %bb.173:
	s_andn2_b64 vcc, exec, s[38:39]
	s_cbranch_vccnz .LBB13_178
; %bb.174:
	s_add_i32 s51, s49, 1
	s_cmp_eq_u32 s46, 2
	s_cbranch_scc1 .LBB13_195
; %bb.175:
	s_and_b32 s50, s51, 28
	s_mov_b32 s52, 0
	v_mov_b32_e32 v0, 0
	s_mov_b64 s[42:43], s[20:21]
	s_mov_b64 s[44:45], s[36:37]
	v_mov_b32_e32 v1, v7
.LBB13_176:                             ; =>This Inner Loop Header: Depth=1
	s_load_dwordx8 s[0:7], s[42:43], 0x4
	s_load_dwordx4 s[12:15], s[42:43], 0x24
	s_load_dwordx4 s[16:19], s[44:45], 0x0
	s_add_u32 s42, s42, 48
	s_addc_u32 s43, s43, 0
	s_waitcnt lgkmcnt(0)
	v_mul_hi_u32 v2, s1, v1
	s_add_i32 s52, s52, 4
	s_add_u32 s44, s44, 16
	s_addc_u32 s45, s45, 0
	v_add_u32_e32 v2, v1, v2
	v_lshrrev_b32_e32 v2, s2, v2
	v_mul_lo_u32 v3, v2, s0
	v_mul_hi_u32 v4, s4, v2
	s_cmp_eq_u32 s50, s52
	v_sub_u32_e32 v1, v1, v3
	v_add_u32_e32 v3, v2, v4
	v_lshrrev_b32_e32 v3, s5, v3
	v_mul_lo_u32 v4, v1, s16
	v_mul_hi_u32 v1, s7, v3
	v_mul_lo_u32 v6, v3, s3
	v_add_u32_e32 v1, v3, v1
	v_lshrrev_b32_e32 v5, s12, v1
	v_mul_hi_u32 v1, s14, v5
	v_sub_u32_e32 v2, v2, v6
	v_mul_lo_u32 v6, v5, s6
	v_mul_lo_u32 v2, v2, s17
	v_add_u32_e32 v1, v5, v1
	v_lshrrev_b32_e32 v1, s15, v1
	v_mul_lo_u32 v8, v1, s13
	v_sub_u32_e32 v3, v3, v6
	v_mul_lo_u32 v3, v3, s18
	v_add3_u32 v0, v4, v0, v2
	v_sub_u32_e32 v5, v5, v8
	v_mul_lo_u32 v5, v5, s19
	v_add3_u32 v0, v3, v0, v5
	s_cbranch_scc0 .LBB13_176
	s_branch .LBB13_196
.LBB13_177:
                                        ; implicit-def: $vgpr0
	s_branch .LBB13_200
.LBB13_178:
	v_mov_b32_e32 v0, 0
	s_branch .LBB13_199
.LBB13_179:
	v_mov_b32_e32 v0, 0
	s_mov_b32 s50, 0
	v_mov_b32_e32 v1, v7
.LBB13_180:
	s_and_b32 s4, s51, 3
	s_cmp_eq_u32 s4, 0
	s_cbranch_scc1 .LBB13_183
; %bb.181:
	s_lshl_b32 s0, s50, 2
	s_add_u32 s0, s20, s0
	s_addc_u32 s1, s21, 0
	s_add_u32 s0, s0, 0xc4
	s_addc_u32 s1, s1, 0
	s_mul_i32 s2, s50, 12
	s_add_u32 s2, s20, s2
	s_addc_u32 s3, s21, 0
.LBB13_182:                             ; =>This Inner Loop Header: Depth=1
	s_load_dwordx2 s[6:7], s[2:3], 0x4
	s_load_dword s5, s[2:3], 0xc
	s_add_u32 s2, s2, 12
	s_addc_u32 s3, s3, 0
	s_waitcnt lgkmcnt(0)
	v_mul_hi_u32 v2, s7, v1
	s_load_dword s7, s[0:1], 0x0
	s_add_u32 s0, s0, 4
	s_addc_u32 s1, s1, 0
	v_add_u32_e32 v2, v1, v2
	v_lshrrev_b32_e32 v2, s5, v2
	v_mul_lo_u32 v3, v2, s6
	s_add_i32 s4, s4, -1
	s_cmp_lg_u32 s4, 0
	v_sub_u32_e32 v1, v1, v3
	s_waitcnt lgkmcnt(0)
	v_mad_u64_u32 v[0:1], s[6:7], v1, s7, v[0:1]
	v_mov_b32_e32 v1, v2
	s_cbranch_scc1 .LBB13_182
.LBB13_183:
	s_cbranch_execnz .LBB13_186
.LBB13_184:
	s_waitcnt lgkmcnt(0)
	v_mul_hi_u32 v0, s9, v7
	s_andn2_b64 vcc, exec, s[34:35]
	v_add_u32_e32 v0, v7, v0
	v_lshrrev_b32_e32 v1, s10, v0
	v_mul_lo_u32 v0, v1, s8
	v_sub_u32_e32 v0, v7, v0
	v_mul_lo_u32 v0, v0, s28
	s_cbranch_vccnz .LBB13_186
; %bb.185:
	v_mul_hi_u32 v2, s30, v1
	v_add_u32_e32 v2, v1, v2
	v_lshrrev_b32_e32 v2, s31, v2
	v_mul_lo_u32 v2, v2, s11
	v_sub_u32_e32 v1, v1, v2
	v_mad_u64_u32 v[0:1], s[0:1], v1, s29, v[0:1]
.LBB13_186:
	s_waitcnt lgkmcnt(0)
	v_mov_b32_e32 v1, s47
	v_add_u32_e32 v7, 0x80, v7
	global_store_byte v0, v1, s[26:27]
	s_or_b64 exec, exec, s[40:41]
	v_cmp_gt_i32_e32 vcc, s48, v7
	s_and_saveexec_b64 s[40:41], vcc
	s_cbranch_execnz .LBB13_172
.LBB13_187:
	s_or_b64 exec, exec, s[40:41]
	v_cmp_gt_i32_e32 vcc, s48, v7
	s_and_saveexec_b64 s[40:41], vcc
	s_cbranch_execz .LBB13_203
.LBB13_188:
	s_andn2_b64 vcc, exec, s[22:23]
	s_cbranch_vccnz .LBB13_193
; %bb.189:
	s_andn2_b64 vcc, exec, s[38:39]
	s_cbranch_vccnz .LBB13_194
; %bb.190:
	s_add_i32 s51, s49, 1
	s_cmp_eq_u32 s46, 2
	s_cbranch_scc1 .LBB13_211
; %bb.191:
	s_and_b32 s50, s51, 28
	s_mov_b32 s52, 0
	v_mov_b32_e32 v0, 0
	s_mov_b64 s[42:43], s[20:21]
	s_mov_b64 s[44:45], s[36:37]
	v_mov_b32_e32 v1, v7
.LBB13_192:                             ; =>This Inner Loop Header: Depth=1
	s_load_dwordx8 s[0:7], s[42:43], 0x4
	s_load_dwordx4 s[12:15], s[42:43], 0x24
	s_load_dwordx4 s[16:19], s[44:45], 0x0
	s_add_u32 s42, s42, 48
	s_addc_u32 s43, s43, 0
	s_waitcnt lgkmcnt(0)
	v_mul_hi_u32 v2, s1, v1
	s_add_i32 s52, s52, 4
	s_add_u32 s44, s44, 16
	s_addc_u32 s45, s45, 0
	v_add_u32_e32 v2, v1, v2
	v_lshrrev_b32_e32 v2, s2, v2
	v_mul_lo_u32 v3, v2, s0
	v_mul_hi_u32 v4, s4, v2
	s_cmp_eq_u32 s50, s52
	v_sub_u32_e32 v1, v1, v3
	v_add_u32_e32 v3, v2, v4
	v_lshrrev_b32_e32 v3, s5, v3
	v_mul_lo_u32 v4, v1, s16
	v_mul_hi_u32 v1, s7, v3
	v_mul_lo_u32 v6, v3, s3
	v_add_u32_e32 v1, v3, v1
	v_lshrrev_b32_e32 v5, s12, v1
	v_mul_hi_u32 v1, s14, v5
	v_sub_u32_e32 v2, v2, v6
	v_mul_lo_u32 v6, v5, s6
	v_mul_lo_u32 v2, v2, s17
	v_add_u32_e32 v1, v5, v1
	v_lshrrev_b32_e32 v1, s15, v1
	v_mul_lo_u32 v8, v1, s13
	v_sub_u32_e32 v3, v3, v6
	v_mul_lo_u32 v3, v3, s18
	v_add3_u32 v0, v4, v0, v2
	v_sub_u32_e32 v5, v5, v8
	v_mul_lo_u32 v5, v5, s19
	v_add3_u32 v0, v3, v0, v5
	s_cbranch_scc0 .LBB13_192
	s_branch .LBB13_212
.LBB13_193:
                                        ; implicit-def: $vgpr0
	s_branch .LBB13_216
.LBB13_194:
	v_mov_b32_e32 v0, 0
	s_branch .LBB13_215
.LBB13_195:
	v_mov_b32_e32 v0, 0
	s_mov_b32 s50, 0
	v_mov_b32_e32 v1, v7
.LBB13_196:
	s_and_b32 s4, s51, 3
	s_cmp_eq_u32 s4, 0
	s_cbranch_scc1 .LBB13_199
; %bb.197:
	s_lshl_b32 s0, s50, 2
	s_add_u32 s0, s20, s0
	s_addc_u32 s1, s21, 0
	s_add_u32 s0, s0, 0xc4
	s_addc_u32 s1, s1, 0
	s_mul_i32 s2, s50, 12
	s_add_u32 s2, s20, s2
	s_addc_u32 s3, s21, 0
.LBB13_198:                             ; =>This Inner Loop Header: Depth=1
	s_load_dwordx2 s[6:7], s[2:3], 0x4
	s_load_dword s5, s[2:3], 0xc
	s_add_u32 s2, s2, 12
	s_addc_u32 s3, s3, 0
	s_waitcnt lgkmcnt(0)
	v_mul_hi_u32 v2, s7, v1
	s_load_dword s7, s[0:1], 0x0
	s_add_u32 s0, s0, 4
	s_addc_u32 s1, s1, 0
	v_add_u32_e32 v2, v1, v2
	v_lshrrev_b32_e32 v2, s5, v2
	v_mul_lo_u32 v3, v2, s6
	s_add_i32 s4, s4, -1
	s_cmp_lg_u32 s4, 0
	v_sub_u32_e32 v1, v1, v3
	s_waitcnt lgkmcnt(0)
	v_mad_u64_u32 v[0:1], s[6:7], v1, s7, v[0:1]
	v_mov_b32_e32 v1, v2
	s_cbranch_scc1 .LBB13_198
.LBB13_199:
	s_cbranch_execnz .LBB13_202
.LBB13_200:
	s_waitcnt lgkmcnt(0)
	v_mul_hi_u32 v0, s9, v7
	s_andn2_b64 vcc, exec, s[34:35]
	v_add_u32_e32 v0, v7, v0
	v_lshrrev_b32_e32 v1, s10, v0
	v_mul_lo_u32 v0, v1, s8
	v_sub_u32_e32 v0, v7, v0
	v_mul_lo_u32 v0, v0, s28
	s_cbranch_vccnz .LBB13_202
; %bb.201:
	v_mul_hi_u32 v2, s30, v1
	v_add_u32_e32 v2, v1, v2
	v_lshrrev_b32_e32 v2, s31, v2
	v_mul_lo_u32 v2, v2, s11
	v_sub_u32_e32 v1, v1, v2
	v_mad_u64_u32 v[0:1], s[0:1], v1, s29, v[0:1]
.LBB13_202:
	s_waitcnt lgkmcnt(0)
	v_mov_b32_e32 v1, s47
	v_add_u32_e32 v7, 0x80, v7
	global_store_byte v0, v1, s[26:27]
	s_or_b64 exec, exec, s[40:41]
	v_cmp_gt_i32_e32 vcc, s48, v7
	s_and_saveexec_b64 s[40:41], vcc
	s_cbranch_execnz .LBB13_188
.LBB13_203:
	s_or_b64 exec, exec, s[40:41]
	v_cmp_gt_i32_e32 vcc, s48, v7
	s_and_saveexec_b64 s[40:41], vcc
	s_cbranch_execz .LBB13_219
.LBB13_204:
	s_andn2_b64 vcc, exec, s[22:23]
	s_cbranch_vccnz .LBB13_209
; %bb.205:
	s_andn2_b64 vcc, exec, s[38:39]
	s_cbranch_vccnz .LBB13_210
; %bb.206:
	s_add_i32 s51, s49, 1
	s_cmp_eq_u32 s46, 2
	s_cbranch_scc1 .LBB13_222
; %bb.207:
	s_and_b32 s50, s51, 28
	s_mov_b32 s52, 0
	v_mov_b32_e32 v0, 0
	s_mov_b64 s[42:43], s[20:21]
	s_mov_b64 s[44:45], s[36:37]
	v_mov_b32_e32 v1, v7
.LBB13_208:                             ; =>This Inner Loop Header: Depth=1
	s_load_dwordx8 s[0:7], s[42:43], 0x4
	s_load_dwordx4 s[12:15], s[42:43], 0x24
	s_load_dwordx4 s[16:19], s[44:45], 0x0
	s_add_u32 s42, s42, 48
	s_addc_u32 s43, s43, 0
	s_waitcnt lgkmcnt(0)
	v_mul_hi_u32 v2, s1, v1
	s_add_i32 s52, s52, 4
	s_add_u32 s44, s44, 16
	s_addc_u32 s45, s45, 0
	v_add_u32_e32 v2, v1, v2
	v_lshrrev_b32_e32 v2, s2, v2
	v_mul_lo_u32 v3, v2, s0
	v_mul_hi_u32 v4, s4, v2
	s_cmp_eq_u32 s50, s52
	v_sub_u32_e32 v1, v1, v3
	v_add_u32_e32 v3, v2, v4
	v_lshrrev_b32_e32 v3, s5, v3
	v_mul_lo_u32 v4, v1, s16
	v_mul_hi_u32 v1, s7, v3
	v_mul_lo_u32 v6, v3, s3
	v_add_u32_e32 v1, v3, v1
	v_lshrrev_b32_e32 v5, s12, v1
	v_mul_hi_u32 v1, s14, v5
	v_sub_u32_e32 v2, v2, v6
	v_mul_lo_u32 v6, v5, s6
	v_mul_lo_u32 v2, v2, s17
	v_add_u32_e32 v1, v5, v1
	v_lshrrev_b32_e32 v1, s15, v1
	v_mul_lo_u32 v8, v1, s13
	v_sub_u32_e32 v3, v3, v6
	v_mul_lo_u32 v3, v3, s18
	v_add3_u32 v0, v4, v0, v2
	v_sub_u32_e32 v5, v5, v8
	v_mul_lo_u32 v5, v5, s19
	v_add3_u32 v0, v3, v0, v5
	s_cbranch_scc0 .LBB13_208
	s_branch .LBB13_223
.LBB13_209:
                                        ; implicit-def: $vgpr0
	s_branch .LBB13_227
.LBB13_210:
	v_mov_b32_e32 v0, 0
	s_branch .LBB13_226
.LBB13_211:
	v_mov_b32_e32 v0, 0
	s_mov_b32 s50, 0
	v_mov_b32_e32 v1, v7
.LBB13_212:
	s_and_b32 s4, s51, 3
	s_cmp_eq_u32 s4, 0
	s_cbranch_scc1 .LBB13_215
; %bb.213:
	s_lshl_b32 s0, s50, 2
	s_add_u32 s0, s20, s0
	s_addc_u32 s1, s21, 0
	s_add_u32 s0, s0, 0xc4
	s_addc_u32 s1, s1, 0
	s_mul_i32 s2, s50, 12
	s_add_u32 s2, s20, s2
	s_addc_u32 s3, s21, 0
.LBB13_214:                             ; =>This Inner Loop Header: Depth=1
	s_load_dwordx2 s[6:7], s[2:3], 0x4
	s_load_dword s5, s[2:3], 0xc
	s_add_u32 s2, s2, 12
	s_addc_u32 s3, s3, 0
	s_waitcnt lgkmcnt(0)
	v_mul_hi_u32 v2, s7, v1
	s_load_dword s7, s[0:1], 0x0
	s_add_u32 s0, s0, 4
	s_addc_u32 s1, s1, 0
	v_add_u32_e32 v2, v1, v2
	v_lshrrev_b32_e32 v2, s5, v2
	v_mul_lo_u32 v3, v2, s6
	s_add_i32 s4, s4, -1
	s_cmp_lg_u32 s4, 0
	v_sub_u32_e32 v1, v1, v3
	s_waitcnt lgkmcnt(0)
	v_mad_u64_u32 v[0:1], s[6:7], v1, s7, v[0:1]
	v_mov_b32_e32 v1, v2
	s_cbranch_scc1 .LBB13_214
.LBB13_215:
	s_cbranch_execnz .LBB13_218
.LBB13_216:
	s_waitcnt lgkmcnt(0)
	v_mul_hi_u32 v0, s9, v7
	s_andn2_b64 vcc, exec, s[34:35]
	v_add_u32_e32 v0, v7, v0
	v_lshrrev_b32_e32 v1, s10, v0
	v_mul_lo_u32 v0, v1, s8
	v_sub_u32_e32 v0, v7, v0
	v_mul_lo_u32 v0, v0, s28
	s_cbranch_vccnz .LBB13_218
; %bb.217:
	v_mul_hi_u32 v2, s30, v1
	v_add_u32_e32 v2, v1, v2
	v_lshrrev_b32_e32 v2, s31, v2
	v_mul_lo_u32 v2, v2, s11
	v_sub_u32_e32 v1, v1, v2
	v_mad_u64_u32 v[0:1], s[0:1], v1, s29, v[0:1]
.LBB13_218:
	s_waitcnt lgkmcnt(0)
	v_mov_b32_e32 v1, s47
	v_add_u32_e32 v7, 0x80, v7
	global_store_byte v0, v1, s[26:27]
	s_or_b64 exec, exec, s[40:41]
	v_cmp_gt_i32_e32 vcc, s48, v7
	s_and_saveexec_b64 s[40:41], vcc
	s_cbranch_execnz .LBB13_204
.LBB13_219:
	s_or_b64 exec, exec, s[40:41]
	v_cmp_gt_i32_e32 vcc, s48, v7
	s_and_saveexec_b64 s[40:41], vcc
	s_cbranch_execnz .LBB13_230
.LBB13_220:
	s_or_b64 exec, exec, s[40:41]
                                        ; implicit-def: $vgpr9
                                        ; implicit-def: $vgpr7
	s_andn2_saveexec_b64 s[0:1], s[24:25]
	s_cbranch_execnz .LBB13_8
.LBB13_221:
	s_endpgm
.LBB13_222:
	v_mov_b32_e32 v0, 0
	s_mov_b32 s50, 0
	v_mov_b32_e32 v1, v7
.LBB13_223:
	s_and_b32 s4, s51, 3
	s_cmp_eq_u32 s4, 0
	s_cbranch_scc1 .LBB13_226
; %bb.224:
	s_lshl_b32 s0, s50, 2
	s_add_u32 s0, s20, s0
	s_addc_u32 s1, s21, 0
	s_add_u32 s0, s0, 0xc4
	s_addc_u32 s1, s1, 0
	s_mul_i32 s2, s50, 12
	s_add_u32 s2, s20, s2
	s_addc_u32 s3, s21, 0
.LBB13_225:                             ; =>This Inner Loop Header: Depth=1
	s_load_dwordx2 s[6:7], s[2:3], 0x4
	s_load_dword s5, s[2:3], 0xc
	s_add_u32 s2, s2, 12
	s_addc_u32 s3, s3, 0
	s_waitcnt lgkmcnt(0)
	v_mul_hi_u32 v2, s7, v1
	s_load_dword s7, s[0:1], 0x0
	s_add_u32 s0, s0, 4
	s_addc_u32 s1, s1, 0
	v_add_u32_e32 v2, v1, v2
	v_lshrrev_b32_e32 v2, s5, v2
	v_mul_lo_u32 v3, v2, s6
	s_add_i32 s4, s4, -1
	s_cmp_lg_u32 s4, 0
	v_sub_u32_e32 v1, v1, v3
	s_waitcnt lgkmcnt(0)
	v_mad_u64_u32 v[0:1], s[6:7], v1, s7, v[0:1]
	v_mov_b32_e32 v1, v2
	s_cbranch_scc1 .LBB13_225
.LBB13_226:
	s_cbranch_execnz .LBB13_229
.LBB13_227:
	s_waitcnt lgkmcnt(0)
	v_mul_hi_u32 v0, s9, v7
	s_andn2_b64 vcc, exec, s[34:35]
	v_add_u32_e32 v0, v7, v0
	v_lshrrev_b32_e32 v1, s10, v0
	v_mul_lo_u32 v0, v1, s8
	v_sub_u32_e32 v0, v7, v0
	v_mul_lo_u32 v0, v0, s28
	s_cbranch_vccnz .LBB13_229
; %bb.228:
	v_mul_hi_u32 v2, s30, v1
	v_add_u32_e32 v2, v1, v2
	v_lshrrev_b32_e32 v2, s31, v2
	v_mul_lo_u32 v2, v2, s11
	v_sub_u32_e32 v1, v1, v2
	v_mad_u64_u32 v[0:1], s[0:1], v1, s29, v[0:1]
.LBB13_229:
	s_waitcnt lgkmcnt(0)
	v_mov_b32_e32 v1, s47
	v_add_u32_e32 v7, 0x80, v7
	global_store_byte v0, v1, s[26:27]
	s_or_b64 exec, exec, s[40:41]
	v_cmp_gt_i32_e32 vcc, s48, v7
	s_and_saveexec_b64 s[40:41], vcc
	s_cbranch_execz .LBB13_220
.LBB13_230:
	s_andn2_b64 vcc, exec, s[22:23]
	s_cbranch_vccnz .LBB13_235
; %bb.231:
	s_andn2_b64 vcc, exec, s[38:39]
	s_cbranch_vccnz .LBB13_236
; %bb.232:
	s_add_i32 s49, s49, 1
	s_cmp_eq_u32 s46, 2
	s_cbranch_scc1 .LBB13_237
; %bb.233:
	s_and_b32 s42, s49, 28
	s_mov_b32 s43, 0
	v_mov_b32_e32 v0, 0
	s_mov_b64 s[38:39], s[20:21]
	v_mov_b32_e32 v1, v7
.LBB13_234:                             ; =>This Inner Loop Header: Depth=1
	s_load_dwordx8 s[0:7], s[38:39], 0x4
	s_load_dwordx4 s[12:15], s[38:39], 0x24
	s_load_dwordx4 s[16:19], s[36:37], 0x0
	s_add_u32 s38, s38, 48
	s_addc_u32 s39, s39, 0
	s_waitcnt lgkmcnt(0)
	v_mul_hi_u32 v2, s1, v1
	s_add_i32 s43, s43, 4
	s_add_u32 s36, s36, 16
	s_addc_u32 s37, s37, 0
	v_add_u32_e32 v2, v1, v2
	v_lshrrev_b32_e32 v2, s2, v2
	v_mul_lo_u32 v3, v2, s0
	v_mul_hi_u32 v4, s4, v2
	s_cmp_eq_u32 s42, s43
	v_sub_u32_e32 v1, v1, v3
	v_add_u32_e32 v3, v2, v4
	v_lshrrev_b32_e32 v3, s5, v3
	v_mul_lo_u32 v4, v1, s16
	v_mul_hi_u32 v1, s7, v3
	v_mul_lo_u32 v6, v3, s3
	v_add_u32_e32 v1, v3, v1
	v_lshrrev_b32_e32 v5, s12, v1
	v_mul_hi_u32 v1, s14, v5
	v_sub_u32_e32 v2, v2, v6
	v_mul_lo_u32 v6, v5, s6
	v_mul_lo_u32 v2, v2, s17
	v_add_u32_e32 v1, v5, v1
	v_lshrrev_b32_e32 v1, s15, v1
	v_mul_lo_u32 v8, v1, s13
	v_sub_u32_e32 v3, v3, v6
	v_mul_lo_u32 v3, v3, s18
	v_add3_u32 v0, v4, v0, v2
	v_sub_u32_e32 v5, v5, v8
	v_mul_lo_u32 v5, v5, s19
	v_add3_u32 v0, v3, v0, v5
	s_cbranch_scc0 .LBB13_234
	s_branch .LBB13_238
.LBB13_235:
                                        ; implicit-def: $vgpr0
	s_branch .LBB13_242
.LBB13_236:
	v_mov_b32_e32 v0, 0
	s_branch .LBB13_241
.LBB13_237:
	v_mov_b32_e32 v0, 0
	s_mov_b32 s42, 0
	v_mov_b32_e32 v1, v7
.LBB13_238:
	s_and_b32 s4, s49, 3
	s_cmp_eq_u32 s4, 0
	s_cbranch_scc1 .LBB13_241
; %bb.239:
	s_lshl_b32 s0, s42, 2
	s_add_u32 s0, s20, s0
	s_addc_u32 s1, s21, 0
	s_add_u32 s0, s0, 0xc4
	s_addc_u32 s1, s1, 0
	s_mul_i32 s2, s42, 12
	s_add_u32 s2, s20, s2
	s_addc_u32 s3, s21, 0
.LBB13_240:                             ; =>This Inner Loop Header: Depth=1
	s_load_dwordx2 s[6:7], s[2:3], 0x4
	s_load_dword s5, s[2:3], 0xc
	s_add_u32 s2, s2, 12
	s_addc_u32 s3, s3, 0
	s_waitcnt lgkmcnt(0)
	v_mul_hi_u32 v2, s7, v1
	s_load_dword s7, s[0:1], 0x0
	s_add_u32 s0, s0, 4
	s_addc_u32 s1, s1, 0
	v_add_u32_e32 v2, v1, v2
	v_lshrrev_b32_e32 v2, s5, v2
	v_mul_lo_u32 v3, v2, s6
	s_add_i32 s4, s4, -1
	s_cmp_lg_u32 s4, 0
	v_sub_u32_e32 v1, v1, v3
	s_waitcnt lgkmcnt(0)
	v_mad_u64_u32 v[0:1], s[6:7], v1, s7, v[0:1]
	v_mov_b32_e32 v1, v2
	s_cbranch_scc1 .LBB13_240
.LBB13_241:
	s_cbranch_execnz .LBB13_244
.LBB13_242:
	s_waitcnt lgkmcnt(0)
	v_mul_hi_u32 v0, s9, v7
	s_andn2_b64 vcc, exec, s[34:35]
	v_add_u32_e32 v0, v7, v0
	v_lshrrev_b32_e32 v1, s10, v0
	v_mul_lo_u32 v0, v1, s8
	v_sub_u32_e32 v0, v7, v0
	v_mul_lo_u32 v0, v0, s28
	s_cbranch_vccnz .LBB13_244
; %bb.243:
	v_mul_hi_u32 v2, s30, v1
	v_add_u32_e32 v2, v1, v2
	v_lshrrev_b32_e32 v2, s31, v2
	v_mul_lo_u32 v2, v2, s11
	v_sub_u32_e32 v1, v1, v2
	v_mad_u64_u32 v[0:1], s[0:1], v1, s29, v[0:1]
.LBB13_244:
	s_waitcnt lgkmcnt(0)
	v_mov_b32_e32 v1, s47
	global_store_byte v0, v1, s[26:27]
	s_or_b64 exec, exec, s[40:41]
                                        ; implicit-def: $vgpr9
                                        ; implicit-def: $vgpr7
	s_andn2_saveexec_b64 s[0:1], s[24:25]
	s_cbranch_execz .LBB13_221
	s_branch .LBB13_8
	.section	.rodata,"a",@progbits
	.p2align	6, 0x0
	.amdhsa_kernel _ZN2at6native32elementwise_kernel_manual_unrollILi128ELi8EZNS0_22gpu_kernel_impl_nocastINS0_11FillFunctorIaEEEEvRNS_18TensorIteratorBaseERKT_EUlibE_EEviT1_
		.amdhsa_group_segment_fixed_size 0
		.amdhsa_private_segment_fixed_size 0
		.amdhsa_kernarg_size 288
		.amdhsa_user_sgpr_count 6
		.amdhsa_user_sgpr_private_segment_buffer 1
		.amdhsa_user_sgpr_dispatch_ptr 0
		.amdhsa_user_sgpr_queue_ptr 0
		.amdhsa_user_sgpr_kernarg_segment_ptr 1
		.amdhsa_user_sgpr_dispatch_id 0
		.amdhsa_user_sgpr_flat_scratch_init 0
		.amdhsa_user_sgpr_private_segment_size 0
		.amdhsa_uses_dynamic_stack 0
		.amdhsa_system_sgpr_private_segment_wavefront_offset 0
		.amdhsa_system_sgpr_workgroup_id_x 1
		.amdhsa_system_sgpr_workgroup_id_y 0
		.amdhsa_system_sgpr_workgroup_id_z 0
		.amdhsa_system_sgpr_workgroup_info 0
		.amdhsa_system_vgpr_workitem_id 0
		.amdhsa_next_free_vgpr 16
		.amdhsa_next_free_sgpr 53
		.amdhsa_reserve_vcc 1
		.amdhsa_reserve_flat_scratch 0
		.amdhsa_float_round_mode_32 0
		.amdhsa_float_round_mode_16_64 0
		.amdhsa_float_denorm_mode_32 3
		.amdhsa_float_denorm_mode_16_64 3
		.amdhsa_dx10_clamp 1
		.amdhsa_ieee_mode 1
		.amdhsa_fp16_overflow 0
		.amdhsa_exception_fp_ieee_invalid_op 0
		.amdhsa_exception_fp_denorm_src 0
		.amdhsa_exception_fp_ieee_div_zero 0
		.amdhsa_exception_fp_ieee_overflow 0
		.amdhsa_exception_fp_ieee_underflow 0
		.amdhsa_exception_fp_ieee_inexact 0
		.amdhsa_exception_int_div_zero 0
	.end_amdhsa_kernel
	.section	.text._ZN2at6native32elementwise_kernel_manual_unrollILi128ELi8EZNS0_22gpu_kernel_impl_nocastINS0_11FillFunctorIaEEEEvRNS_18TensorIteratorBaseERKT_EUlibE_EEviT1_,"axG",@progbits,_ZN2at6native32elementwise_kernel_manual_unrollILi128ELi8EZNS0_22gpu_kernel_impl_nocastINS0_11FillFunctorIaEEEEvRNS_18TensorIteratorBaseERKT_EUlibE_EEviT1_,comdat
.Lfunc_end13:
	.size	_ZN2at6native32elementwise_kernel_manual_unrollILi128ELi8EZNS0_22gpu_kernel_impl_nocastINS0_11FillFunctorIaEEEEvRNS_18TensorIteratorBaseERKT_EUlibE_EEviT1_, .Lfunc_end13-_ZN2at6native32elementwise_kernel_manual_unrollILi128ELi8EZNS0_22gpu_kernel_impl_nocastINS0_11FillFunctorIaEEEEvRNS_18TensorIteratorBaseERKT_EUlibE_EEviT1_
                                        ; -- End function
	.set _ZN2at6native32elementwise_kernel_manual_unrollILi128ELi8EZNS0_22gpu_kernel_impl_nocastINS0_11FillFunctorIaEEEEvRNS_18TensorIteratorBaseERKT_EUlibE_EEviT1_.num_vgpr, 16
	.set _ZN2at6native32elementwise_kernel_manual_unrollILi128ELi8EZNS0_22gpu_kernel_impl_nocastINS0_11FillFunctorIaEEEEvRNS_18TensorIteratorBaseERKT_EUlibE_EEviT1_.num_agpr, 0
	.set _ZN2at6native32elementwise_kernel_manual_unrollILi128ELi8EZNS0_22gpu_kernel_impl_nocastINS0_11FillFunctorIaEEEEvRNS_18TensorIteratorBaseERKT_EUlibE_EEviT1_.numbered_sgpr, 53
	.set _ZN2at6native32elementwise_kernel_manual_unrollILi128ELi8EZNS0_22gpu_kernel_impl_nocastINS0_11FillFunctorIaEEEEvRNS_18TensorIteratorBaseERKT_EUlibE_EEviT1_.num_named_barrier, 0
	.set _ZN2at6native32elementwise_kernel_manual_unrollILi128ELi8EZNS0_22gpu_kernel_impl_nocastINS0_11FillFunctorIaEEEEvRNS_18TensorIteratorBaseERKT_EUlibE_EEviT1_.private_seg_size, 0
	.set _ZN2at6native32elementwise_kernel_manual_unrollILi128ELi8EZNS0_22gpu_kernel_impl_nocastINS0_11FillFunctorIaEEEEvRNS_18TensorIteratorBaseERKT_EUlibE_EEviT1_.uses_vcc, 1
	.set _ZN2at6native32elementwise_kernel_manual_unrollILi128ELi8EZNS0_22gpu_kernel_impl_nocastINS0_11FillFunctorIaEEEEvRNS_18TensorIteratorBaseERKT_EUlibE_EEviT1_.uses_flat_scratch, 0
	.set _ZN2at6native32elementwise_kernel_manual_unrollILi128ELi8EZNS0_22gpu_kernel_impl_nocastINS0_11FillFunctorIaEEEEvRNS_18TensorIteratorBaseERKT_EUlibE_EEviT1_.has_dyn_sized_stack, 0
	.set _ZN2at6native32elementwise_kernel_manual_unrollILi128ELi8EZNS0_22gpu_kernel_impl_nocastINS0_11FillFunctorIaEEEEvRNS_18TensorIteratorBaseERKT_EUlibE_EEviT1_.has_recursion, 0
	.set _ZN2at6native32elementwise_kernel_manual_unrollILi128ELi8EZNS0_22gpu_kernel_impl_nocastINS0_11FillFunctorIaEEEEvRNS_18TensorIteratorBaseERKT_EUlibE_EEviT1_.has_indirect_call, 0
	.section	.AMDGPU.csdata,"",@progbits
; Kernel info:
; codeLenInByte = 9820
; TotalNumSgprs: 57
; NumVgprs: 16
; ScratchSize: 0
; MemoryBound: 0
; FloatMode: 240
; IeeeMode: 1
; LDSByteSize: 0 bytes/workgroup (compile time only)
; SGPRBlocks: 7
; VGPRBlocks: 3
; NumSGPRsForWavesPerEU: 57
; NumVGPRsForWavesPerEU: 16
; Occupancy: 10
; WaveLimiterHint : 1
; COMPUTE_PGM_RSRC2:SCRATCH_EN: 0
; COMPUTE_PGM_RSRC2:USER_SGPR: 6
; COMPUTE_PGM_RSRC2:TRAP_HANDLER: 0
; COMPUTE_PGM_RSRC2:TGID_X_EN: 1
; COMPUTE_PGM_RSRC2:TGID_Y_EN: 0
; COMPUTE_PGM_RSRC2:TGID_Z_EN: 0
; COMPUTE_PGM_RSRC2:TIDIG_COMP_CNT: 0
	.section	.text._ZN2at6native32elementwise_kernel_manual_unrollILi128ELi4EZNS0_15gpu_kernel_implINS0_11FillFunctorIaEEEEvRNS_18TensorIteratorBaseERKT_EUlibE_EEviT1_,"axG",@progbits,_ZN2at6native32elementwise_kernel_manual_unrollILi128ELi4EZNS0_15gpu_kernel_implINS0_11FillFunctorIaEEEEvRNS_18TensorIteratorBaseERKT_EUlibE_EEviT1_,comdat
	.protected	_ZN2at6native32elementwise_kernel_manual_unrollILi128ELi4EZNS0_15gpu_kernel_implINS0_11FillFunctorIaEEEEvRNS_18TensorIteratorBaseERKT_EUlibE_EEviT1_ ; -- Begin function _ZN2at6native32elementwise_kernel_manual_unrollILi128ELi4EZNS0_15gpu_kernel_implINS0_11FillFunctorIaEEEEvRNS_18TensorIteratorBaseERKT_EUlibE_EEviT1_
	.globl	_ZN2at6native32elementwise_kernel_manual_unrollILi128ELi4EZNS0_15gpu_kernel_implINS0_11FillFunctorIaEEEEvRNS_18TensorIteratorBaseERKT_EUlibE_EEviT1_
	.p2align	8
	.type	_ZN2at6native32elementwise_kernel_manual_unrollILi128ELi4EZNS0_15gpu_kernel_implINS0_11FillFunctorIaEEEEvRNS_18TensorIteratorBaseERKT_EUlibE_EEviT1_,@function
_ZN2at6native32elementwise_kernel_manual_unrollILi128ELi4EZNS0_15gpu_kernel_implINS0_11FillFunctorIaEEEEvRNS_18TensorIteratorBaseERKT_EUlibE_EEviT1_: ; @_ZN2at6native32elementwise_kernel_manual_unrollILi128ELi4EZNS0_15gpu_kernel_implINS0_11FillFunctorIaEEEEvRNS_18TensorIteratorBaseERKT_EUlibE_EEviT1_
; %bb.0:
	s_load_dwordx4 s[8:11], s[4:5], 0x8
	s_load_dword s48, s[4:5], 0x0
	v_lshl_or_b32 v17, s6, 9, v0
	v_or_b32_e32 v0, 0x180, v17
	s_mov_b64 s[6:7], 0
	s_waitcnt lgkmcnt(0)
	s_bfe_u32 s33, s11, 0x80008
	v_cmp_le_i32_e32 vcc, s48, v0
	s_mov_b64 s[0:1], 0
	s_and_saveexec_b64 s[2:3], vcc
	s_xor_b64 s[12:13], exec, s[2:3]
	s_cbranch_execz .LBB14_404
; %bb.1:
	s_bfe_i32 s52, s11, 0x80000
	s_sext_i32_i16 s34, s52
	v_cvt_f32_i32_e32 v6, s34
	s_movk_i32 s0, 0xff
	s_and_b32 s30, s11, 0xff
	v_mov_b32_e32 v0, s11
	v_and_b32_e32 v2, 0x400000, v6
	v_bfe_u32 v1, v6, 23, 8
	v_cmp_ne_u32_e32 vcc, 0, v2
	v_and_b32_e32 v2, 0x3fffff, v6
	v_cmp_eq_u32_e64 s[4:5], s0, v1
	v_or_b32_e32 v1, v1, v2
	v_cmp_ne_u32_e64 s[0:1], 0, v1
	v_readfirstlane_b32 s16, v6
	s_and_b64 s[0:1], vcc, s[0:1]
	s_and_b32 s31, s16, 0x7fffffff
	s_cmp_lt_u32 s31, 0x43800000
	s_cselect_b64 s[26:27], -1, 0
	s_cmp_gt_u32 s31, 0x3bffffff
	v_cndmask_b32_e64 v1, 0, 1, s[0:1]
	s_cselect_b64 s[2:3], -1, 0
	s_bfe_u32 s0, s16, 0x10014
	s_add_i32 s17, s16, s0
	s_add_i32 s0, s17, 0x487ffff
	s_lshr_b32 s61, s0, 20
	s_mov_b32 s0, 0x46000000
	v_add_f32_e64 v15, |v6|, s0
	v_readfirstlane_b32 s0, v15
	s_and_b32 s0, s0, 0xff
	s_cmp_lg_u32 s0, 0
	s_cselect_b64 s[28:29], -1, 0
	s_cmp_gt_u32 s31, 0x477fffff
	s_cselect_b64 s[14:15], -1, 0
	s_cmp_lt_u32 s31, 0x47800000
	s_movk_i32 s0, 0x80
	s_cselect_b64 s[22:23], -1, 0
	s_cmp_gt_u32 s31, 0x37ffffff
	v_and_b32_sdwa v12, v6, s0 dst_sel:DWORD dst_unused:UNUSED_PAD src0_sel:BYTE_3 src1_sel:DWORD
	s_cselect_b64 s[0:1], -1, 0
	s_bfe_u32 s18, s16, 0x10015
	s_add_i32 s35, s16, s18
	s_add_i32 s16, s35, 0x88fffff
	s_lshr_b32 s59, s16, 21
	s_mov_b32 s16, 0x42800000
	v_add_f32_e64 v14, |v6|, s16
	v_readfirstlane_b32 s16, v14
	s_and_b32 s16, s16, 0xff
	s_cmp_lg_u32 s16, 0
	s_cselect_b64 s[24:25], -1, 0
	s_cmp_gt_u32 s31, 0x43efffff
	s_cselect_b64 s[18:19], -1, 0
	s_cmp_lt_u32 s31, 0x3c800000
	s_cselect_b64 s[20:21], -1, 0
	s_add_i32 s17, s17, 0x407ffff
	s_lshr_b32 s16, s17, 20
	s_and_b32 s17, s17, 0xff00000
	s_cmp_lg_u32 s17, 0x7f00000
	v_bfe_i32 v4, v0, 0, 8
	v_lshrrev_b32_e32 v0, 23, v6
	s_cselect_b32 s57, s16, 0x7e
	s_mov_b32 s16, 0x46800000
	s_cmp_lt_u32 s31, 0x38800000
	v_add_u32_e32 v16, v0, v1
	v_add_f32_e64 v0, |v6|, s16
	s_cselect_b64 s[16:17], -1, 0
	s_add_i32 s35, s35, 0x80fffff
	s_lshr_b32 s54, s35, 21
	s_cmp_gt_u32 s31, 0x7f800000
	s_movk_i32 s31, 0x7f
	s_cselect_b32 s60, s31, 0x7e
	s_mov_b32 s31, 0x43000000
	v_readfirstlane_b32 s58, v0
	v_add_f32_e64 v0, |v6|, s31
	v_readfirstlane_b32 s55, v0
	v_bfe_u32 v0, v6, 16, 1
	v_add_u32_e32 v0, v6, v0
	v_add_u32_e32 v0, 0x7fff, v0
	s_movk_i32 s31, 0x7c
	v_lshrrev_b32_e32 v13, 16, v0
	v_cvt_f64_i32_e32 v[0:1], s34
	s_cselect_b32 s56, 0x7f, s31
	s_cmp_lg_u32 s30, 0
	s_cselect_b64 s[30:31], -1, 0
	s_sext_i32_i8 s53, s11
	v_ashrrev_i32_e32 v5, 31, v4
	v_cndmask_b32_e64 v11, 0, 1, s[30:31]
	v_cvt_f16_i16_e32 v10, s52
	v_cmp_gt_i32_e32 vcc, s48, v17
	s_mov_b64 s[36:37], -1
	s_mov_b64 s[38:39], 0
	s_mov_b64 s[30:31], 0
	s_and_saveexec_b64 s[34:35], vcc
	s_cbranch_execz .LBB14_100
; %bb.2:
	v_mul_lo_u32 v2, v17, s10
	v_mov_b32_e32 v3, s9
	s_and_b32 s42, 0xffff, s33
	s_cmp_lt_i32 s42, 11
	v_ashrrev_i32_e32 v7, 31, v2
	v_add_co_u32_e32 v8, vcc, s8, v2
	v_addc_co_u32_e32 v9, vcc, v3, v7, vcc
	s_cbranch_scc1 .LBB14_9
; %bb.3:
	s_cmp_gt_i32 s42, 25
	s_cbranch_scc0 .LBB14_12
; %bb.4:
	s_cmp_gt_i32 s42, 28
	s_cbranch_scc0 .LBB14_13
	;; [unrolled: 3-line block ×4, first 2 shown]
; %bb.7:
	s_mov_b64 s[40:41], 0
	s_mov_b64 s[30:31], -1
	s_cmp_eq_u32 s42, 46
	s_mov_b64 s[36:37], 0
	s_cbranch_scc0 .LBB14_16
; %bb.8:
	global_store_dword v[8:9], v13, off
	s_mov_b64 s[36:37], -1
	s_mov_b64 s[30:31], 0
	s_branch .LBB14_16
.LBB14_9:
	s_mov_b64 s[36:37], 0
	s_cbranch_execnz .LBB14_60
.LBB14_10:
	s_andn2_b64 vcc, exec, s[36:37]
	s_cbranch_vccnz .LBB14_98
.LBB14_11:
	v_add_u32_e32 v17, 0x80, v17
	s_mov_b64 s[36:37], -1
	s_branch .LBB14_99
.LBB14_12:
	s_mov_b64 s[36:37], 0
	s_cbranch_execnz .LBB14_38
	s_branch .LBB14_59
.LBB14_13:
	s_mov_b64 s[40:41], -1
	s_mov_b64 s[36:37], 0
	s_branch .LBB14_24
.LBB14_14:
	s_mov_b64 s[40:41], -1
	s_mov_b64 s[36:37], 0
	s_branch .LBB14_20
.LBB14_15:
	s_mov_b64 s[40:41], -1
	s_mov_b64 s[36:37], 0
.LBB14_16:
	s_and_b64 vcc, exec, s[40:41]
	s_cbranch_vccz .LBB14_19
; %bb.17:
	s_cmp_eq_u32 s42, 44
	s_mov_b64 s[30:31], -1
	s_cbranch_scc0 .LBB14_19
; %bb.18:
	v_mov_b32_e32 v2, 0xffff
	v_cndmask_b32_e64 v2, v16, v2, s[4:5]
	global_store_byte v[8:9], v2, off
	s_mov_b64 s[36:37], -1
	s_mov_b64 s[30:31], 0
.LBB14_19:
	s_mov_b64 s[40:41], 0
.LBB14_20:
	s_and_b64 vcc, exec, s[40:41]
	s_cbranch_vccz .LBB14_23
; %bb.21:
	s_cmp_eq_u32 s42, 29
	s_mov_b64 s[30:31], -1
	s_cbranch_scc0 .LBB14_23
; %bb.22:
	global_store_dwordx2 v[8:9], v[4:5], off
	s_mov_b64 s[36:37], -1
	s_mov_b64 s[30:31], 0
.LBB14_23:
	s_mov_b64 s[40:41], 0
.LBB14_24:
	s_and_b64 vcc, exec, s[40:41]
	s_cbranch_vccz .LBB14_37
; %bb.25:
	s_cmp_lt_i32 s42, 27
	s_mov_b64 s[36:37], -1
	s_cbranch_scc1 .LBB14_31
; %bb.26:
	s_cmp_gt_i32 s42, 27
	s_cbranch_scc0 .LBB14_28
; %bb.27:
	v_mov_b32_e32 v2, s53
	s_mov_b64 s[36:37], 0
	global_store_dword v[8:9], v2, off
.LBB14_28:
	s_andn2_b64 vcc, exec, s[36:37]
	s_cbranch_vccnz .LBB14_30
; %bb.29:
	v_mov_b32_e32 v2, s52
	global_store_short v[8:9], v2, off
.LBB14_30:
	s_mov_b64 s[36:37], 0
.LBB14_31:
	s_andn2_b64 vcc, exec, s[36:37]
	s_cbranch_vccnz .LBB14_36
; %bb.32:
	s_andn2_b64 vcc, exec, s[26:27]
	v_mov_b32_e32 v2, 0x80
	s_cbranch_vccnz .LBB14_35
; %bb.33:
	s_or_b64 s[36:37], s[2:3], s[28:29]
	s_andn2_b64 vcc, exec, s[36:37]
	v_mov_b32_e32 v2, 0
	s_cbranch_vccnz .LBB14_35
; %bb.34:
	v_mov_b32_e32 v2, s61
	v_cndmask_b32_e64 v2, v15, v2, s[2:3]
	v_or_b32_e32 v2, v2, v12
.LBB14_35:
	global_store_byte v[8:9], v2, off
.LBB14_36:
	s_mov_b64 s[36:37], -1
.LBB14_37:
	s_branch .LBB14_59
.LBB14_38:
	s_cmp_gt_i32 s42, 22
	s_mov_b64 s[40:41], -1
	s_cbranch_scc0 .LBB14_51
; %bb.39:
	s_cmp_lt_i32 s42, 24
	s_mov_b64 s[36:37], -1
	s_cbranch_scc1 .LBB14_48
; %bb.40:
	s_cmp_gt_i32 s42, 24
	s_cbranch_scc0 .LBB14_45
; %bb.41:
	s_andn2_b64 vcc, exec, s[22:23]
	v_mov_b32_e32 v2, 0x80
	s_cbranch_vccnz .LBB14_44
; %bb.42:
	s_or_b64 s[36:37], s[0:1], s[24:25]
	s_andn2_b64 vcc, exec, s[36:37]
	v_mov_b32_e32 v2, 0
	s_cbranch_vccnz .LBB14_44
; %bb.43:
	v_mov_b32_e32 v2, s59
	v_cndmask_b32_e64 v2, v14, v2, s[0:1]
	v_or_b32_e32 v2, v2, v12
.LBB14_44:
	s_mov_b64 s[36:37], 0
	global_store_byte v[8:9], v2, off
.LBB14_45:
	s_and_b64 vcc, exec, s[36:37]
	s_cbranch_vccz .LBB14_47
; %bb.46:
	s_and_b64 s[36:37], s[20:21], exec
	s_cselect_b32 s40, s58, s57
	s_and_b64 s[36:37], s[18:19], exec
	s_cselect_b32 s36, s60, s40
	v_or_b32_e32 v2, s36, v12
	global_store_byte v[8:9], v2, off
.LBB14_47:
	s_mov_b64 s[36:37], 0
.LBB14_48:
	s_andn2_b64 vcc, exec, s[36:37]
	s_cbranch_vccnz .LBB14_50
; %bb.49:
	s_and_b64 s[36:37], s[16:17], exec
	s_cselect_b32 s40, s55, s54
	s_and_b64 s[36:37], s[14:15], exec
	s_cselect_b32 s36, s56, s40
	v_or_b32_e32 v2, s36, v12
	global_store_byte v[8:9], v2, off
.LBB14_50:
	s_mov_b64 s[40:41], 0
	s_mov_b64 s[36:37], -1
.LBB14_51:
	s_andn2_b64 vcc, exec, s[40:41]
	s_cbranch_vccnz .LBB14_59
; %bb.52:
	s_cmp_gt_i32 s42, 14
	s_mov_b64 s[40:41], -1
	s_cbranch_scc0 .LBB14_56
; %bb.53:
	s_cmp_eq_u32 s42, 15
	s_mov_b64 s[30:31], -1
	s_cbranch_scc0 .LBB14_55
; %bb.54:
	global_store_short v[8:9], v13, off
	s_mov_b64 s[36:37], -1
	s_mov_b64 s[30:31], 0
.LBB14_55:
	s_mov_b64 s[40:41], 0
.LBB14_56:
	s_and_b64 vcc, exec, s[40:41]
	s_cbranch_vccz .LBB14_59
; %bb.57:
	s_cmp_eq_u32 s42, 11
	s_mov_b64 s[30:31], -1
	s_cbranch_scc0 .LBB14_59
; %bb.58:
	s_mov_b64 s[36:37], -1
	s_mov_b64 s[30:31], 0
	global_store_byte v[8:9], v11, off
.LBB14_59:
	s_branch .LBB14_10
.LBB14_60:
	s_cmp_lt_i32 s42, 5
	s_mov_b64 s[36:37], -1
	s_cbranch_scc1 .LBB14_81
; %bb.61:
	s_cmp_lt_i32 s42, 8
	s_cbranch_scc1 .LBB14_71
; %bb.62:
	s_cmp_lt_i32 s42, 9
	s_cbranch_scc1 .LBB14_68
; %bb.63:
	s_cmp_gt_i32 s42, 9
	s_cbranch_scc0 .LBB14_65
; %bb.64:
	v_mov_b32_e32 v2, 0
	v_mov_b32_e32 v3, v2
	global_store_dwordx4 v[8:9], v[0:3], off
	s_mov_b64 s[36:37], 0
.LBB14_65:
	s_andn2_b64 vcc, exec, s[36:37]
	s_cbranch_vccnz .LBB14_67
; %bb.66:
	v_mov_b32_e32 v7, 0
	global_store_dwordx2 v[8:9], v[6:7], off
.LBB14_67:
	s_mov_b64 s[36:37], 0
.LBB14_68:
	s_andn2_b64 vcc, exec, s[36:37]
	s_cbranch_vccnz .LBB14_70
; %bb.69:
	global_store_dword v[8:9], v10, off
.LBB14_70:
	s_mov_b64 s[36:37], 0
.LBB14_71:
	s_andn2_b64 vcc, exec, s[36:37]
	s_cbranch_vccnz .LBB14_80
; %bb.72:
	s_cmp_lt_i32 s42, 6
	s_mov_b64 s[36:37], -1
	s_cbranch_scc1 .LBB14_78
; %bb.73:
	s_cmp_gt_i32 s42, 6
	s_cbranch_scc0 .LBB14_75
; %bb.74:
	global_store_dwordx2 v[8:9], v[0:1], off
	s_mov_b64 s[36:37], 0
.LBB14_75:
	s_andn2_b64 vcc, exec, s[36:37]
	s_cbranch_vccnz .LBB14_77
; %bb.76:
	global_store_dword v[8:9], v6, off
.LBB14_77:
	s_mov_b64 s[36:37], 0
.LBB14_78:
	s_andn2_b64 vcc, exec, s[36:37]
	s_cbranch_vccnz .LBB14_80
; %bb.79:
	global_store_short v[8:9], v10, off
.LBB14_80:
	s_mov_b64 s[36:37], 0
.LBB14_81:
	s_andn2_b64 vcc, exec, s[36:37]
	s_cbranch_vccnz .LBB14_97
; %bb.82:
	s_cmp_lt_i32 s42, 2
	s_mov_b64 s[36:37], -1
	s_cbranch_scc1 .LBB14_92
; %bb.83:
	s_cmp_lt_i32 s42, 3
	s_cbranch_scc1 .LBB14_89
; %bb.84:
	s_cmp_gt_i32 s42, 3
	s_cbranch_scc0 .LBB14_86
; %bb.85:
	global_store_dwordx2 v[8:9], v[4:5], off
	s_mov_b64 s[36:37], 0
.LBB14_86:
	s_andn2_b64 vcc, exec, s[36:37]
	s_cbranch_vccnz .LBB14_88
; %bb.87:
	v_mov_b32_e32 v2, s53
	global_store_dword v[8:9], v2, off
.LBB14_88:
	s_mov_b64 s[36:37], 0
.LBB14_89:
	s_andn2_b64 vcc, exec, s[36:37]
	s_cbranch_vccnz .LBB14_91
; %bb.90:
	v_mov_b32_e32 v2, s52
	global_store_short v[8:9], v2, off
.LBB14_91:
	s_mov_b64 s[36:37], 0
.LBB14_92:
	s_andn2_b64 vcc, exec, s[36:37]
	s_cbranch_vccnz .LBB14_97
; %bb.93:
	s_cmp_gt_i32 s42, 0
	s_mov_b64 s[36:37], -1
	s_cbranch_scc0 .LBB14_95
; %bb.94:
	v_mov_b32_e32 v2, s11
	global_store_byte v[8:9], v2, off
	s_mov_b64 s[36:37], 0
.LBB14_95:
	s_andn2_b64 vcc, exec, s[36:37]
	s_cbranch_vccnz .LBB14_97
; %bb.96:
	v_mov_b32_e32 v2, s11
	global_store_byte v[8:9], v2, off
.LBB14_97:
	s_branch .LBB14_11
.LBB14_98:
	s_mov_b64 s[36:37], 0
                                        ; implicit-def: $vgpr17
.LBB14_99:
	s_and_b64 s[30:31], s[30:31], exec
	s_orn2_b64 s[36:37], s[36:37], exec
.LBB14_100:
	s_or_b64 exec, exec, s[34:35]
	s_mov_b64 s[40:41], 0
                                        ; implicit-def: $vgpr8_vgpr9
	s_and_saveexec_b64 s[34:35], s[36:37]
	s_cbranch_execz .LBB14_109
; %bb.101:
	v_cmp_gt_i32_e32 vcc, s48, v17
	s_mov_b64 s[42:43], -1
	s_mov_b64 s[36:37], s[30:31]
	s_and_saveexec_b64 s[38:39], vcc
	s_cbranch_execz .LBB14_204
; %bb.102:
	v_mul_lo_u32 v2, v17, s10
	v_mov_b32_e32 v3, s9
	s_and_b32 s44, 0xffff, s33
	s_cmp_lt_i32 s44, 11
	v_ashrrev_i32_e32 v7, 31, v2
	v_add_co_u32_e32 v8, vcc, s8, v2
	v_addc_co_u32_e32 v9, vcc, v3, v7, vcc
	s_cbranch_scc1 .LBB14_112
; %bb.103:
	s_cmp_gt_i32 s44, 25
	s_cbranch_scc0 .LBB14_115
; %bb.104:
	s_cmp_gt_i32 s44, 28
	s_cbranch_scc0 .LBB14_116
	;; [unrolled: 3-line block ×4, first 2 shown]
; %bb.107:
	s_mov_b64 s[42:43], 0
	s_mov_b64 s[36:37], -1
	s_cmp_eq_u32 s44, 46
	s_cbranch_scc0 .LBB14_119
; %bb.108:
	global_store_dword v[8:9], v13, off
	s_mov_b64 s[40:41], -1
	s_mov_b64 s[36:37], 0
	s_branch .LBB14_119
.LBB14_109:
	s_or_b64 exec, exec, s[34:35]
	s_mov_b64 s[0:1], 0
	s_and_saveexec_b64 s[2:3], s[30:31]
	s_cbranch_execnz .LBB14_364
.LBB14_110:
	s_or_b64 exec, exec, s[2:3]
	s_and_saveexec_b64 s[2:3], s[38:39]
	s_xor_b64 s[2:3], exec, s[2:3]
	s_cbranch_execz .LBB14_365
.LBB14_111:
	global_store_byte v[8:9], v11, off
	s_or_b64 exec, exec, s[2:3]
	s_and_saveexec_b64 s[2:3], s[40:41]
	s_xor_b64 s[2:3], exec, s[2:3]
	s_cbranch_execz .LBB14_403
	s_branch .LBB14_366
.LBB14_112:
	s_mov_b64 s[36:37], s[30:31]
	s_and_b64 vcc, exec, s[42:43]
	s_cbranch_vccnz .LBB14_164
.LBB14_113:
	s_andn2_b64 vcc, exec, s[40:41]
	s_cbranch_vccnz .LBB14_202
.LBB14_114:
	v_add_u32_e32 v17, 0x80, v17
	s_mov_b64 s[40:41], -1
	s_branch .LBB14_203
.LBB14_115:
	s_mov_b64 s[36:37], s[30:31]
	s_branch .LBB14_141
.LBB14_116:
	s_mov_b64 s[36:37], s[30:31]
	s_branch .LBB14_127
.LBB14_117:
	s_mov_b64 s[36:37], s[30:31]
	s_branch .LBB14_123
.LBB14_118:
	s_mov_b64 s[36:37], s[30:31]
.LBB14_119:
	s_and_b64 vcc, exec, s[42:43]
	s_cbranch_vccz .LBB14_122
; %bb.120:
	s_cmp_eq_u32 s44, 44
	s_mov_b64 s[36:37], -1
	s_cbranch_scc0 .LBB14_122
; %bb.121:
	v_mov_b32_e32 v2, 0xffff
	v_cndmask_b32_e64 v2, v16, v2, s[4:5]
	s_mov_b64 s[40:41], -1
	s_mov_b64 s[36:37], 0
	global_store_byte v[8:9], v2, off
.LBB14_122:
	s_mov_b64 s[42:43], 0
.LBB14_123:
	s_and_b64 vcc, exec, s[42:43]
	s_cbranch_vccz .LBB14_126
; %bb.124:
	s_cmp_eq_u32 s44, 29
	s_mov_b64 s[36:37], -1
	s_cbranch_scc0 .LBB14_126
; %bb.125:
	global_store_dwordx2 v[8:9], v[4:5], off
	s_mov_b64 s[40:41], -1
	s_mov_b64 s[36:37], 0
.LBB14_126:
	s_mov_b64 s[42:43], 0
.LBB14_127:
	s_and_b64 vcc, exec, s[42:43]
	s_cbranch_vccz .LBB14_140
; %bb.128:
	s_cmp_lt_i32 s44, 27
	s_mov_b64 s[40:41], -1
	s_cbranch_scc1 .LBB14_134
; %bb.129:
	s_cmp_gt_i32 s44, 27
	s_cbranch_scc0 .LBB14_131
; %bb.130:
	v_mov_b32_e32 v2, s53
	s_mov_b64 s[40:41], 0
	global_store_dword v[8:9], v2, off
.LBB14_131:
	s_andn2_b64 vcc, exec, s[40:41]
	s_cbranch_vccnz .LBB14_133
; %bb.132:
	v_mov_b32_e32 v2, s52
	global_store_short v[8:9], v2, off
.LBB14_133:
	s_mov_b64 s[40:41], 0
.LBB14_134:
	s_andn2_b64 vcc, exec, s[40:41]
	s_cbranch_vccnz .LBB14_139
; %bb.135:
	s_andn2_b64 vcc, exec, s[26:27]
	v_mov_b32_e32 v2, 0x80
	s_cbranch_vccnz .LBB14_138
; %bb.136:
	s_or_b64 s[40:41], s[2:3], s[28:29]
	s_andn2_b64 vcc, exec, s[40:41]
	v_mov_b32_e32 v2, 0
	s_cbranch_vccnz .LBB14_138
; %bb.137:
	v_mov_b32_e32 v2, s61
	v_cndmask_b32_e64 v2, v15, v2, s[2:3]
	v_or_b32_e32 v2, v2, v12
.LBB14_138:
	global_store_byte v[8:9], v2, off
.LBB14_139:
	s_mov_b64 s[40:41], -1
.LBB14_140:
	s_mov_b64 s[42:43], 0
.LBB14_141:
	s_and_b64 vcc, exec, s[42:43]
	s_cbranch_vccz .LBB14_163
; %bb.142:
	s_cmp_gt_i32 s44, 22
	s_mov_b64 s[42:43], -1
	s_cbranch_scc0 .LBB14_155
; %bb.143:
	s_cmp_lt_i32 s44, 24
	s_mov_b64 s[40:41], -1
	s_cbranch_scc1 .LBB14_152
; %bb.144:
	s_cmp_gt_i32 s44, 24
	s_cbranch_scc0 .LBB14_149
; %bb.145:
	s_andn2_b64 vcc, exec, s[22:23]
	v_mov_b32_e32 v2, 0x80
	s_cbranch_vccnz .LBB14_148
; %bb.146:
	s_or_b64 s[40:41], s[0:1], s[24:25]
	s_andn2_b64 vcc, exec, s[40:41]
	v_mov_b32_e32 v2, 0
	s_cbranch_vccnz .LBB14_148
; %bb.147:
	v_mov_b32_e32 v2, s59
	v_cndmask_b32_e64 v2, v14, v2, s[0:1]
	v_or_b32_e32 v2, v2, v12
.LBB14_148:
	s_mov_b64 s[40:41], 0
	global_store_byte v[8:9], v2, off
.LBB14_149:
	s_and_b64 vcc, exec, s[40:41]
	s_cbranch_vccz .LBB14_151
; %bb.150:
	s_and_b64 s[40:41], s[20:21], exec
	s_cselect_b32 s42, s58, s57
	s_and_b64 s[40:41], s[18:19], exec
	s_cselect_b32 s40, s60, s42
	v_or_b32_e32 v2, s40, v12
	global_store_byte v[8:9], v2, off
.LBB14_151:
	s_mov_b64 s[40:41], 0
.LBB14_152:
	s_andn2_b64 vcc, exec, s[40:41]
	s_cbranch_vccnz .LBB14_154
; %bb.153:
	s_and_b64 s[40:41], s[16:17], exec
	s_cselect_b32 s42, s55, s54
	s_and_b64 s[40:41], s[14:15], exec
	s_cselect_b32 s40, s56, s42
	v_or_b32_e32 v2, s40, v12
	global_store_byte v[8:9], v2, off
.LBB14_154:
	s_mov_b64 s[42:43], 0
	s_mov_b64 s[40:41], -1
.LBB14_155:
	s_andn2_b64 vcc, exec, s[42:43]
	s_cbranch_vccnz .LBB14_163
; %bb.156:
	s_cmp_gt_i32 s44, 14
	s_mov_b64 s[42:43], -1
	s_cbranch_scc0 .LBB14_160
; %bb.157:
	s_cmp_eq_u32 s44, 15
	s_mov_b64 s[36:37], -1
	s_cbranch_scc0 .LBB14_159
; %bb.158:
	global_store_short v[8:9], v13, off
	s_mov_b64 s[40:41], -1
	s_mov_b64 s[36:37], 0
.LBB14_159:
	s_mov_b64 s[42:43], 0
.LBB14_160:
	s_and_b64 vcc, exec, s[42:43]
	s_cbranch_vccz .LBB14_163
; %bb.161:
	s_cmp_eq_u32 s44, 11
	s_mov_b64 s[36:37], -1
	s_cbranch_scc0 .LBB14_163
; %bb.162:
	s_mov_b64 s[40:41], -1
	s_mov_b64 s[36:37], 0
	global_store_byte v[8:9], v11, off
.LBB14_163:
	s_branch .LBB14_113
.LBB14_164:
	s_cmp_lt_i32 s44, 5
	s_mov_b64 s[40:41], -1
	s_cbranch_scc1 .LBB14_185
; %bb.165:
	s_cmp_lt_i32 s44, 8
	s_cbranch_scc1 .LBB14_175
; %bb.166:
	s_cmp_lt_i32 s44, 9
	s_cbranch_scc1 .LBB14_172
; %bb.167:
	s_cmp_gt_i32 s44, 9
	s_cbranch_scc0 .LBB14_169
; %bb.168:
	v_mov_b32_e32 v2, 0
	v_mov_b32_e32 v3, v2
	s_mov_b64 s[40:41], 0
	global_store_dwordx4 v[8:9], v[0:3], off
.LBB14_169:
	s_andn2_b64 vcc, exec, s[40:41]
	s_cbranch_vccnz .LBB14_171
; %bb.170:
	v_mov_b32_e32 v7, 0
	global_store_dwordx2 v[8:9], v[6:7], off
.LBB14_171:
	s_mov_b64 s[40:41], 0
.LBB14_172:
	s_andn2_b64 vcc, exec, s[40:41]
	s_cbranch_vccnz .LBB14_174
; %bb.173:
	global_store_dword v[8:9], v10, off
.LBB14_174:
	s_mov_b64 s[40:41], 0
.LBB14_175:
	s_andn2_b64 vcc, exec, s[40:41]
	s_cbranch_vccnz .LBB14_184
; %bb.176:
	s_cmp_lt_i32 s44, 6
	s_mov_b64 s[40:41], -1
	s_cbranch_scc1 .LBB14_182
; %bb.177:
	s_cmp_gt_i32 s44, 6
	s_cbranch_scc0 .LBB14_179
; %bb.178:
	s_mov_b64 s[40:41], 0
	global_store_dwordx2 v[8:9], v[0:1], off
.LBB14_179:
	s_andn2_b64 vcc, exec, s[40:41]
	s_cbranch_vccnz .LBB14_181
; %bb.180:
	global_store_dword v[8:9], v6, off
.LBB14_181:
	s_mov_b64 s[40:41], 0
.LBB14_182:
	s_andn2_b64 vcc, exec, s[40:41]
	s_cbranch_vccnz .LBB14_184
; %bb.183:
	global_store_short v[8:9], v10, off
.LBB14_184:
	s_mov_b64 s[40:41], 0
.LBB14_185:
	s_andn2_b64 vcc, exec, s[40:41]
	s_cbranch_vccnz .LBB14_201
; %bb.186:
	s_cmp_lt_i32 s44, 2
	s_mov_b64 s[40:41], -1
	s_cbranch_scc1 .LBB14_196
; %bb.187:
	s_cmp_lt_i32 s44, 3
	s_cbranch_scc1 .LBB14_193
; %bb.188:
	s_cmp_gt_i32 s44, 3
	s_cbranch_scc0 .LBB14_190
; %bb.189:
	s_mov_b64 s[40:41], 0
	global_store_dwordx2 v[8:9], v[4:5], off
.LBB14_190:
	s_andn2_b64 vcc, exec, s[40:41]
	s_cbranch_vccnz .LBB14_192
; %bb.191:
	v_mov_b32_e32 v2, s53
	global_store_dword v[8:9], v2, off
.LBB14_192:
	s_mov_b64 s[40:41], 0
.LBB14_193:
	s_andn2_b64 vcc, exec, s[40:41]
	s_cbranch_vccnz .LBB14_195
; %bb.194:
	v_mov_b32_e32 v2, s52
	global_store_short v[8:9], v2, off
.LBB14_195:
	s_mov_b64 s[40:41], 0
.LBB14_196:
	s_andn2_b64 vcc, exec, s[40:41]
	s_cbranch_vccnz .LBB14_201
; %bb.197:
	s_cmp_gt_i32 s44, 0
	s_mov_b64 s[40:41], -1
	s_cbranch_scc0 .LBB14_199
; %bb.198:
	v_mov_b32_e32 v2, s11
	s_mov_b64 s[40:41], 0
	global_store_byte v[8:9], v2, off
.LBB14_199:
	s_andn2_b64 vcc, exec, s[40:41]
	s_cbranch_vccnz .LBB14_201
; %bb.200:
	v_mov_b32_e32 v2, s11
	global_store_byte v[8:9], v2, off
.LBB14_201:
	s_branch .LBB14_114
.LBB14_202:
	s_mov_b64 s[40:41], 0
                                        ; implicit-def: $vgpr17
.LBB14_203:
	s_andn2_b64 s[42:43], s[30:31], exec
	s_and_b64 s[36:37], s[36:37], exec
	s_or_b64 s[36:37], s[42:43], s[36:37]
	s_orn2_b64 s[42:43], s[40:41], exec
.LBB14_204:
	s_or_b64 exec, exec, s[38:39]
	s_mov_b64 s[44:45], 0
	s_mov_b64 s[40:41], 0
                                        ; implicit-def: $vgpr8_vgpr9
	s_and_saveexec_b64 s[38:39], s[42:43]
	s_cbranch_execz .LBB14_363
; %bb.205:
	v_cmp_gt_i32_e32 vcc, s48, v17
	s_mov_b64 s[46:47], -1
	s_mov_b64 s[42:43], s[36:37]
	s_and_saveexec_b64 s[40:41], vcc
	s_cbranch_execz .LBB14_306
; %bb.206:
	v_mul_lo_u32 v2, v17, s10
	v_mov_b32_e32 v3, s9
	s_and_b32 s49, 0xffff, s33
	s_cmp_lt_i32 s49, 11
	v_ashrrev_i32_e32 v7, 31, v2
	v_add_co_u32_e32 v8, vcc, s8, v2
	v_addc_co_u32_e32 v9, vcc, v3, v7, vcc
	s_cbranch_scc1 .LBB14_213
; %bb.207:
	s_cmp_gt_i32 s49, 25
	s_cbranch_scc0 .LBB14_214
; %bb.208:
	s_cmp_gt_i32 s49, 28
	s_cbranch_scc0 .LBB14_215
	;; [unrolled: 3-line block ×4, first 2 shown]
; %bb.211:
	s_mov_b64 s[46:47], 0
	s_mov_b64 s[42:43], -1
	s_cmp_eq_u32 s49, 46
	s_cbranch_scc0 .LBB14_218
; %bb.212:
	global_store_dword v[8:9], v13, off
	s_mov_b64 s[44:45], -1
	s_mov_b64 s[42:43], 0
	s_branch .LBB14_218
.LBB14_213:
	s_mov_b64 s[42:43], s[36:37]
	s_branch .LBB14_263
.LBB14_214:
	s_mov_b64 s[42:43], s[36:37]
	s_branch .LBB14_240
.LBB14_215:
	s_mov_b64 s[42:43], s[36:37]
	s_branch .LBB14_226
.LBB14_216:
	s_mov_b64 s[42:43], s[36:37]
	s_branch .LBB14_222
.LBB14_217:
	s_mov_b64 s[42:43], s[36:37]
.LBB14_218:
	s_and_b64 vcc, exec, s[46:47]
	s_cbranch_vccz .LBB14_221
; %bb.219:
	s_cmp_eq_u32 s49, 44
	s_mov_b64 s[42:43], -1
	s_cbranch_scc0 .LBB14_221
; %bb.220:
	v_mov_b32_e32 v2, 0xffff
	v_cndmask_b32_e64 v2, v16, v2, s[4:5]
	s_mov_b64 s[44:45], -1
	s_mov_b64 s[42:43], 0
	global_store_byte v[8:9], v2, off
.LBB14_221:
	s_mov_b64 s[46:47], 0
.LBB14_222:
	s_and_b64 vcc, exec, s[46:47]
	s_cbranch_vccz .LBB14_225
; %bb.223:
	s_cmp_eq_u32 s49, 29
	s_mov_b64 s[42:43], -1
	s_cbranch_scc0 .LBB14_225
; %bb.224:
	global_store_dwordx2 v[8:9], v[4:5], off
	s_mov_b64 s[44:45], -1
	s_mov_b64 s[42:43], 0
.LBB14_225:
	s_mov_b64 s[46:47], 0
.LBB14_226:
	s_and_b64 vcc, exec, s[46:47]
	s_cbranch_vccz .LBB14_239
; %bb.227:
	s_cmp_lt_i32 s49, 27
	s_mov_b64 s[44:45], -1
	s_cbranch_scc1 .LBB14_233
; %bb.228:
	s_cmp_gt_i32 s49, 27
	s_cbranch_scc0 .LBB14_230
; %bb.229:
	v_mov_b32_e32 v2, s53
	s_mov_b64 s[44:45], 0
	global_store_dword v[8:9], v2, off
.LBB14_230:
	s_andn2_b64 vcc, exec, s[44:45]
	s_cbranch_vccnz .LBB14_232
; %bb.231:
	v_mov_b32_e32 v2, s52
	global_store_short v[8:9], v2, off
.LBB14_232:
	s_mov_b64 s[44:45], 0
.LBB14_233:
	s_andn2_b64 vcc, exec, s[44:45]
	s_cbranch_vccnz .LBB14_238
; %bb.234:
	s_andn2_b64 vcc, exec, s[26:27]
	v_mov_b32_e32 v2, 0x80
	s_cbranch_vccnz .LBB14_237
; %bb.235:
	s_or_b64 s[44:45], s[2:3], s[28:29]
	s_andn2_b64 vcc, exec, s[44:45]
	v_mov_b32_e32 v2, 0
	s_cbranch_vccnz .LBB14_237
; %bb.236:
	v_mov_b32_e32 v2, s61
	v_cndmask_b32_e64 v2, v15, v2, s[2:3]
	v_or_b32_e32 v2, v2, v12
.LBB14_237:
	global_store_byte v[8:9], v2, off
.LBB14_238:
	s_mov_b64 s[44:45], -1
.LBB14_239:
	s_mov_b64 s[46:47], 0
.LBB14_240:
	s_and_b64 vcc, exec, s[46:47]
	s_cbranch_vccz .LBB14_262
; %bb.241:
	s_cmp_gt_i32 s49, 22
	s_mov_b64 s[46:47], -1
	s_cbranch_scc0 .LBB14_254
; %bb.242:
	s_cmp_lt_i32 s49, 24
	s_mov_b64 s[44:45], -1
	s_cbranch_scc1 .LBB14_251
; %bb.243:
	s_cmp_gt_i32 s49, 24
	s_cbranch_scc0 .LBB14_248
; %bb.244:
	s_andn2_b64 vcc, exec, s[22:23]
	v_mov_b32_e32 v2, 0x80
	s_cbranch_vccnz .LBB14_247
; %bb.245:
	s_or_b64 s[44:45], s[0:1], s[24:25]
	s_andn2_b64 vcc, exec, s[44:45]
	v_mov_b32_e32 v2, 0
	s_cbranch_vccnz .LBB14_247
; %bb.246:
	v_mov_b32_e32 v2, s59
	v_cndmask_b32_e64 v2, v14, v2, s[0:1]
	v_or_b32_e32 v2, v2, v12
.LBB14_247:
	s_mov_b64 s[44:45], 0
	global_store_byte v[8:9], v2, off
.LBB14_248:
	s_and_b64 vcc, exec, s[44:45]
	s_cbranch_vccz .LBB14_250
; %bb.249:
	s_and_b64 s[44:45], s[20:21], exec
	s_cselect_b32 s46, s58, s57
	s_and_b64 s[44:45], s[18:19], exec
	s_cselect_b32 s44, s60, s46
	v_or_b32_e32 v2, s44, v12
	global_store_byte v[8:9], v2, off
.LBB14_250:
	s_mov_b64 s[44:45], 0
.LBB14_251:
	s_andn2_b64 vcc, exec, s[44:45]
	s_cbranch_vccnz .LBB14_253
; %bb.252:
	s_and_b64 s[44:45], s[16:17], exec
	s_cselect_b32 s46, s55, s54
	s_and_b64 s[44:45], s[14:15], exec
	s_cselect_b32 s44, s56, s46
	v_or_b32_e32 v2, s44, v12
	global_store_byte v[8:9], v2, off
.LBB14_253:
	s_mov_b64 s[46:47], 0
	s_mov_b64 s[44:45], -1
.LBB14_254:
	s_andn2_b64 vcc, exec, s[46:47]
	s_cbranch_vccnz .LBB14_262
; %bb.255:
	s_cmp_gt_i32 s49, 14
	s_mov_b64 s[46:47], -1
	s_cbranch_scc0 .LBB14_259
; %bb.256:
	s_cmp_eq_u32 s49, 15
	s_mov_b64 s[42:43], -1
	s_cbranch_scc0 .LBB14_258
; %bb.257:
	global_store_short v[8:9], v13, off
	s_mov_b64 s[44:45], -1
	s_mov_b64 s[42:43], 0
.LBB14_258:
	s_mov_b64 s[46:47], 0
.LBB14_259:
	s_and_b64 vcc, exec, s[46:47]
	s_cbranch_vccz .LBB14_262
; %bb.260:
	s_cmp_eq_u32 s49, 11
	s_mov_b64 s[42:43], -1
	s_cbranch_scc0 .LBB14_262
; %bb.261:
	s_mov_b64 s[44:45], -1
	s_mov_b64 s[42:43], 0
	global_store_byte v[8:9], v11, off
.LBB14_262:
	s_mov_b64 s[46:47], 0
.LBB14_263:
	s_and_b64 vcc, exec, s[46:47]
	s_cbranch_vccz .LBB14_302
; %bb.264:
	s_cmp_lt_i32 s49, 5
	s_mov_b64 s[44:45], -1
	s_cbranch_scc1 .LBB14_285
; %bb.265:
	s_cmp_lt_i32 s49, 8
	s_cbranch_scc1 .LBB14_275
; %bb.266:
	s_cmp_lt_i32 s49, 9
	s_cbranch_scc1 .LBB14_272
; %bb.267:
	s_cmp_gt_i32 s49, 9
	s_cbranch_scc0 .LBB14_269
; %bb.268:
	v_mov_b32_e32 v2, 0
	v_mov_b32_e32 v3, v2
	s_mov_b64 s[44:45], 0
	global_store_dwordx4 v[8:9], v[0:3], off
.LBB14_269:
	s_andn2_b64 vcc, exec, s[44:45]
	s_cbranch_vccnz .LBB14_271
; %bb.270:
	v_mov_b32_e32 v7, 0
	global_store_dwordx2 v[8:9], v[6:7], off
.LBB14_271:
	s_mov_b64 s[44:45], 0
.LBB14_272:
	s_andn2_b64 vcc, exec, s[44:45]
	s_cbranch_vccnz .LBB14_274
; %bb.273:
	global_store_dword v[8:9], v10, off
.LBB14_274:
	s_mov_b64 s[44:45], 0
.LBB14_275:
	s_andn2_b64 vcc, exec, s[44:45]
	s_cbranch_vccnz .LBB14_284
; %bb.276:
	s_cmp_lt_i32 s49, 6
	s_mov_b64 s[44:45], -1
	s_cbranch_scc1 .LBB14_282
; %bb.277:
	s_cmp_gt_i32 s49, 6
	s_cbranch_scc0 .LBB14_279
; %bb.278:
	s_mov_b64 s[44:45], 0
	global_store_dwordx2 v[8:9], v[0:1], off
.LBB14_279:
	s_andn2_b64 vcc, exec, s[44:45]
	s_cbranch_vccnz .LBB14_281
; %bb.280:
	global_store_dword v[8:9], v6, off
.LBB14_281:
	s_mov_b64 s[44:45], 0
.LBB14_282:
	s_andn2_b64 vcc, exec, s[44:45]
	s_cbranch_vccnz .LBB14_284
; %bb.283:
	global_store_short v[8:9], v10, off
.LBB14_284:
	s_mov_b64 s[44:45], 0
.LBB14_285:
	s_andn2_b64 vcc, exec, s[44:45]
	s_cbranch_vccnz .LBB14_301
; %bb.286:
	s_cmp_lt_i32 s49, 2
	s_mov_b64 s[44:45], -1
	s_cbranch_scc1 .LBB14_296
; %bb.287:
	s_cmp_lt_i32 s49, 3
	s_cbranch_scc1 .LBB14_293
; %bb.288:
	s_cmp_gt_i32 s49, 3
	s_cbranch_scc0 .LBB14_290
; %bb.289:
	s_mov_b64 s[44:45], 0
	global_store_dwordx2 v[8:9], v[4:5], off
.LBB14_290:
	s_andn2_b64 vcc, exec, s[44:45]
	s_cbranch_vccnz .LBB14_292
; %bb.291:
	v_mov_b32_e32 v2, s53
	global_store_dword v[8:9], v2, off
.LBB14_292:
	s_mov_b64 s[44:45], 0
.LBB14_293:
	s_andn2_b64 vcc, exec, s[44:45]
	s_cbranch_vccnz .LBB14_295
; %bb.294:
	v_mov_b32_e32 v2, s52
	global_store_short v[8:9], v2, off
.LBB14_295:
	s_mov_b64 s[44:45], 0
.LBB14_296:
	s_andn2_b64 vcc, exec, s[44:45]
	s_cbranch_vccnz .LBB14_301
; %bb.297:
	s_cmp_gt_i32 s49, 0
	s_mov_b64 s[44:45], -1
	s_cbranch_scc0 .LBB14_299
; %bb.298:
	v_mov_b32_e32 v2, s11
	s_mov_b64 s[44:45], 0
	global_store_byte v[8:9], v2, off
.LBB14_299:
	s_andn2_b64 vcc, exec, s[44:45]
	s_cbranch_vccnz .LBB14_301
; %bb.300:
	v_mov_b32_e32 v2, s11
	global_store_byte v[8:9], v2, off
.LBB14_301:
	s_mov_b64 s[44:45], -1
.LBB14_302:
	s_andn2_b64 vcc, exec, s[44:45]
	s_cbranch_vccnz .LBB14_304
; %bb.303:
	v_add_u32_e32 v17, 0x80, v17
	s_mov_b64 s[44:45], -1
	s_branch .LBB14_305
.LBB14_304:
	s_mov_b64 s[44:45], 0
                                        ; implicit-def: $vgpr17
.LBB14_305:
	s_andn2_b64 s[46:47], s[36:37], exec
	s_and_b64 s[42:43], s[42:43], exec
	s_or_b64 s[42:43], s[46:47], s[42:43]
	s_orn2_b64 s[46:47], s[44:45], exec
.LBB14_306:
	s_or_b64 exec, exec, s[40:41]
	s_mov_b64 s[44:45], 0
	s_mov_b64 s[50:51], 0
                                        ; implicit-def: $vgpr8_vgpr9
	s_and_saveexec_b64 s[40:41], s[46:47]
	s_cbranch_execz .LBB14_362
; %bb.307:
	v_cmp_gt_i32_e32 vcc, s48, v17
	s_mov_b64 s[48:49], 0
	s_mov_b64 s[46:47], s[42:43]
                                        ; implicit-def: $vgpr8_vgpr9
	s_and_saveexec_b64 s[44:45], vcc
	s_cbranch_execz .LBB14_361
; %bb.308:
	v_mul_lo_u32 v2, v17, s10
	v_mov_b32_e32 v3, s9
	s_and_b32 s50, 0xffff, s33
	s_cmp_lt_i32 s50, 11
	v_ashrrev_i32_e32 v7, 31, v2
	v_add_co_u32_e32 v8, vcc, s8, v2
	v_addc_co_u32_e32 v9, vcc, v3, v7, vcc
	s_cbranch_scc1 .LBB14_358
; %bb.309:
	s_mov_b64 s[48:49], -1
	s_cmp_gt_i32 s50, 25
	s_mov_b64 s[46:47], s[42:43]
	s_cbranch_scc0 .LBB14_337
; %bb.310:
	s_cmp_gt_i32 s50, 28
	s_mov_b64 s[46:47], s[42:43]
	s_cbranch_scc0 .LBB14_324
; %bb.311:
	;; [unrolled: 4-line block ×4, first 2 shown]
	s_cmp_eq_u32 s50, 46
	s_mov_b64 s[46:47], -1
	s_cbranch_scc0 .LBB14_315
; %bb.314:
	global_store_dword v[8:9], v13, off
	s_mov_b64 s[46:47], 0
.LBB14_315:
	s_mov_b64 s[48:49], 0
.LBB14_316:
	s_and_b64 vcc, exec, s[48:49]
	s_cbranch_vccz .LBB14_319
; %bb.317:
	s_cmp_eq_u32 s50, 44
	s_mov_b64 s[46:47], -1
	s_cbranch_scc0 .LBB14_319
; %bb.318:
	v_mov_b32_e32 v2, 0xffff
	v_cndmask_b32_e64 v2, v16, v2, s[4:5]
	global_store_byte v[8:9], v2, off
	s_mov_b64 s[46:47], 0
.LBB14_319:
	s_mov_b64 s[48:49], 0
.LBB14_320:
	s_and_b64 vcc, exec, s[48:49]
	s_cbranch_vccz .LBB14_323
; %bb.321:
	s_cmp_eq_u32 s50, 29
	s_mov_b64 s[46:47], -1
	s_cbranch_scc0 .LBB14_323
; %bb.322:
	global_store_dwordx2 v[8:9], v[4:5], off
	s_mov_b64 s[46:47], 0
.LBB14_323:
	s_mov_b64 s[48:49], 0
.LBB14_324:
	s_and_b64 vcc, exec, s[48:49]
	s_cbranch_vccz .LBB14_336
; %bb.325:
	s_cmp_lt_i32 s50, 27
	s_mov_b64 s[4:5], -1
	s_cbranch_scc1 .LBB14_331
; %bb.326:
	s_cmp_gt_i32 s50, 27
	s_cbranch_scc0 .LBB14_328
; %bb.327:
	v_mov_b32_e32 v2, s53
	s_mov_b64 s[4:5], 0
	global_store_dword v[8:9], v2, off
.LBB14_328:
	s_andn2_b64 vcc, exec, s[4:5]
	s_cbranch_vccnz .LBB14_330
; %bb.329:
	v_mov_b32_e32 v2, s52
	global_store_short v[8:9], v2, off
.LBB14_330:
	s_mov_b64 s[4:5], 0
.LBB14_331:
	s_andn2_b64 vcc, exec, s[4:5]
	s_cbranch_vccnz .LBB14_336
; %bb.332:
	s_andn2_b64 vcc, exec, s[26:27]
	v_mov_b32_e32 v2, 0x80
	s_cbranch_vccnz .LBB14_335
; %bb.333:
	s_or_b64 s[4:5], s[2:3], s[28:29]
	s_andn2_b64 vcc, exec, s[4:5]
	v_mov_b32_e32 v2, 0
	s_cbranch_vccnz .LBB14_335
; %bb.334:
	v_mov_b32_e32 v2, s61
	v_cndmask_b32_e64 v2, v15, v2, s[2:3]
	v_or_b32_e32 v2, v2, v12
.LBB14_335:
	global_store_byte v[8:9], v2, off
.LBB14_336:
	s_mov_b64 s[48:49], 0
.LBB14_337:
	s_mov_b64 s[2:3], 0
	s_and_b64 vcc, exec, s[48:49]
	s_cbranch_vccz .LBB14_359
; %bb.338:
	s_cmp_gt_i32 s50, 22
	s_mov_b64 s[4:5], -1
	s_cbranch_scc0 .LBB14_351
; %bb.339:
	s_cmp_lt_i32 s50, 24
	s_cbranch_scc1 .LBB14_348
; %bb.340:
	s_cmp_gt_i32 s50, 24
	s_cbranch_scc0 .LBB14_345
; %bb.341:
	s_andn2_b64 vcc, exec, s[22:23]
	v_mov_b32_e32 v2, 0x80
	s_cbranch_vccnz .LBB14_344
; %bb.342:
	s_or_b64 s[4:5], s[0:1], s[24:25]
	s_andn2_b64 vcc, exec, s[4:5]
	v_mov_b32_e32 v2, 0
	s_cbranch_vccnz .LBB14_344
; %bb.343:
	v_mov_b32_e32 v2, s59
	v_cndmask_b32_e64 v2, v14, v2, s[0:1]
	v_or_b32_e32 v2, v2, v12
.LBB14_344:
	s_mov_b64 s[4:5], 0
	global_store_byte v[8:9], v2, off
.LBB14_345:
	s_and_b64 vcc, exec, s[4:5]
	s_cbranch_vccz .LBB14_347
; %bb.346:
	s_and_b64 s[0:1], s[20:21], exec
	s_cselect_b32 s4, s58, s57
	s_and_b64 s[0:1], s[18:19], exec
	s_cselect_b32 s0, s60, s4
	v_or_b32_e32 v2, s0, v12
	global_store_byte v[8:9], v2, off
.LBB14_347:
	s_mov_b64 s[4:5], 0
.LBB14_348:
	s_andn2_b64 vcc, exec, s[4:5]
	s_cbranch_vccnz .LBB14_350
; %bb.349:
	s_and_b64 s[0:1], s[16:17], exec
	s_cselect_b32 s4, s55, s54
	s_and_b64 s[0:1], s[14:15], exec
	s_cselect_b32 s0, s56, s4
	v_or_b32_e32 v2, s0, v12
	global_store_byte v[8:9], v2, off
.LBB14_350:
	s_mov_b64 s[4:5], 0
.LBB14_351:
	s_andn2_b64 vcc, exec, s[4:5]
	s_mov_b64 s[0:1], 0
	s_cbranch_vccnz .LBB14_360
; %bb.352:
	s_cmp_gt_i32 s50, 14
	s_mov_b64 s[4:5], -1
	s_cbranch_scc0 .LBB14_356
; %bb.353:
	s_cmp_eq_u32 s50, 15
	s_mov_b64 s[46:47], -1
	s_cbranch_scc0 .LBB14_355
; %bb.354:
	global_store_short v[8:9], v13, off
	s_mov_b64 s[46:47], 0
.LBB14_355:
	s_mov_b64 s[4:5], 0
.LBB14_356:
	s_and_b64 vcc, exec, s[4:5]
	s_cbranch_vccz .LBB14_360
; %bb.357:
	s_cmp_lg_u32 s50, 11
	s_cselect_b64 s[4:5], -1, 0
	s_andn2_b64 s[14:15], s[46:47], exec
	s_and_b64 s[4:5], s[4:5], exec
	s_mov_b64 s[0:1], -1
	s_or_b64 s[46:47], s[14:15], s[4:5]
	s_branch .LBB14_360
.LBB14_358:
	s_mov_b64 s[0:1], 0
	s_mov_b64 s[2:3], -1
	s_mov_b64 s[46:47], s[42:43]
	s_branch .LBB14_360
.LBB14_359:
	s_mov_b64 s[0:1], 0
.LBB14_360:
	s_and_b64 s[50:51], s[2:3], exec
	s_and_b64 s[48:49], s[0:1], exec
	s_andn2_b64 s[0:1], s[42:43], exec
	s_and_b64 s[2:3], s[46:47], exec
	s_or_b64 s[46:47], s[0:1], s[2:3]
.LBB14_361:
	s_or_b64 exec, exec, s[44:45]
	s_andn2_b64 s[0:1], s[42:43], exec
	s_and_b64 s[2:3], s[46:47], exec
	s_and_b64 s[50:51], s[50:51], exec
	;; [unrolled: 1-line block ×3, first 2 shown]
	s_or_b64 s[42:43], s[0:1], s[2:3]
.LBB14_362:
	s_or_b64 exec, exec, s[40:41]
	s_andn2_b64 s[0:1], s[36:37], exec
	s_and_b64 s[2:3], s[42:43], exec
	s_and_b64 s[40:41], s[50:51], exec
	;; [unrolled: 1-line block ×3, first 2 shown]
	s_or_b64 s[36:37], s[0:1], s[2:3]
.LBB14_363:
	s_or_b64 exec, exec, s[38:39]
	s_andn2_b64 s[0:1], s[30:31], exec
	s_and_b64 s[2:3], s[36:37], exec
	s_and_b64 s[40:41], s[40:41], exec
	;; [unrolled: 1-line block ×3, first 2 shown]
	s_or_b64 s[30:31], s[0:1], s[2:3]
	s_or_b64 exec, exec, s[34:35]
	s_mov_b64 s[0:1], 0
	s_and_saveexec_b64 s[2:3], s[30:31]
	s_cbranch_execz .LBB14_110
.LBB14_364:
	s_mov_b64 s[0:1], exec
	s_andn2_b64 s[38:39], s[38:39], exec
	s_trap 2
	s_or_b64 exec, exec, s[2:3]
	s_and_saveexec_b64 s[2:3], s[38:39]
	s_xor_b64 s[2:3], exec, s[2:3]
	s_cbranch_execnz .LBB14_111
.LBB14_365:
	s_or_b64 exec, exec, s[2:3]
	s_and_saveexec_b64 s[2:3], s[40:41]
	s_xor_b64 s[2:3], exec, s[2:3]
	s_cbranch_execz .LBB14_403
.LBB14_366:
	s_sext_i32_i16 s14, s33
	s_cmp_lt_i32 s14, 5
	s_mov_b64 s[4:5], -1
	s_cbranch_scc1 .LBB14_387
; %bb.367:
	s_cmp_lt_i32 s14, 8
	s_cbranch_scc1 .LBB14_377
; %bb.368:
	s_cmp_lt_i32 s14, 9
	s_cbranch_scc1 .LBB14_374
; %bb.369:
	s_cmp_gt_i32 s14, 9
	s_cbranch_scc0 .LBB14_371
; %bb.370:
	v_mov_b32_e32 v2, 0
	v_mov_b32_e32 v3, v2
	s_mov_b64 s[4:5], 0
	global_store_dwordx4 v[8:9], v[0:3], off
.LBB14_371:
	s_andn2_b64 vcc, exec, s[4:5]
	s_cbranch_vccnz .LBB14_373
; %bb.372:
	v_mov_b32_e32 v7, 0
	global_store_dwordx2 v[8:9], v[6:7], off
.LBB14_373:
	s_mov_b64 s[4:5], 0
.LBB14_374:
	s_andn2_b64 vcc, exec, s[4:5]
	s_cbranch_vccnz .LBB14_376
; %bb.375:
	global_store_dword v[8:9], v10, off
.LBB14_376:
	s_mov_b64 s[4:5], 0
.LBB14_377:
	s_andn2_b64 vcc, exec, s[4:5]
	s_cbranch_vccnz .LBB14_386
; %bb.378:
	s_sext_i32_i16 s14, s33
	s_cmp_lt_i32 s14, 6
	s_mov_b64 s[4:5], -1
	s_cbranch_scc1 .LBB14_384
; %bb.379:
	s_cmp_gt_i32 s14, 6
	s_cbranch_scc0 .LBB14_381
; %bb.380:
	s_mov_b64 s[4:5], 0
	global_store_dwordx2 v[8:9], v[0:1], off
.LBB14_381:
	s_andn2_b64 vcc, exec, s[4:5]
	s_cbranch_vccnz .LBB14_383
; %bb.382:
	global_store_dword v[8:9], v6, off
.LBB14_383:
	s_mov_b64 s[4:5], 0
.LBB14_384:
	s_andn2_b64 vcc, exec, s[4:5]
	s_cbranch_vccnz .LBB14_386
; %bb.385:
	global_store_short v[8:9], v10, off
.LBB14_386:
	s_mov_b64 s[4:5], 0
.LBB14_387:
	s_andn2_b64 vcc, exec, s[4:5]
	s_cbranch_vccnz .LBB14_403
; %bb.388:
	s_sext_i32_i16 s14, s33
	s_cmp_lt_i32 s14, 2
	s_mov_b64 s[4:5], -1
	s_cbranch_scc1 .LBB14_398
; %bb.389:
	s_cmp_lt_i32 s14, 3
	s_cbranch_scc1 .LBB14_395
; %bb.390:
	s_cmp_gt_i32 s14, 3
	s_cbranch_scc0 .LBB14_392
; %bb.391:
	s_mov_b64 s[4:5], 0
	global_store_dwordx2 v[8:9], v[4:5], off
.LBB14_392:
	s_andn2_b64 vcc, exec, s[4:5]
	s_cbranch_vccnz .LBB14_394
; %bb.393:
	v_mov_b32_e32 v0, s53
	global_store_dword v[8:9], v0, off
.LBB14_394:
	s_mov_b64 s[4:5], 0
.LBB14_395:
	s_andn2_b64 vcc, exec, s[4:5]
	s_cbranch_vccnz .LBB14_397
; %bb.396:
	v_mov_b32_e32 v0, s52
	global_store_short v[8:9], v0, off
.LBB14_397:
	s_mov_b64 s[4:5], 0
.LBB14_398:
	s_andn2_b64 vcc, exec, s[4:5]
	s_cbranch_vccnz .LBB14_403
; %bb.399:
	s_sext_i32_i16 s4, s33
	s_cmp_gt_i32 s4, 0
	s_mov_b64 s[4:5], -1
	s_cbranch_scc0 .LBB14_401
; %bb.400:
	v_mov_b32_e32 v0, s11
	s_mov_b64 s[4:5], 0
	global_store_byte v[8:9], v0, off
.LBB14_401:
	s_andn2_b64 vcc, exec, s[4:5]
	s_cbranch_vccnz .LBB14_403
; %bb.402:
	v_mov_b32_e32 v0, s11
	global_store_byte v[8:9], v0, off
.LBB14_403:
	s_or_b64 exec, exec, s[2:3]
	s_and_b64 s[0:1], s[0:1], exec
                                        ; implicit-def: $vgpr17
.LBB14_404:
	s_or_saveexec_b64 s[2:3], s[12:13]
	s_mov_b64 s[12:13], 0
                                        ; implicit-def: $vgpr0_vgpr1
	s_xor_b64 exec, exec, s[2:3]
	s_cbranch_execz .LBB14_433
; %bb.405:
	v_mul_lo_u32 v2, s10, v17
	v_mov_b32_e32 v1, s9
	s_and_b32 s18, 0xffff, s33
	s_cmp_lt_i32 s18, 11
	v_ashrrev_i32_e32 v3, 31, v2
	v_add_co_u32_e32 v0, vcc, s8, v2
	v_addc_co_u32_e32 v1, vcc, v1, v3, vcc
	s_cbranch_scc1 .LBB14_436
; %bb.406:
	s_mov_b64 s[14:15], -1
	s_cmp_gt_i32 s18, 25
	s_mov_b64 s[4:5], 0
	s_cbranch_scc0 .LBB14_446
; %bb.407:
	s_cmp_gt_i32 s18, 28
	s_cbranch_scc0 .LBB14_422
; %bb.408:
	s_cmp_gt_i32 s18, 43
	;; [unrolled: 3-line block ×3, first 2 shown]
	s_cbranch_scc0 .LBB14_412
; %bb.410:
	s_mov_b64 s[4:5], -1
	s_mov_b64 s[14:15], 0
	s_cmp_eq_u32 s18, 46
	s_cbranch_scc0 .LBB14_412
; %bb.411:
	s_bfe_i32 s4, s11, 0x80000
	s_sext_i32_i16 s4, s4
	v_cvt_f32_i32_e32 v3, s4
	s_mov_b64 s[4:5], 0
	s_mov_b64 s[12:13], -1
	v_bfe_u32 v4, v3, 16, 1
	v_add_u32_e32 v3, v3, v4
	v_add_u32_e32 v3, 0x7fff, v3
	v_lshrrev_b32_e32 v3, 16, v3
	global_store_dword v[0:1], v3, off
.LBB14_412:
	s_and_b64 vcc, exec, s[14:15]
	s_cbranch_vccz .LBB14_417
; %bb.413:
	s_cmp_eq_u32 s18, 44
	s_mov_b64 s[4:5], -1
	s_cbranch_scc0 .LBB14_417
; %bb.414:
	s_bfe_i32 s4, s11, 0x80000
	s_sext_i32_i16 s4, s4
	v_cvt_f32_i32_e32 v3, s4
	v_mov_b32_e32 v4, 0xff
	v_readfirstlane_b32 s4, v3
	s_bfe_u32 s5, s4, 0x80017
	s_cmpk_eq_i32 s5, 0xff
	s_cbranch_scc1 .LBB14_416
; %bb.415:
	s_bitcmp1_b32 s4, 22
	s_cselect_b64 s[12:13], -1, 0
	s_and_b32 s4, s4, 0x3fffff
	s_or_b32 s4, s5, s4
	s_cmp_lg_u32 s4, 0
	s_cselect_b64 s[4:5], -1, 0
	s_and_b64 s[4:5], s[12:13], s[4:5]
	v_lshrrev_b32_e32 v3, 23, v3
	v_cndmask_b32_e64 v4, 0, 1, s[4:5]
	v_add_u32_e32 v4, v3, v4
.LBB14_416:
	s_mov_b64 s[4:5], 0
	s_mov_b64 s[12:13], -1
	global_store_byte v[0:1], v4, off
.LBB14_417:
	s_mov_b64 s[14:15], 0
.LBB14_418:
	s_and_b64 vcc, exec, s[14:15]
	s_cbranch_vccz .LBB14_421
; %bb.419:
	s_cmp_eq_u32 s18, 29
	s_mov_b64 s[4:5], -1
	s_cbranch_scc0 .LBB14_421
; %bb.420:
	v_mov_b32_e32 v3, s11
	v_bfe_i32 v3, v3, 0, 8
	v_ashrrev_i32_e32 v4, 31, v3
	global_store_dwordx2 v[0:1], v[3:4], off
	s_mov_b64 s[4:5], 0
	s_mov_b64 s[12:13], -1
.LBB14_421:
	s_mov_b64 s[14:15], 0
.LBB14_422:
	s_and_b64 vcc, exec, s[14:15]
	s_cbranch_vccz .LBB14_445
; %bb.423:
	s_cmp_lt_i32 s18, 27
	s_mov_b64 s[12:13], -1
	s_cbranch_scc1 .LBB14_429
; %bb.424:
	s_cmp_gt_i32 s18, 27
	s_cbranch_scc0 .LBB14_426
; %bb.425:
	s_sext_i32_i8 s12, s11
	v_mov_b32_e32 v3, s12
	s_mov_b64 s[12:13], 0
	global_store_dword v[0:1], v3, off
.LBB14_426:
	s_andn2_b64 vcc, exec, s[12:13]
	s_cbranch_vccnz .LBB14_428
; %bb.427:
	s_bfe_i32 s12, s11, 0x80000
	v_mov_b32_e32 v3, s12
	global_store_short v[0:1], v3, off
.LBB14_428:
	s_mov_b64 s[12:13], 0
.LBB14_429:
	s_andn2_b64 vcc, exec, s[12:13]
	s_cbranch_vccnz .LBB14_444
; %bb.430:
	s_bfe_i32 s12, s11, 0x80000
	s_sext_i32_i16 s12, s12
	v_cvt_f32_i32_e32 v3, s12
	v_mov_b32_e32 v4, 0x80
	v_readfirstlane_b32 s16, v3
	s_and_b32 s12, s16, 0x7fffffff
	s_cmp_gt_u32 s12, 0x437fffff
	s_cbranch_scc1 .LBB14_443
; %bb.431:
	s_cmp_gt_u32 s12, 0x3bffffff
	s_cbranch_scc0 .LBB14_438
; %bb.432:
	s_bfe_u32 s12, s16, 0x10014
	s_add_i32 s12, s16, s12
	s_add_i32 s12, s12, 0x487ffff
	s_lshr_b32 s17, s12, 20
	s_mov_b64 s[14:15], 0
	s_mov_b64 s[12:13], -1
	s_branch .LBB14_439
.LBB14_433:
	s_or_b64 exec, exec, s[2:3]
	s_and_saveexec_b64 s[2:3], s[0:1]
	s_cbranch_execz .LBB14_834
.LBB14_434:
	; divergent unreachable
	s_or_b64 exec, exec, s[2:3]
	s_and_saveexec_b64 s[0:1], s[6:7]
	s_xor_b64 s[0:1], exec, s[0:1]
	s_cbranch_execnz .LBB14_835
.LBB14_435:
	s_or_b64 exec, exec, s[0:1]
	s_and_saveexec_b64 s[0:1], s[12:13]
	s_cbranch_execnz .LBB14_836
	s_branch .LBB14_873
.LBB14_436:
	s_mov_b64 s[4:5], s[0:1]
	s_cbranch_execnz .LBB14_496
.LBB14_437:
	s_andn2_b64 vcc, exec, s[12:13]
	s_cbranch_vccz .LBB14_534
	s_branch .LBB14_832
.LBB14_438:
	s_mov_b64 s[14:15], -1
	s_mov_b64 s[12:13], 0
                                        ; implicit-def: $sgpr17
.LBB14_439:
	s_andn2_b64 vcc, exec, s[14:15]
	v_mov_b32_e32 v3, s17
	s_cbranch_vccnz .LBB14_441
; %bb.440:
	v_mov_b32_e32 v3, 0x46000000
	v_add_f32_e64 v3, |s16|, v3
	v_and_b32_e32 v3, 0xff, v3
	v_cmp_ne_u32_e64 s[12:13], 0, v3
.LBB14_441:
	s_andn2_b64 vcc, exec, s[12:13]
	v_mov_b32_e32 v4, 0
	s_cbranch_vccnz .LBB14_443
; %bb.442:
	s_lshr_b32 s12, s16, 24
	s_and_b32 s12, s12, 0x80
	v_or_b32_e32 v4, s12, v3
.LBB14_443:
	global_store_byte v[0:1], v4, off
.LBB14_444:
	s_mov_b64 s[12:13], -1
.LBB14_445:
	s_mov_b64 s[14:15], 0
.LBB14_446:
	s_and_b64 vcc, exec, s[14:15]
	s_cbranch_vccz .LBB14_492
; %bb.447:
	s_cmp_gt_i32 s18, 22
	s_mov_b64 s[6:7], -1
	s_cbranch_scc0 .LBB14_485
; %bb.448:
	s_cmp_lt_i32 s18, 24
	s_cbranch_scc1 .LBB14_472
; %bb.449:
	s_cmp_gt_i32 s18, 24
	s_cbranch_scc0 .LBB14_459
; %bb.450:
	s_bfe_i32 s6, s11, 0x80000
	s_sext_i32_i16 s6, s6
	v_cvt_f32_i32_e32 v3, s6
	v_mov_b32_e32 v4, 0x80
	v_readfirstlane_b32 s14, v3
	s_and_b32 s6, s14, 0x7fffffff
	s_cmp_gt_u32 s6, 0x477fffff
	s_cbranch_scc1 .LBB14_458
; %bb.451:
	s_cmp_gt_u32 s6, 0x37ffffff
	s_cbranch_scc0 .LBB14_453
; %bb.452:
	s_bfe_u32 s6, s14, 0x10015
	s_add_i32 s6, s14, s6
	s_add_i32 s6, s6, 0x88fffff
	s_lshr_b32 s15, s6, 21
	s_mov_b64 s[12:13], 0
	s_mov_b64 s[6:7], -1
	s_branch .LBB14_454
.LBB14_453:
	s_mov_b64 s[12:13], -1
	s_mov_b64 s[6:7], 0
                                        ; implicit-def: $sgpr15
.LBB14_454:
	s_andn2_b64 vcc, exec, s[12:13]
	v_mov_b32_e32 v3, s15
	s_cbranch_vccnz .LBB14_456
; %bb.455:
	v_mov_b32_e32 v3, 0x42800000
	v_add_f32_e64 v3, |s14|, v3
	v_and_b32_e32 v3, 0xff, v3
	v_cmp_ne_u32_e64 s[6:7], 0, v3
.LBB14_456:
	s_andn2_b64 vcc, exec, s[6:7]
	v_mov_b32_e32 v4, 0
	s_cbranch_vccnz .LBB14_458
; %bb.457:
	s_lshr_b32 s6, s14, 24
	s_and_b32 s6, s6, 0x80
	v_or_b32_e32 v4, s6, v3
.LBB14_458:
	s_mov_b64 s[6:7], 0
	global_store_byte v[0:1], v4, off
.LBB14_459:
	s_and_b64 vcc, exec, s[6:7]
	s_cbranch_vccz .LBB14_471
; %bb.460:
	s_bfe_i32 s6, s11, 0x80000
	s_sext_i32_i16 s6, s6
	v_cvt_f32_i32_e32 v3, s6
	v_readfirstlane_b32 s12, v3
	s_and_b32 s13, s12, 0x7fffffff
	s_cmp_lt_u32 s13, 0x43f00000
	s_cbranch_scc0 .LBB14_463
; %bb.461:
	s_cmp_gt_u32 s13, 0x3c7fffff
	s_cbranch_scc0 .LBB14_464
; %bb.462:
	s_bfe_u32 s6, s12, 0x10014
	s_add_i32 s6, s12, s6
	s_add_i32 s6, s6, 0x407ffff
	s_lshr_b32 s7, s6, 20
	s_and_b32 s6, s6, 0xff00000
	s_cmp_lg_u32 s6, 0x7f00000
	s_cselect_b32 s14, s7, 0x7e
	s_mov_b64 s[6:7], 0
	s_branch .LBB14_465
.LBB14_463:
	s_mov_b64 s[6:7], -1
                                        ; implicit-def: $vgpr4
	s_branch .LBB14_468
.LBB14_464:
	s_mov_b64 s[6:7], -1
                                        ; implicit-def: $sgpr14
.LBB14_465:
	s_andn2_b64 vcc, exec, s[6:7]
	v_mov_b32_e32 v4, s14
	s_cbranch_vccnz .LBB14_467
; %bb.466:
	s_mov_b32 s6, 0x46800000
	v_add_f32_e64 v4, |v3|, s6
.LBB14_467:
	s_mov_b64 s[6:7], 0
.LBB14_468:
	s_andn2_b64 vcc, exec, s[6:7]
	s_cbranch_vccnz .LBB14_470
; %bb.469:
	s_cmp_gt_u32 s13, 0x7f800000
	s_movk_i32 s6, 0x7f
	s_cselect_b32 s6, s6, 0x7e
	v_mov_b32_e32 v4, s6
.LBB14_470:
	s_lshr_b32 s6, s12, 24
	s_and_b32 s6, s6, 0x80
	v_or_b32_e32 v3, s6, v4
	global_store_byte v[0:1], v3, off
.LBB14_471:
	s_mov_b64 s[6:7], 0
.LBB14_472:
	s_andn2_b64 vcc, exec, s[6:7]
	s_cbranch_vccnz .LBB14_484
; %bb.473:
	s_bfe_i32 s6, s11, 0x80000
	s_sext_i32_i16 s6, s6
	v_cvt_f32_i32_e32 v3, s6
	v_readfirstlane_b32 s12, v3
	s_and_b32 s13, s12, 0x7fffffff
	s_cmp_lt_u32 s13, 0x47800000
	s_cbranch_scc0 .LBB14_476
; %bb.474:
	s_cmp_gt_u32 s13, 0x387fffff
	s_cbranch_scc0 .LBB14_477
; %bb.475:
	s_bfe_u32 s6, s12, 0x10015
	s_add_i32 s6, s12, s6
	s_add_i32 s6, s6, 0x80fffff
	s_lshr_b32 s14, s6, 21
	s_mov_b64 s[6:7], 0
	s_branch .LBB14_478
.LBB14_476:
	s_mov_b64 s[6:7], -1
                                        ; implicit-def: $vgpr4
	s_branch .LBB14_481
.LBB14_477:
	s_mov_b64 s[6:7], -1
                                        ; implicit-def: $sgpr14
.LBB14_478:
	s_andn2_b64 vcc, exec, s[6:7]
	v_mov_b32_e32 v4, s14
	s_cbranch_vccnz .LBB14_480
; %bb.479:
	s_mov_b32 s6, 0x43000000
	v_add_f32_e64 v4, |v3|, s6
.LBB14_480:
	s_mov_b64 s[6:7], 0
.LBB14_481:
	s_andn2_b64 vcc, exec, s[6:7]
	s_cbranch_vccnz .LBB14_483
; %bb.482:
	s_cmp_gt_u32 s13, 0x7f800000
	s_movk_i32 s6, 0x7f
	s_cselect_b32 s6, s6, 0x7c
	v_mov_b32_e32 v4, s6
.LBB14_483:
	s_lshr_b32 s6, s12, 24
	s_and_b32 s6, s6, 0x80
	v_or_b32_e32 v3, s6, v4
	global_store_byte v[0:1], v3, off
.LBB14_484:
	s_mov_b64 s[6:7], 0
	s_mov_b64 s[12:13], -1
.LBB14_485:
	s_andn2_b64 vcc, exec, s[6:7]
	s_mov_b64 s[6:7], 0
	s_cbranch_vccnz .LBB14_492
; %bb.486:
	s_cmp_gt_i32 s18, 14
	s_mov_b64 s[14:15], -1
	s_cbranch_scc0 .LBB14_490
; %bb.487:
	s_cmp_eq_u32 s18, 15
	s_mov_b64 s[4:5], -1
	s_cbranch_scc0 .LBB14_489
; %bb.488:
	s_bfe_i32 s4, s11, 0x80000
	s_sext_i32_i16 s4, s4
	v_cvt_f32_i32_e32 v3, s4
	s_mov_b64 s[4:5], 0
	s_mov_b64 s[12:13], -1
	v_bfe_u32 v4, v3, 16, 1
	v_add_u32_e32 v3, v3, v4
	v_add_u32_e32 v3, 0x7fff, v3
	global_store_short_d16_hi v[0:1], v3, off
.LBB14_489:
	s_mov_b64 s[14:15], 0
.LBB14_490:
	s_and_b64 vcc, exec, s[14:15]
	s_cbranch_vccz .LBB14_492
; %bb.491:
	s_cmp_lg_u32 s18, 11
	s_mov_b64 s[6:7], -1
	s_cselect_b64 s[4:5], -1, 0
.LBB14_492:
	s_and_b64 vcc, exec, s[4:5]
	s_mov_b64 s[4:5], s[0:1]
	s_cbranch_vccnz .LBB14_564
; %bb.493:
	s_andn2_b64 vcc, exec, s[6:7]
	s_cbranch_vccnz .LBB14_495
.LBB14_494:
	s_and_b32 s6, s11, 0xff
	s_cmp_lg_u32 s6, 0
	s_cselect_b64 s[6:7], -1, 0
	v_cndmask_b32_e64 v3, 0, 1, s[6:7]
	s_mov_b64 s[12:13], -1
	global_store_byte v[0:1], v3, off
.LBB14_495:
	s_branch .LBB14_437
.LBB14_496:
	s_cmp_lt_i32 s18, 5
	s_mov_b64 s[6:7], -1
	s_cbranch_scc1 .LBB14_517
; %bb.497:
	s_cmp_lt_i32 s18, 8
	s_cbranch_scc1 .LBB14_507
; %bb.498:
	s_cmp_lt_i32 s18, 9
	s_cbranch_scc1 .LBB14_504
; %bb.499:
	s_cmp_gt_i32 s18, 9
	s_cbranch_scc0 .LBB14_501
; %bb.500:
	s_bfe_i32 s6, s11, 0x80000
	s_sext_i32_i16 s6, s6
	v_cvt_f64_i32_e32 v[3:4], s6
	v_mov_b32_e32 v5, 0
	v_mov_b32_e32 v6, v5
	s_mov_b64 s[6:7], 0
	global_store_dwordx4 v[0:1], v[3:6], off
.LBB14_501:
	s_andn2_b64 vcc, exec, s[6:7]
	s_cbranch_vccnz .LBB14_503
; %bb.502:
	s_bfe_i32 s6, s11, 0x80000
	s_sext_i32_i16 s6, s6
	v_cvt_f32_i32_e32 v3, s6
	v_mov_b32_e32 v4, 0
	global_store_dwordx2 v[0:1], v[3:4], off
.LBB14_503:
	s_mov_b64 s[6:7], 0
.LBB14_504:
	s_andn2_b64 vcc, exec, s[6:7]
	s_cbranch_vccnz .LBB14_506
; %bb.505:
	s_bfe_i32 s6, s11, 0x80000
	v_cvt_f16_i16_e32 v3, s6
	global_store_dword v[0:1], v3, off
.LBB14_506:
	s_mov_b64 s[6:7], 0
.LBB14_507:
	s_andn2_b64 vcc, exec, s[6:7]
	s_cbranch_vccnz .LBB14_516
; %bb.508:
	s_cmp_lt_i32 s18, 6
	s_mov_b64 s[6:7], -1
	s_cbranch_scc1 .LBB14_514
; %bb.509:
	s_cmp_gt_i32 s18, 6
	s_cbranch_scc0 .LBB14_511
; %bb.510:
	s_bfe_i32 s6, s11, 0x80000
	s_sext_i32_i16 s6, s6
	v_cvt_f64_i32_e32 v[3:4], s6
	s_mov_b64 s[6:7], 0
	global_store_dwordx2 v[0:1], v[3:4], off
.LBB14_511:
	s_andn2_b64 vcc, exec, s[6:7]
	s_cbranch_vccnz .LBB14_513
; %bb.512:
	s_bfe_i32 s6, s11, 0x80000
	s_sext_i32_i16 s6, s6
	v_cvt_f32_i32_e32 v3, s6
	global_store_dword v[0:1], v3, off
.LBB14_513:
	s_mov_b64 s[6:7], 0
.LBB14_514:
	s_andn2_b64 vcc, exec, s[6:7]
	s_cbranch_vccnz .LBB14_516
; %bb.515:
	s_bfe_i32 s6, s11, 0x80000
	v_cvt_f16_i16_e32 v3, s6
	global_store_short v[0:1], v3, off
.LBB14_516:
	s_mov_b64 s[6:7], 0
.LBB14_517:
	s_andn2_b64 vcc, exec, s[6:7]
	s_cbranch_vccnz .LBB14_533
; %bb.518:
	s_cmp_lt_i32 s18, 2
	s_mov_b64 s[6:7], -1
	s_cbranch_scc1 .LBB14_528
; %bb.519:
	s_cmp_lt_i32 s18, 3
	s_cbranch_scc1 .LBB14_525
; %bb.520:
	s_cmp_gt_i32 s18, 3
	s_cbranch_scc0 .LBB14_522
; %bb.521:
	v_mov_b32_e32 v3, s11
	v_bfe_i32 v3, v3, 0, 8
	v_ashrrev_i32_e32 v4, 31, v3
	global_store_dwordx2 v[0:1], v[3:4], off
	s_mov_b64 s[6:7], 0
.LBB14_522:
	s_andn2_b64 vcc, exec, s[6:7]
	s_cbranch_vccnz .LBB14_524
; %bb.523:
	s_sext_i32_i8 s6, s11
	v_mov_b32_e32 v3, s6
	global_store_dword v[0:1], v3, off
.LBB14_524:
	s_mov_b64 s[6:7], 0
.LBB14_525:
	s_andn2_b64 vcc, exec, s[6:7]
	s_cbranch_vccnz .LBB14_527
; %bb.526:
	s_bfe_i32 s6, s11, 0x80000
	v_mov_b32_e32 v3, s6
	global_store_short v[0:1], v3, off
.LBB14_527:
	s_mov_b64 s[6:7], 0
.LBB14_528:
	s_andn2_b64 vcc, exec, s[6:7]
	s_cbranch_vccnz .LBB14_533
; %bb.529:
	s_cmp_gt_i32 s18, 0
	s_mov_b64 s[6:7], -1
	s_cbranch_scc0 .LBB14_531
; %bb.530:
	v_mov_b32_e32 v3, s11
	global_store_byte v[0:1], v3, off
	s_mov_b64 s[6:7], 0
.LBB14_531:
	s_andn2_b64 vcc, exec, s[6:7]
	s_cbranch_vccnz .LBB14_533
; %bb.532:
	v_mov_b32_e32 v3, s11
	global_store_byte v[0:1], v3, off
.LBB14_533:
.LBB14_534:
	s_lshl_b32 s10, s10, 7
	v_add_u32_e32 v2, s10, v2
	v_ashrrev_i32_e32 v1, 31, v2
	v_mov_b32_e32 v3, s9
	v_add_co_u32_e32 v0, vcc, s8, v2
	s_cmp_lt_i32 s18, 11
	v_addc_co_u32_e32 v1, vcc, v3, v1, vcc
	s_cbranch_scc1 .LBB14_562
; %bb.535:
	s_mov_b64 s[16:17], -1
	s_mov_b64 s[12:13], 0
	s_cmp_gt_i32 s18, 25
	s_mov_b64 s[14:15], 0
	s_mov_b64 s[6:7], 0
	s_cbranch_scc0 .LBB14_573
; %bb.536:
	s_cmp_gt_i32 s18, 28
	s_cbranch_scc0 .LBB14_551
; %bb.537:
	s_cmp_gt_i32 s18, 43
	;; [unrolled: 3-line block ×3, first 2 shown]
	s_cbranch_scc0 .LBB14_541
; %bb.539:
	s_mov_b64 s[6:7], -1
	s_mov_b64 s[16:17], 0
	s_cmp_eq_u32 s18, 46
	s_cbranch_scc0 .LBB14_541
; %bb.540:
	s_bfe_i32 s6, s11, 0x80000
	s_sext_i32_i16 s6, s6
	v_cvt_f32_i32_e32 v3, s6
	s_mov_b64 s[6:7], 0
	s_mov_b64 s[14:15], -1
	v_bfe_u32 v4, v3, 16, 1
	v_add_u32_e32 v3, v3, v4
	v_add_u32_e32 v3, 0x7fff, v3
	v_lshrrev_b32_e32 v3, 16, v3
	global_store_dword v[0:1], v3, off
.LBB14_541:
	s_and_b64 vcc, exec, s[16:17]
	s_cbranch_vccz .LBB14_546
; %bb.542:
	s_cmp_eq_u32 s18, 44
	s_mov_b64 s[6:7], -1
	s_cbranch_scc0 .LBB14_546
; %bb.543:
	s_bfe_i32 s6, s11, 0x80000
	s_sext_i32_i16 s6, s6
	v_cvt_f32_i32_e32 v3, s6
	v_mov_b32_e32 v4, 0xff
	v_readfirstlane_b32 s6, v3
	s_bfe_u32 s7, s6, 0x80017
	s_cmpk_eq_i32 s7, 0xff
	s_cbranch_scc1 .LBB14_545
; %bb.544:
	s_bitcmp1_b32 s6, 22
	s_cselect_b64 s[14:15], -1, 0
	s_and_b32 s6, s6, 0x3fffff
	s_or_b32 s6, s7, s6
	s_cmp_lg_u32 s6, 0
	s_cselect_b64 s[6:7], -1, 0
	s_and_b64 s[6:7], s[14:15], s[6:7]
	v_lshrrev_b32_e32 v3, 23, v3
	v_cndmask_b32_e64 v4, 0, 1, s[6:7]
	v_add_u32_e32 v4, v3, v4
.LBB14_545:
	s_mov_b64 s[6:7], 0
	s_mov_b64 s[14:15], -1
	global_store_byte v[0:1], v4, off
.LBB14_546:
	s_mov_b64 s[16:17], 0
.LBB14_547:
	s_and_b64 vcc, exec, s[16:17]
	s_cbranch_vccz .LBB14_550
; %bb.548:
	s_cmp_eq_u32 s18, 29
	s_mov_b64 s[6:7], -1
	s_cbranch_scc0 .LBB14_550
; %bb.549:
	v_mov_b32_e32 v3, s11
	v_bfe_i32 v3, v3, 0, 8
	v_ashrrev_i32_e32 v4, 31, v3
	global_store_dwordx2 v[0:1], v[3:4], off
	s_mov_b64 s[6:7], 0
	s_mov_b64 s[14:15], -1
.LBB14_550:
	s_mov_b64 s[16:17], 0
.LBB14_551:
	s_and_b64 vcc, exec, s[16:17]
	s_cbranch_vccz .LBB14_572
; %bb.552:
	s_cmp_lt_i32 s18, 27
	s_mov_b64 s[14:15], -1
	s_cbranch_scc1 .LBB14_558
; %bb.553:
	s_cmp_gt_i32 s18, 27
	s_cbranch_scc0 .LBB14_555
; %bb.554:
	s_sext_i32_i8 s14, s11
	v_mov_b32_e32 v3, s14
	s_mov_b64 s[14:15], 0
	global_store_dword v[0:1], v3, off
.LBB14_555:
	s_andn2_b64 vcc, exec, s[14:15]
	s_cbranch_vccnz .LBB14_557
; %bb.556:
	s_bfe_i32 s14, s11, 0x80000
	v_mov_b32_e32 v3, s14
	global_store_short v[0:1], v3, off
.LBB14_557:
	s_mov_b64 s[14:15], 0
.LBB14_558:
	s_andn2_b64 vcc, exec, s[14:15]
	s_cbranch_vccnz .LBB14_571
; %bb.559:
	s_bfe_i32 s14, s11, 0x80000
	s_sext_i32_i16 s14, s14
	v_cvt_f32_i32_e32 v3, s14
	v_mov_b32_e32 v4, 0x80
	v_readfirstlane_b32 s19, v3
	s_and_b32 s14, s19, 0x7fffffff
	s_cmp_gt_u32 s14, 0x437fffff
	s_cbranch_scc1 .LBB14_570
; %bb.560:
	s_cmp_gt_u32 s14, 0x3bffffff
	s_cbranch_scc0 .LBB14_565
; %bb.561:
	s_bfe_u32 s14, s19, 0x10014
	s_add_i32 s14, s19, s14
	s_add_i32 s14, s14, 0x487ffff
	s_lshr_b32 s20, s14, 20
	s_mov_b64 s[16:17], 0
	s_mov_b64 s[14:15], -1
	s_branch .LBB14_566
.LBB14_562:
	s_mov_b64 s[14:15], 0
	s_cbranch_execnz .LBB14_623
.LBB14_563:
	s_andn2_b64 vcc, exec, s[14:15]
	s_cbranch_vccz .LBB14_661
	s_branch .LBB14_832
.LBB14_564:
	s_or_b64 s[4:5], s[0:1], exec
	s_trap 2
	s_cbranch_execz .LBB14_494
	s_branch .LBB14_495
.LBB14_565:
	s_mov_b64 s[16:17], -1
	s_mov_b64 s[14:15], 0
                                        ; implicit-def: $sgpr20
.LBB14_566:
	s_andn2_b64 vcc, exec, s[16:17]
	v_mov_b32_e32 v3, s20
	s_cbranch_vccnz .LBB14_568
; %bb.567:
	v_mov_b32_e32 v3, 0x46000000
	v_add_f32_e64 v3, |s19|, v3
	v_and_b32_e32 v3, 0xff, v3
	v_cmp_ne_u32_e64 s[14:15], 0, v3
.LBB14_568:
	s_andn2_b64 vcc, exec, s[14:15]
	v_mov_b32_e32 v4, 0
	s_cbranch_vccnz .LBB14_570
; %bb.569:
	s_lshr_b32 s14, s19, 24
	s_and_b32 s14, s14, 0x80
	v_or_b32_e32 v4, s14, v3
.LBB14_570:
	global_store_byte v[0:1], v4, off
.LBB14_571:
	s_mov_b64 s[14:15], -1
.LBB14_572:
	s_mov_b64 s[16:17], 0
.LBB14_573:
	s_and_b64 vcc, exec, s[16:17]
	s_cbranch_vccz .LBB14_619
; %bb.574:
	s_cmp_gt_i32 s18, 22
	s_mov_b64 s[12:13], -1
	s_cbranch_scc0 .LBB14_612
; %bb.575:
	s_cmp_lt_i32 s18, 24
	s_cbranch_scc1 .LBB14_599
; %bb.576:
	s_cmp_gt_i32 s18, 24
	s_cbranch_scc0 .LBB14_586
; %bb.577:
	s_bfe_i32 s12, s11, 0x80000
	s_sext_i32_i16 s12, s12
	v_cvt_f32_i32_e32 v3, s12
	v_mov_b32_e32 v4, 0x80
	v_readfirstlane_b32 s16, v3
	s_and_b32 s12, s16, 0x7fffffff
	s_cmp_gt_u32 s12, 0x477fffff
	s_cbranch_scc1 .LBB14_585
; %bb.578:
	s_cmp_gt_u32 s12, 0x37ffffff
	s_cbranch_scc0 .LBB14_580
; %bb.579:
	s_bfe_u32 s12, s16, 0x10015
	s_add_i32 s12, s16, s12
	s_add_i32 s12, s12, 0x88fffff
	s_lshr_b32 s17, s12, 21
	s_mov_b64 s[14:15], 0
	s_mov_b64 s[12:13], -1
	s_branch .LBB14_581
.LBB14_580:
	s_mov_b64 s[14:15], -1
	s_mov_b64 s[12:13], 0
                                        ; implicit-def: $sgpr17
.LBB14_581:
	s_andn2_b64 vcc, exec, s[14:15]
	v_mov_b32_e32 v3, s17
	s_cbranch_vccnz .LBB14_583
; %bb.582:
	v_mov_b32_e32 v3, 0x42800000
	v_add_f32_e64 v3, |s16|, v3
	v_and_b32_e32 v3, 0xff, v3
	v_cmp_ne_u32_e64 s[12:13], 0, v3
.LBB14_583:
	s_andn2_b64 vcc, exec, s[12:13]
	v_mov_b32_e32 v4, 0
	s_cbranch_vccnz .LBB14_585
; %bb.584:
	s_lshr_b32 s12, s16, 24
	s_and_b32 s12, s12, 0x80
	v_or_b32_e32 v4, s12, v3
.LBB14_585:
	s_mov_b64 s[12:13], 0
	global_store_byte v[0:1], v4, off
.LBB14_586:
	s_and_b64 vcc, exec, s[12:13]
	s_cbranch_vccz .LBB14_598
; %bb.587:
	s_bfe_i32 s12, s11, 0x80000
	s_sext_i32_i16 s12, s12
	v_cvt_f32_i32_e32 v3, s12
	v_readfirstlane_b32 s14, v3
	s_and_b32 s15, s14, 0x7fffffff
	s_cmp_lt_u32 s15, 0x43f00000
	s_cbranch_scc0 .LBB14_590
; %bb.588:
	s_cmp_gt_u32 s15, 0x3c7fffff
	s_cbranch_scc0 .LBB14_591
; %bb.589:
	s_bfe_u32 s12, s14, 0x10014
	s_add_i32 s12, s14, s12
	s_add_i32 s12, s12, 0x407ffff
	s_lshr_b32 s13, s12, 20
	s_and_b32 s12, s12, 0xff00000
	s_cmp_lg_u32 s12, 0x7f00000
	s_cselect_b32 s16, s13, 0x7e
	s_mov_b64 s[12:13], 0
	s_branch .LBB14_592
.LBB14_590:
	s_mov_b64 s[12:13], -1
                                        ; implicit-def: $vgpr4
	s_branch .LBB14_595
.LBB14_591:
	s_mov_b64 s[12:13], -1
                                        ; implicit-def: $sgpr16
.LBB14_592:
	s_andn2_b64 vcc, exec, s[12:13]
	v_mov_b32_e32 v4, s16
	s_cbranch_vccnz .LBB14_594
; %bb.593:
	s_mov_b32 s12, 0x46800000
	v_add_f32_e64 v4, |v3|, s12
.LBB14_594:
	s_mov_b64 s[12:13], 0
.LBB14_595:
	s_andn2_b64 vcc, exec, s[12:13]
	s_cbranch_vccnz .LBB14_597
; %bb.596:
	s_cmp_gt_u32 s15, 0x7f800000
	s_movk_i32 s12, 0x7f
	s_cselect_b32 s12, s12, 0x7e
	v_mov_b32_e32 v4, s12
.LBB14_597:
	s_lshr_b32 s12, s14, 24
	s_and_b32 s12, s12, 0x80
	v_or_b32_e32 v3, s12, v4
	global_store_byte v[0:1], v3, off
.LBB14_598:
	s_mov_b64 s[12:13], 0
.LBB14_599:
	s_andn2_b64 vcc, exec, s[12:13]
	s_cbranch_vccnz .LBB14_611
; %bb.600:
	s_bfe_i32 s12, s11, 0x80000
	s_sext_i32_i16 s12, s12
	v_cvt_f32_i32_e32 v3, s12
	v_readfirstlane_b32 s14, v3
	s_and_b32 s15, s14, 0x7fffffff
	s_cmp_lt_u32 s15, 0x47800000
	s_cbranch_scc0 .LBB14_603
; %bb.601:
	s_cmp_gt_u32 s15, 0x387fffff
	s_cbranch_scc0 .LBB14_604
; %bb.602:
	s_bfe_u32 s12, s14, 0x10015
	s_add_i32 s12, s14, s12
	s_add_i32 s12, s12, 0x80fffff
	s_lshr_b32 s16, s12, 21
	s_mov_b64 s[12:13], 0
	s_branch .LBB14_605
.LBB14_603:
	s_mov_b64 s[12:13], -1
                                        ; implicit-def: $vgpr4
	s_branch .LBB14_608
.LBB14_604:
	s_mov_b64 s[12:13], -1
                                        ; implicit-def: $sgpr16
.LBB14_605:
	s_andn2_b64 vcc, exec, s[12:13]
	v_mov_b32_e32 v4, s16
	s_cbranch_vccnz .LBB14_607
; %bb.606:
	s_mov_b32 s12, 0x43000000
	v_add_f32_e64 v4, |v3|, s12
.LBB14_607:
	s_mov_b64 s[12:13], 0
.LBB14_608:
	s_andn2_b64 vcc, exec, s[12:13]
	s_cbranch_vccnz .LBB14_610
; %bb.609:
	s_cmp_gt_u32 s15, 0x7f800000
	s_movk_i32 s12, 0x7f
	s_cselect_b32 s12, s12, 0x7c
	v_mov_b32_e32 v4, s12
.LBB14_610:
	s_lshr_b32 s12, s14, 24
	s_and_b32 s12, s12, 0x80
	v_or_b32_e32 v3, s12, v4
	global_store_byte v[0:1], v3, off
.LBB14_611:
	s_mov_b64 s[12:13], 0
	s_mov_b64 s[14:15], -1
.LBB14_612:
	s_andn2_b64 vcc, exec, s[12:13]
	s_mov_b64 s[12:13], 0
	s_cbranch_vccnz .LBB14_619
; %bb.613:
	s_cmp_gt_i32 s18, 14
	s_mov_b64 s[16:17], -1
	s_cbranch_scc0 .LBB14_617
; %bb.614:
	s_cmp_eq_u32 s18, 15
	s_mov_b64 s[6:7], -1
	s_cbranch_scc0 .LBB14_616
; %bb.615:
	s_bfe_i32 s6, s11, 0x80000
	s_sext_i32_i16 s6, s6
	v_cvt_f32_i32_e32 v3, s6
	s_mov_b64 s[6:7], 0
	s_mov_b64 s[14:15], -1
	v_bfe_u32 v4, v3, 16, 1
	v_add_u32_e32 v3, v3, v4
	v_add_u32_e32 v3, 0x7fff, v3
	global_store_short_d16_hi v[0:1], v3, off
.LBB14_616:
	s_mov_b64 s[16:17], 0
.LBB14_617:
	s_and_b64 vcc, exec, s[16:17]
	s_cbranch_vccz .LBB14_619
; %bb.618:
	s_cmp_lg_u32 s18, 11
	s_mov_b64 s[12:13], -1
	s_cselect_b64 s[6:7], -1, 0
.LBB14_619:
	s_and_b64 vcc, exec, s[6:7]
	s_cbranch_vccnz .LBB14_721
; %bb.620:
	s_andn2_b64 vcc, exec, s[12:13]
	s_cbranch_vccnz .LBB14_622
.LBB14_621:
	s_and_b32 s6, s11, 0xff
	s_cmp_lg_u32 s6, 0
	s_cselect_b64 s[6:7], -1, 0
	v_cndmask_b32_e64 v3, 0, 1, s[6:7]
	s_mov_b64 s[14:15], -1
	global_store_byte v[0:1], v3, off
.LBB14_622:
	s_branch .LBB14_563
.LBB14_623:
	s_cmp_lt_i32 s18, 5
	s_mov_b64 s[6:7], -1
	s_cbranch_scc1 .LBB14_644
; %bb.624:
	s_cmp_lt_i32 s18, 8
	s_cbranch_scc1 .LBB14_634
; %bb.625:
	s_cmp_lt_i32 s18, 9
	s_cbranch_scc1 .LBB14_631
; %bb.626:
	s_cmp_gt_i32 s18, 9
	s_cbranch_scc0 .LBB14_628
; %bb.627:
	s_bfe_i32 s6, s11, 0x80000
	s_sext_i32_i16 s6, s6
	v_cvt_f64_i32_e32 v[3:4], s6
	v_mov_b32_e32 v5, 0
	v_mov_b32_e32 v6, v5
	s_mov_b64 s[6:7], 0
	global_store_dwordx4 v[0:1], v[3:6], off
.LBB14_628:
	s_andn2_b64 vcc, exec, s[6:7]
	s_cbranch_vccnz .LBB14_630
; %bb.629:
	s_bfe_i32 s6, s11, 0x80000
	s_sext_i32_i16 s6, s6
	v_cvt_f32_i32_e32 v3, s6
	v_mov_b32_e32 v4, 0
	global_store_dwordx2 v[0:1], v[3:4], off
.LBB14_630:
	s_mov_b64 s[6:7], 0
.LBB14_631:
	s_andn2_b64 vcc, exec, s[6:7]
	s_cbranch_vccnz .LBB14_633
; %bb.632:
	s_bfe_i32 s6, s11, 0x80000
	v_cvt_f16_i16_e32 v3, s6
	global_store_dword v[0:1], v3, off
.LBB14_633:
	s_mov_b64 s[6:7], 0
.LBB14_634:
	s_andn2_b64 vcc, exec, s[6:7]
	s_cbranch_vccnz .LBB14_643
; %bb.635:
	s_cmp_lt_i32 s18, 6
	s_mov_b64 s[6:7], -1
	s_cbranch_scc1 .LBB14_641
; %bb.636:
	s_cmp_gt_i32 s18, 6
	s_cbranch_scc0 .LBB14_638
; %bb.637:
	s_bfe_i32 s6, s11, 0x80000
	s_sext_i32_i16 s6, s6
	v_cvt_f64_i32_e32 v[3:4], s6
	s_mov_b64 s[6:7], 0
	global_store_dwordx2 v[0:1], v[3:4], off
.LBB14_638:
	s_andn2_b64 vcc, exec, s[6:7]
	s_cbranch_vccnz .LBB14_640
; %bb.639:
	s_bfe_i32 s6, s11, 0x80000
	s_sext_i32_i16 s6, s6
	v_cvt_f32_i32_e32 v3, s6
	global_store_dword v[0:1], v3, off
.LBB14_640:
	s_mov_b64 s[6:7], 0
.LBB14_641:
	s_andn2_b64 vcc, exec, s[6:7]
	s_cbranch_vccnz .LBB14_643
; %bb.642:
	s_bfe_i32 s6, s11, 0x80000
	v_cvt_f16_i16_e32 v3, s6
	global_store_short v[0:1], v3, off
.LBB14_643:
	s_mov_b64 s[6:7], 0
.LBB14_644:
	s_andn2_b64 vcc, exec, s[6:7]
	s_cbranch_vccnz .LBB14_660
; %bb.645:
	s_cmp_lt_i32 s18, 2
	s_mov_b64 s[6:7], -1
	s_cbranch_scc1 .LBB14_655
; %bb.646:
	s_cmp_lt_i32 s18, 3
	s_cbranch_scc1 .LBB14_652
; %bb.647:
	s_cmp_gt_i32 s18, 3
	s_cbranch_scc0 .LBB14_649
; %bb.648:
	v_mov_b32_e32 v3, s11
	v_bfe_i32 v3, v3, 0, 8
	v_ashrrev_i32_e32 v4, 31, v3
	global_store_dwordx2 v[0:1], v[3:4], off
	s_mov_b64 s[6:7], 0
.LBB14_649:
	s_andn2_b64 vcc, exec, s[6:7]
	s_cbranch_vccnz .LBB14_651
; %bb.650:
	s_sext_i32_i8 s6, s11
	v_mov_b32_e32 v3, s6
	global_store_dword v[0:1], v3, off
.LBB14_651:
	s_mov_b64 s[6:7], 0
.LBB14_652:
	s_andn2_b64 vcc, exec, s[6:7]
	s_cbranch_vccnz .LBB14_654
; %bb.653:
	s_bfe_i32 s6, s11, 0x80000
	v_mov_b32_e32 v3, s6
	global_store_short v[0:1], v3, off
.LBB14_654:
	s_mov_b64 s[6:7], 0
.LBB14_655:
	s_andn2_b64 vcc, exec, s[6:7]
	s_cbranch_vccnz .LBB14_660
; %bb.656:
	s_cmp_gt_i32 s18, 0
	s_mov_b64 s[6:7], -1
	s_cbranch_scc0 .LBB14_658
; %bb.657:
	v_mov_b32_e32 v3, s11
	global_store_byte v[0:1], v3, off
	s_mov_b64 s[6:7], 0
.LBB14_658:
	s_andn2_b64 vcc, exec, s[6:7]
	s_cbranch_vccnz .LBB14_660
; %bb.659:
	v_mov_b32_e32 v3, s11
	global_store_byte v[0:1], v3, off
.LBB14_660:
.LBB14_661:
	v_add_u32_e32 v2, s10, v2
	v_ashrrev_i32_e32 v1, 31, v2
	v_mov_b32_e32 v3, s9
	v_add_co_u32_e32 v0, vcc, s8, v2
	s_cmp_lt_i32 s18, 11
	v_addc_co_u32_e32 v1, vcc, v3, v1, vcc
	s_cbranch_scc1 .LBB14_689
; %bb.662:
	s_mov_b64 s[16:17], -1
	s_mov_b64 s[12:13], 0
	s_cmp_gt_i32 s18, 25
	s_mov_b64 s[14:15], 0
	s_mov_b64 s[6:7], 0
	s_cbranch_scc0 .LBB14_730
; %bb.663:
	s_cmp_gt_i32 s18, 28
	s_cbranch_scc0 .LBB14_678
; %bb.664:
	s_cmp_gt_i32 s18, 43
	;; [unrolled: 3-line block ×3, first 2 shown]
	s_cbranch_scc0 .LBB14_668
; %bb.666:
	s_mov_b64 s[6:7], -1
	s_mov_b64 s[16:17], 0
	s_cmp_eq_u32 s18, 46
	s_cbranch_scc0 .LBB14_668
; %bb.667:
	s_bfe_i32 s6, s11, 0x80000
	s_sext_i32_i16 s6, s6
	v_cvt_f32_i32_e32 v3, s6
	s_mov_b64 s[6:7], 0
	s_mov_b64 s[14:15], -1
	v_bfe_u32 v4, v3, 16, 1
	v_add_u32_e32 v3, v3, v4
	v_add_u32_e32 v3, 0x7fff, v3
	v_lshrrev_b32_e32 v3, 16, v3
	global_store_dword v[0:1], v3, off
.LBB14_668:
	s_and_b64 vcc, exec, s[16:17]
	s_cbranch_vccz .LBB14_673
; %bb.669:
	s_cmp_eq_u32 s18, 44
	s_mov_b64 s[6:7], -1
	s_cbranch_scc0 .LBB14_673
; %bb.670:
	s_bfe_i32 s6, s11, 0x80000
	s_sext_i32_i16 s6, s6
	v_cvt_f32_i32_e32 v3, s6
	v_mov_b32_e32 v4, 0xff
	v_readfirstlane_b32 s6, v3
	s_bfe_u32 s7, s6, 0x80017
	s_cmpk_eq_i32 s7, 0xff
	s_cbranch_scc1 .LBB14_672
; %bb.671:
	s_bitcmp1_b32 s6, 22
	s_cselect_b64 s[14:15], -1, 0
	s_and_b32 s6, s6, 0x3fffff
	s_or_b32 s6, s7, s6
	s_cmp_lg_u32 s6, 0
	s_cselect_b64 s[6:7], -1, 0
	s_and_b64 s[6:7], s[14:15], s[6:7]
	v_lshrrev_b32_e32 v3, 23, v3
	v_cndmask_b32_e64 v4, 0, 1, s[6:7]
	v_add_u32_e32 v4, v3, v4
.LBB14_672:
	s_mov_b64 s[6:7], 0
	s_mov_b64 s[14:15], -1
	global_store_byte v[0:1], v4, off
.LBB14_673:
	s_mov_b64 s[16:17], 0
.LBB14_674:
	s_and_b64 vcc, exec, s[16:17]
	s_cbranch_vccz .LBB14_677
; %bb.675:
	s_cmp_eq_u32 s18, 29
	s_mov_b64 s[6:7], -1
	s_cbranch_scc0 .LBB14_677
; %bb.676:
	v_mov_b32_e32 v3, s11
	v_bfe_i32 v3, v3, 0, 8
	v_ashrrev_i32_e32 v4, 31, v3
	global_store_dwordx2 v[0:1], v[3:4], off
	s_mov_b64 s[6:7], 0
	s_mov_b64 s[14:15], -1
.LBB14_677:
	s_mov_b64 s[16:17], 0
.LBB14_678:
	s_and_b64 vcc, exec, s[16:17]
	s_cbranch_vccz .LBB14_729
; %bb.679:
	s_cmp_lt_i32 s18, 27
	s_mov_b64 s[14:15], -1
	s_cbranch_scc1 .LBB14_685
; %bb.680:
	s_cmp_gt_i32 s18, 27
	s_cbranch_scc0 .LBB14_682
; %bb.681:
	s_sext_i32_i8 s14, s11
	v_mov_b32_e32 v3, s14
	s_mov_b64 s[14:15], 0
	global_store_dword v[0:1], v3, off
.LBB14_682:
	s_andn2_b64 vcc, exec, s[14:15]
	s_cbranch_vccnz .LBB14_684
; %bb.683:
	s_bfe_i32 s14, s11, 0x80000
	v_mov_b32_e32 v3, s14
	global_store_short v[0:1], v3, off
.LBB14_684:
	s_mov_b64 s[14:15], 0
.LBB14_685:
	s_andn2_b64 vcc, exec, s[14:15]
	s_cbranch_vccnz .LBB14_728
; %bb.686:
	s_bfe_i32 s14, s11, 0x80000
	s_sext_i32_i16 s14, s14
	v_cvt_f32_i32_e32 v3, s14
	v_mov_b32_e32 v4, 0x80
	v_readfirstlane_b32 s19, v3
	s_and_b32 s14, s19, 0x7fffffff
	s_cmp_gt_u32 s14, 0x437fffff
	s_cbranch_scc1 .LBB14_727
; %bb.687:
	s_cmp_gt_u32 s14, 0x3bffffff
	s_cbranch_scc0 .LBB14_722
; %bb.688:
	s_bfe_u32 s14, s19, 0x10014
	s_add_i32 s14, s19, s14
	s_add_i32 s14, s14, 0x487ffff
	s_lshr_b32 s20, s14, 20
	s_mov_b64 s[16:17], 0
	s_mov_b64 s[14:15], -1
	s_branch .LBB14_723
.LBB14_689:
	s_mov_b64 s[14:15], 0
	s_cbranch_execnz .LBB14_794
.LBB14_690:
	s_andn2_b64 vcc, exec, s[14:15]
	s_cbranch_vccnz .LBB14_832
.LBB14_691:
	v_add_u32_e32 v0, s10, v2
	v_ashrrev_i32_e32 v1, 31, v0
	v_mov_b32_e32 v2, s9
	v_add_co_u32_e32 v0, vcc, s8, v0
	s_cmp_lt_i32 s18, 11
	v_addc_co_u32_e32 v1, vcc, v2, v1, vcc
	s_cbranch_scc1 .LBB14_720
; %bb.692:
	s_mov_b64 s[12:13], -1
	s_mov_b64 s[8:9], 0
	s_cmp_gt_i32 s18, 25
	s_mov_b64 s[6:7], 0
	s_cbranch_scc0 .LBB14_744
; %bb.693:
	s_cmp_gt_i32 s18, 28
	s_cbranch_scc0 .LBB14_709
; %bb.694:
	s_cmp_gt_i32 s18, 43
	;; [unrolled: 3-line block ×3, first 2 shown]
	s_cbranch_scc0 .LBB14_699
; %bb.696:
	s_cmp_eq_u32 s18, 46
	s_mov_b64 s[6:7], -1
	s_cbranch_scc0 .LBB14_698
; %bb.697:
	s_bfe_i32 s6, s11, 0x80000
	s_sext_i32_i16 s6, s6
	v_cvt_f32_i32_e32 v2, s6
	s_mov_b64 s[6:7], 0
	v_bfe_u32 v3, v2, 16, 1
	v_add_u32_e32 v2, v2, v3
	v_add_u32_e32 v2, 0x7fff, v2
	v_lshrrev_b32_e32 v2, 16, v2
	global_store_dword v[0:1], v2, off
.LBB14_698:
	s_mov_b64 s[12:13], 0
.LBB14_699:
	s_and_b64 vcc, exec, s[12:13]
	s_cbranch_vccz .LBB14_704
; %bb.700:
	s_cmp_eq_u32 s18, 44
	s_mov_b64 s[6:7], -1
	s_cbranch_scc0 .LBB14_704
; %bb.701:
	s_bfe_i32 s6, s11, 0x80000
	s_sext_i32_i16 s6, s6
	v_cvt_f32_i32_e32 v2, s6
	v_mov_b32_e32 v3, 0xff
	v_readfirstlane_b32 s6, v2
	s_bfe_u32 s7, s6, 0x80017
	s_cmpk_eq_i32 s7, 0xff
	s_cbranch_scc1 .LBB14_703
; %bb.702:
	s_bitcmp1_b32 s6, 22
	s_cselect_b64 s[12:13], -1, 0
	s_and_b32 s6, s6, 0x3fffff
	s_or_b32 s6, s7, s6
	s_cmp_lg_u32 s6, 0
	s_cselect_b64 s[6:7], -1, 0
	s_and_b64 s[6:7], s[12:13], s[6:7]
	v_lshrrev_b32_e32 v2, 23, v2
	v_cndmask_b32_e64 v3, 0, 1, s[6:7]
	v_add_u32_e32 v3, v2, v3
.LBB14_703:
	s_mov_b64 s[6:7], 0
	global_store_byte v[0:1], v3, off
.LBB14_704:
	s_mov_b64 s[12:13], 0
.LBB14_705:
	s_and_b64 vcc, exec, s[12:13]
	s_cbranch_vccz .LBB14_708
; %bb.706:
	s_cmp_eq_u32 s18, 29
	s_mov_b64 s[6:7], -1
	s_cbranch_scc0 .LBB14_708
; %bb.707:
	v_mov_b32_e32 v2, s11
	v_bfe_i32 v2, v2, 0, 8
	v_ashrrev_i32_e32 v3, 31, v2
	global_store_dwordx2 v[0:1], v[2:3], off
	s_mov_b64 s[6:7], 0
.LBB14_708:
	s_mov_b64 s[12:13], 0
.LBB14_709:
	s_and_b64 vcc, exec, s[12:13]
	s_cbranch_vccz .LBB14_743
; %bb.710:
	s_cmp_lt_i32 s18, 27
	s_mov_b64 s[12:13], -1
	s_cbranch_scc1 .LBB14_716
; %bb.711:
	s_cmp_gt_i32 s18, 27
	s_cbranch_scc0 .LBB14_713
; %bb.712:
	s_sext_i32_i8 s10, s11
	v_mov_b32_e32 v2, s10
	global_store_dword v[0:1], v2, off
	s_mov_b64 s[12:13], 0
.LBB14_713:
	s_andn2_b64 vcc, exec, s[12:13]
	s_cbranch_vccnz .LBB14_715
; %bb.714:
	s_bfe_i32 s10, s11, 0x80000
	v_mov_b32_e32 v2, s10
	global_store_short v[0:1], v2, off
.LBB14_715:
	s_mov_b64 s[12:13], 0
.LBB14_716:
	s_andn2_b64 vcc, exec, s[12:13]
	s_cbranch_vccnz .LBB14_743
; %bb.717:
	s_bfe_i32 s10, s11, 0x80000
	s_sext_i32_i16 s10, s10
	v_cvt_f32_i32_e32 v2, s10
	v_mov_b32_e32 v3, 0x80
	v_readfirstlane_b32 s10, v2
	s_and_b32 s12, s10, 0x7fffffff
	s_cmp_gt_u32 s12, 0x437fffff
	s_cbranch_scc1 .LBB14_742
; %bb.718:
	s_cmp_gt_u32 s12, 0x3bffffff
	s_cbranch_scc0 .LBB14_737
; %bb.719:
	s_bfe_u32 s12, s10, 0x10014
	s_add_i32 s12, s10, s12
	s_add_i32 s12, s12, 0x487ffff
	s_lshr_b32 s16, s12, 20
	s_mov_b64 s[14:15], 0
	s_mov_b64 s[12:13], -1
	s_branch .LBB14_738
.LBB14_720:
	s_mov_b64 s[8:9], 0
	s_mov_b64 s[6:7], -1
	s_branch .LBB14_833
.LBB14_721:
	s_trap 2
	s_or_b64 s[4:5], s[4:5], exec
	s_cbranch_execz .LBB14_621
	s_branch .LBB14_622
.LBB14_722:
	s_mov_b64 s[16:17], -1
	s_mov_b64 s[14:15], 0
                                        ; implicit-def: $sgpr20
.LBB14_723:
	s_andn2_b64 vcc, exec, s[16:17]
	v_mov_b32_e32 v3, s20
	s_cbranch_vccnz .LBB14_725
; %bb.724:
	v_mov_b32_e32 v3, 0x46000000
	v_add_f32_e64 v3, |s19|, v3
	v_and_b32_e32 v3, 0xff, v3
	v_cmp_ne_u32_e64 s[14:15], 0, v3
.LBB14_725:
	s_andn2_b64 vcc, exec, s[14:15]
	v_mov_b32_e32 v4, 0
	s_cbranch_vccnz .LBB14_727
; %bb.726:
	s_lshr_b32 s14, s19, 24
	s_and_b32 s14, s14, 0x80
	v_or_b32_e32 v4, s14, v3
.LBB14_727:
	global_store_byte v[0:1], v4, off
.LBB14_728:
	s_mov_b64 s[14:15], -1
.LBB14_729:
	s_mov_b64 s[16:17], 0
.LBB14_730:
	s_and_b64 vcc, exec, s[16:17]
	s_cbranch_vccz .LBB14_790
; %bb.731:
	s_cmp_gt_i32 s18, 22
	s_mov_b64 s[12:13], -1
	s_cbranch_scc0 .LBB14_783
; %bb.732:
	s_cmp_lt_i32 s18, 24
	s_cbranch_scc1 .LBB14_770
; %bb.733:
	s_cmp_gt_i32 s18, 24
	s_cbranch_scc0 .LBB14_757
; %bb.734:
	s_bfe_i32 s12, s11, 0x80000
	s_sext_i32_i16 s12, s12
	v_cvt_f32_i32_e32 v3, s12
	v_mov_b32_e32 v4, 0x80
	v_readfirstlane_b32 s16, v3
	s_and_b32 s12, s16, 0x7fffffff
	s_cmp_gt_u32 s12, 0x477fffff
	s_cbranch_scc1 .LBB14_756
; %bb.735:
	s_cmp_gt_u32 s12, 0x37ffffff
	s_cbranch_scc0 .LBB14_751
; %bb.736:
	s_bfe_u32 s12, s16, 0x10015
	s_add_i32 s12, s16, s12
	s_add_i32 s12, s12, 0x88fffff
	s_lshr_b32 s17, s12, 21
	s_mov_b64 s[14:15], 0
	s_mov_b64 s[12:13], -1
	s_branch .LBB14_752
.LBB14_737:
	s_mov_b64 s[14:15], -1
	s_mov_b64 s[12:13], 0
                                        ; implicit-def: $sgpr16
.LBB14_738:
	s_andn2_b64 vcc, exec, s[14:15]
	v_mov_b32_e32 v2, s16
	s_cbranch_vccnz .LBB14_740
; %bb.739:
	v_mov_b32_e32 v2, 0x46000000
	v_add_f32_e64 v2, |s10|, v2
	v_and_b32_e32 v2, 0xff, v2
	v_cmp_ne_u32_e64 s[12:13], 0, v2
.LBB14_740:
	s_andn2_b64 vcc, exec, s[12:13]
	v_mov_b32_e32 v3, 0
	s_cbranch_vccnz .LBB14_742
; %bb.741:
	s_lshr_b32 s10, s10, 24
	s_and_b32 s10, s10, 0x80
	v_or_b32_e32 v3, s10, v2
.LBB14_742:
	global_store_byte v[0:1], v3, off
.LBB14_743:
	s_mov_b64 s[12:13], 0
.LBB14_744:
	s_and_b64 vcc, exec, s[12:13]
	s_cbranch_vccz .LBB14_914
; %bb.745:
	s_cmp_gt_i32 s18, 22
	s_mov_b64 s[8:9], -1
	s_cbranch_scc0 .LBB14_907
; %bb.746:
	s_cmp_lt_i32 s18, 24
	s_cbranch_scc1 .LBB14_894
; %bb.747:
	s_cmp_gt_i32 s18, 24
	s_cbranch_scc0 .LBB14_881
; %bb.748:
	s_bfe_i32 s8, s11, 0x80000
	s_sext_i32_i16 s8, s8
	v_cvt_f32_i32_e32 v2, s8
	v_mov_b32_e32 v3, 0x80
	v_readfirstlane_b32 s10, v2
	s_and_b32 s8, s10, 0x7fffffff
	s_cmp_gt_u32 s8, 0x477fffff
	s_cbranch_scc1 .LBB14_880
; %bb.749:
	s_cmp_gt_u32 s8, 0x37ffffff
	s_cbranch_scc0 .LBB14_875
; %bb.750:
	s_bfe_u32 s8, s10, 0x10015
	s_add_i32 s8, s10, s8
	s_add_i32 s8, s8, 0x88fffff
	s_lshr_b32 s14, s8, 21
	s_mov_b64 s[12:13], 0
	s_mov_b64 s[8:9], -1
	s_branch .LBB14_876
.LBB14_751:
	s_mov_b64 s[14:15], -1
	s_mov_b64 s[12:13], 0
                                        ; implicit-def: $sgpr17
.LBB14_752:
	s_andn2_b64 vcc, exec, s[14:15]
	v_mov_b32_e32 v3, s17
	s_cbranch_vccnz .LBB14_754
; %bb.753:
	v_mov_b32_e32 v3, 0x42800000
	v_add_f32_e64 v3, |s16|, v3
	v_and_b32_e32 v3, 0xff, v3
	v_cmp_ne_u32_e64 s[12:13], 0, v3
.LBB14_754:
	s_andn2_b64 vcc, exec, s[12:13]
	v_mov_b32_e32 v4, 0
	s_cbranch_vccnz .LBB14_756
; %bb.755:
	s_lshr_b32 s12, s16, 24
	s_and_b32 s12, s12, 0x80
	v_or_b32_e32 v4, s12, v3
.LBB14_756:
	s_mov_b64 s[12:13], 0
	global_store_byte v[0:1], v4, off
.LBB14_757:
	s_and_b64 vcc, exec, s[12:13]
	s_cbranch_vccz .LBB14_769
; %bb.758:
	s_bfe_i32 s12, s11, 0x80000
	s_sext_i32_i16 s12, s12
	v_cvt_f32_i32_e32 v3, s12
	v_readfirstlane_b32 s14, v3
	s_and_b32 s15, s14, 0x7fffffff
	s_cmp_lt_u32 s15, 0x43f00000
	s_cbranch_scc0 .LBB14_761
; %bb.759:
	s_cmp_gt_u32 s15, 0x3c7fffff
	s_cbranch_scc0 .LBB14_762
; %bb.760:
	s_bfe_u32 s12, s14, 0x10014
	s_add_i32 s12, s14, s12
	s_add_i32 s12, s12, 0x407ffff
	s_lshr_b32 s13, s12, 20
	s_and_b32 s12, s12, 0xff00000
	s_cmp_lg_u32 s12, 0x7f00000
	s_cselect_b32 s16, s13, 0x7e
	s_mov_b64 s[12:13], 0
	s_branch .LBB14_763
.LBB14_761:
	s_mov_b64 s[12:13], -1
                                        ; implicit-def: $vgpr4
	s_branch .LBB14_766
.LBB14_762:
	s_mov_b64 s[12:13], -1
                                        ; implicit-def: $sgpr16
.LBB14_763:
	s_andn2_b64 vcc, exec, s[12:13]
	v_mov_b32_e32 v4, s16
	s_cbranch_vccnz .LBB14_765
; %bb.764:
	s_mov_b32 s12, 0x46800000
	v_add_f32_e64 v4, |v3|, s12
.LBB14_765:
	s_mov_b64 s[12:13], 0
.LBB14_766:
	s_andn2_b64 vcc, exec, s[12:13]
	s_cbranch_vccnz .LBB14_768
; %bb.767:
	s_cmp_gt_u32 s15, 0x7f800000
	s_movk_i32 s12, 0x7f
	s_cselect_b32 s12, s12, 0x7e
	v_mov_b32_e32 v4, s12
.LBB14_768:
	s_lshr_b32 s12, s14, 24
	s_and_b32 s12, s12, 0x80
	v_or_b32_e32 v3, s12, v4
	global_store_byte v[0:1], v3, off
.LBB14_769:
	s_mov_b64 s[12:13], 0
.LBB14_770:
	s_andn2_b64 vcc, exec, s[12:13]
	s_cbranch_vccnz .LBB14_782
; %bb.771:
	s_bfe_i32 s12, s11, 0x80000
	s_sext_i32_i16 s12, s12
	v_cvt_f32_i32_e32 v3, s12
	v_readfirstlane_b32 s14, v3
	s_and_b32 s15, s14, 0x7fffffff
	s_cmp_lt_u32 s15, 0x47800000
	s_cbranch_scc0 .LBB14_774
; %bb.772:
	s_cmp_gt_u32 s15, 0x387fffff
	s_cbranch_scc0 .LBB14_775
; %bb.773:
	s_bfe_u32 s12, s14, 0x10015
	s_add_i32 s12, s14, s12
	s_add_i32 s12, s12, 0x80fffff
	s_lshr_b32 s16, s12, 21
	s_mov_b64 s[12:13], 0
	s_branch .LBB14_776
.LBB14_774:
	s_mov_b64 s[12:13], -1
                                        ; implicit-def: $vgpr4
	s_branch .LBB14_779
.LBB14_775:
	s_mov_b64 s[12:13], -1
                                        ; implicit-def: $sgpr16
.LBB14_776:
	s_andn2_b64 vcc, exec, s[12:13]
	v_mov_b32_e32 v4, s16
	s_cbranch_vccnz .LBB14_778
; %bb.777:
	s_mov_b32 s12, 0x43000000
	v_add_f32_e64 v4, |v3|, s12
.LBB14_778:
	s_mov_b64 s[12:13], 0
.LBB14_779:
	s_andn2_b64 vcc, exec, s[12:13]
	s_cbranch_vccnz .LBB14_781
; %bb.780:
	s_cmp_gt_u32 s15, 0x7f800000
	s_movk_i32 s12, 0x7f
	s_cselect_b32 s12, s12, 0x7c
	v_mov_b32_e32 v4, s12
.LBB14_781:
	s_lshr_b32 s12, s14, 24
	s_and_b32 s12, s12, 0x80
	v_or_b32_e32 v3, s12, v4
	global_store_byte v[0:1], v3, off
.LBB14_782:
	s_mov_b64 s[12:13], 0
	s_mov_b64 s[14:15], -1
.LBB14_783:
	s_andn2_b64 vcc, exec, s[12:13]
	s_mov_b64 s[12:13], 0
	s_cbranch_vccnz .LBB14_790
; %bb.784:
	s_cmp_gt_i32 s18, 14
	s_mov_b64 s[16:17], -1
	s_cbranch_scc0 .LBB14_788
; %bb.785:
	s_cmp_eq_u32 s18, 15
	s_mov_b64 s[6:7], -1
	s_cbranch_scc0 .LBB14_787
; %bb.786:
	s_bfe_i32 s6, s11, 0x80000
	s_sext_i32_i16 s6, s6
	v_cvt_f32_i32_e32 v3, s6
	s_mov_b64 s[6:7], 0
	s_mov_b64 s[14:15], -1
	v_bfe_u32 v4, v3, 16, 1
	v_add_u32_e32 v3, v3, v4
	v_add_u32_e32 v3, 0x7fff, v3
	global_store_short_d16_hi v[0:1], v3, off
.LBB14_787:
	s_mov_b64 s[16:17], 0
.LBB14_788:
	s_and_b64 vcc, exec, s[16:17]
	s_cbranch_vccz .LBB14_790
; %bb.789:
	s_cmp_lg_u32 s18, 11
	s_mov_b64 s[12:13], -1
	s_cselect_b64 s[6:7], -1, 0
.LBB14_790:
	s_and_b64 vcc, exec, s[6:7]
	s_cbranch_vccnz .LBB14_874
; %bb.791:
	s_andn2_b64 vcc, exec, s[12:13]
	s_cbranch_vccnz .LBB14_793
.LBB14_792:
	s_and_b32 s6, s11, 0xff
	s_cmp_lg_u32 s6, 0
	s_cselect_b64 s[6:7], -1, 0
	v_cndmask_b32_e64 v3, 0, 1, s[6:7]
	s_mov_b64 s[14:15], -1
	global_store_byte v[0:1], v3, off
.LBB14_793:
	s_branch .LBB14_690
.LBB14_794:
	s_cmp_lt_i32 s18, 5
	s_mov_b64 s[6:7], -1
	s_cbranch_scc1 .LBB14_815
; %bb.795:
	s_cmp_lt_i32 s18, 8
	s_cbranch_scc1 .LBB14_805
; %bb.796:
	s_cmp_lt_i32 s18, 9
	s_cbranch_scc1 .LBB14_802
; %bb.797:
	s_cmp_gt_i32 s18, 9
	s_cbranch_scc0 .LBB14_799
; %bb.798:
	s_bfe_i32 s6, s11, 0x80000
	s_sext_i32_i16 s6, s6
	v_cvt_f64_i32_e32 v[3:4], s6
	v_mov_b32_e32 v5, 0
	v_mov_b32_e32 v6, v5
	s_mov_b64 s[6:7], 0
	global_store_dwordx4 v[0:1], v[3:6], off
.LBB14_799:
	s_andn2_b64 vcc, exec, s[6:7]
	s_cbranch_vccnz .LBB14_801
; %bb.800:
	s_bfe_i32 s6, s11, 0x80000
	s_sext_i32_i16 s6, s6
	v_cvt_f32_i32_e32 v3, s6
	v_mov_b32_e32 v4, 0
	global_store_dwordx2 v[0:1], v[3:4], off
.LBB14_801:
	s_mov_b64 s[6:7], 0
.LBB14_802:
	s_andn2_b64 vcc, exec, s[6:7]
	s_cbranch_vccnz .LBB14_804
; %bb.803:
	s_bfe_i32 s6, s11, 0x80000
	v_cvt_f16_i16_e32 v3, s6
	global_store_dword v[0:1], v3, off
.LBB14_804:
	s_mov_b64 s[6:7], 0
.LBB14_805:
	s_andn2_b64 vcc, exec, s[6:7]
	s_cbranch_vccnz .LBB14_814
; %bb.806:
	s_cmp_lt_i32 s18, 6
	s_mov_b64 s[6:7], -1
	s_cbranch_scc1 .LBB14_812
; %bb.807:
	s_cmp_gt_i32 s18, 6
	s_cbranch_scc0 .LBB14_809
; %bb.808:
	s_bfe_i32 s6, s11, 0x80000
	s_sext_i32_i16 s6, s6
	v_cvt_f64_i32_e32 v[3:4], s6
	s_mov_b64 s[6:7], 0
	global_store_dwordx2 v[0:1], v[3:4], off
.LBB14_809:
	s_andn2_b64 vcc, exec, s[6:7]
	s_cbranch_vccnz .LBB14_811
; %bb.810:
	s_bfe_i32 s6, s11, 0x80000
	s_sext_i32_i16 s6, s6
	v_cvt_f32_i32_e32 v3, s6
	global_store_dword v[0:1], v3, off
.LBB14_811:
	s_mov_b64 s[6:7], 0
.LBB14_812:
	s_andn2_b64 vcc, exec, s[6:7]
	s_cbranch_vccnz .LBB14_814
; %bb.813:
	s_bfe_i32 s6, s11, 0x80000
	v_cvt_f16_i16_e32 v3, s6
	global_store_short v[0:1], v3, off
.LBB14_814:
	s_mov_b64 s[6:7], 0
.LBB14_815:
	s_andn2_b64 vcc, exec, s[6:7]
	s_cbranch_vccnz .LBB14_831
; %bb.816:
	s_cmp_lt_i32 s18, 2
	s_mov_b64 s[6:7], -1
	s_cbranch_scc1 .LBB14_826
; %bb.817:
	s_cmp_lt_i32 s18, 3
	s_cbranch_scc1 .LBB14_823
; %bb.818:
	s_cmp_gt_i32 s18, 3
	s_cbranch_scc0 .LBB14_820
; %bb.819:
	v_mov_b32_e32 v3, s11
	v_bfe_i32 v3, v3, 0, 8
	v_ashrrev_i32_e32 v4, 31, v3
	global_store_dwordx2 v[0:1], v[3:4], off
	s_mov_b64 s[6:7], 0
.LBB14_820:
	s_andn2_b64 vcc, exec, s[6:7]
	s_cbranch_vccnz .LBB14_822
; %bb.821:
	s_sext_i32_i8 s6, s11
	v_mov_b32_e32 v3, s6
	global_store_dword v[0:1], v3, off
.LBB14_822:
	s_mov_b64 s[6:7], 0
.LBB14_823:
	s_andn2_b64 vcc, exec, s[6:7]
	s_cbranch_vccnz .LBB14_825
; %bb.824:
	s_bfe_i32 s6, s11, 0x80000
	v_mov_b32_e32 v3, s6
	global_store_short v[0:1], v3, off
.LBB14_825:
	s_mov_b64 s[6:7], 0
.LBB14_826:
	s_andn2_b64 vcc, exec, s[6:7]
	s_cbranch_vccnz .LBB14_831
; %bb.827:
	s_cmp_gt_i32 s18, 0
	s_mov_b64 s[6:7], -1
	s_cbranch_scc0 .LBB14_829
; %bb.828:
	v_mov_b32_e32 v3, s11
	global_store_byte v[0:1], v3, off
	s_mov_b64 s[6:7], 0
.LBB14_829:
	s_andn2_b64 vcc, exec, s[6:7]
	s_cbranch_vccnz .LBB14_831
; %bb.830:
	v_mov_b32_e32 v3, s11
	global_store_byte v[0:1], v3, off
.LBB14_831:
	s_branch .LBB14_691
.LBB14_832:
	s_mov_b64 s[6:7], 0
	s_mov_b64 s[8:9], 0
                                        ; implicit-def: $sgpr33
                                        ; implicit-def: $vgpr0_vgpr1
.LBB14_833:
	s_andn2_b64 s[0:1], s[0:1], exec
	s_and_b64 s[4:5], s[4:5], exec
	s_and_b64 s[12:13], s[6:7], exec
	;; [unrolled: 1-line block ×3, first 2 shown]
	s_or_b64 s[0:1], s[0:1], s[4:5]
	s_or_b64 exec, exec, s[2:3]
	s_and_saveexec_b64 s[2:3], s[0:1]
	s_cbranch_execnz .LBB14_434
.LBB14_834:
	s_or_b64 exec, exec, s[2:3]
	s_and_saveexec_b64 s[0:1], s[6:7]
	s_xor_b64 s[0:1], exec, s[0:1]
	s_cbranch_execz .LBB14_435
.LBB14_835:
	s_and_b32 s2, s11, 0xff
	s_cmp_lg_u32 s2, 0
	s_cselect_b64 s[2:3], -1, 0
	v_cndmask_b32_e64 v2, 0, 1, s[2:3]
	global_store_byte v[0:1], v2, off
	s_or_b64 exec, exec, s[0:1]
	s_and_saveexec_b64 s[0:1], s[12:13]
	s_cbranch_execz .LBB14_873
.LBB14_836:
	s_sext_i32_i16 s2, s33
	s_cmp_lt_i32 s2, 5
	s_mov_b64 s[0:1], -1
	s_cbranch_scc1 .LBB14_857
; %bb.837:
	s_cmp_lt_i32 s2, 8
	s_cbranch_scc1 .LBB14_847
; %bb.838:
	s_cmp_lt_i32 s2, 9
	s_cbranch_scc1 .LBB14_844
; %bb.839:
	s_cmp_gt_i32 s2, 9
	s_cbranch_scc0 .LBB14_841
; %bb.840:
	s_bfe_i32 s0, s11, 0x80000
	s_sext_i32_i16 s0, s0
	v_cvt_f64_i32_e32 v[2:3], s0
	v_mov_b32_e32 v4, 0
	v_mov_b32_e32 v5, v4
	s_mov_b64 s[0:1], 0
	global_store_dwordx4 v[0:1], v[2:5], off
.LBB14_841:
	s_andn2_b64 vcc, exec, s[0:1]
	s_cbranch_vccnz .LBB14_843
; %bb.842:
	s_bfe_i32 s0, s11, 0x80000
	s_sext_i32_i16 s0, s0
	v_cvt_f32_i32_e32 v2, s0
	v_mov_b32_e32 v3, 0
	global_store_dwordx2 v[0:1], v[2:3], off
.LBB14_843:
	s_mov_b64 s[0:1], 0
.LBB14_844:
	s_andn2_b64 vcc, exec, s[0:1]
	s_cbranch_vccnz .LBB14_846
; %bb.845:
	s_bfe_i32 s0, s11, 0x80000
	v_cvt_f16_i16_e32 v2, s0
	global_store_dword v[0:1], v2, off
.LBB14_846:
	s_mov_b64 s[0:1], 0
.LBB14_847:
	s_andn2_b64 vcc, exec, s[0:1]
	s_cbranch_vccnz .LBB14_856
; %bb.848:
	s_sext_i32_i16 s2, s33
	s_cmp_lt_i32 s2, 6
	s_mov_b64 s[0:1], -1
	s_cbranch_scc1 .LBB14_854
; %bb.849:
	s_cmp_gt_i32 s2, 6
	s_cbranch_scc0 .LBB14_851
; %bb.850:
	s_bfe_i32 s0, s11, 0x80000
	s_sext_i32_i16 s0, s0
	v_cvt_f64_i32_e32 v[2:3], s0
	s_mov_b64 s[0:1], 0
	global_store_dwordx2 v[0:1], v[2:3], off
.LBB14_851:
	s_andn2_b64 vcc, exec, s[0:1]
	s_cbranch_vccnz .LBB14_853
; %bb.852:
	s_bfe_i32 s0, s11, 0x80000
	s_sext_i32_i16 s0, s0
	v_cvt_f32_i32_e32 v2, s0
	global_store_dword v[0:1], v2, off
.LBB14_853:
	s_mov_b64 s[0:1], 0
.LBB14_854:
	s_andn2_b64 vcc, exec, s[0:1]
	s_cbranch_vccnz .LBB14_856
; %bb.855:
	s_bfe_i32 s0, s11, 0x80000
	v_cvt_f16_i16_e32 v2, s0
	global_store_short v[0:1], v2, off
.LBB14_856:
	s_mov_b64 s[0:1], 0
.LBB14_857:
	s_andn2_b64 vcc, exec, s[0:1]
	s_cbranch_vccnz .LBB14_873
; %bb.858:
	s_sext_i32_i16 s2, s33
	s_cmp_lt_i32 s2, 2
	s_mov_b64 s[0:1], -1
	s_cbranch_scc1 .LBB14_868
; %bb.859:
	s_cmp_lt_i32 s2, 3
	s_cbranch_scc1 .LBB14_865
; %bb.860:
	s_cmp_gt_i32 s2, 3
	s_cbranch_scc0 .LBB14_862
; %bb.861:
	v_mov_b32_e32 v2, s11
	v_bfe_i32 v2, v2, 0, 8
	v_ashrrev_i32_e32 v3, 31, v2
	global_store_dwordx2 v[0:1], v[2:3], off
	s_mov_b64 s[0:1], 0
.LBB14_862:
	s_andn2_b64 vcc, exec, s[0:1]
	s_cbranch_vccnz .LBB14_864
; %bb.863:
	s_sext_i32_i8 s0, s11
	v_mov_b32_e32 v2, s0
	global_store_dword v[0:1], v2, off
.LBB14_864:
	s_mov_b64 s[0:1], 0
.LBB14_865:
	s_andn2_b64 vcc, exec, s[0:1]
	s_cbranch_vccnz .LBB14_867
; %bb.866:
	s_bfe_i32 s0, s11, 0x80000
	v_mov_b32_e32 v2, s0
	global_store_short v[0:1], v2, off
.LBB14_867:
	s_mov_b64 s[0:1], 0
.LBB14_868:
	s_andn2_b64 vcc, exec, s[0:1]
	s_cbranch_vccnz .LBB14_873
; %bb.869:
	s_sext_i32_i16 s0, s33
	s_cmp_gt_i32 s0, 0
	s_mov_b64 s[0:1], -1
	s_cbranch_scc0 .LBB14_871
; %bb.870:
	v_mov_b32_e32 v2, s11
	global_store_byte v[0:1], v2, off
	s_mov_b64 s[0:1], 0
.LBB14_871:
	s_andn2_b64 vcc, exec, s[0:1]
	s_cbranch_vccnz .LBB14_873
; %bb.872:
	v_mov_b32_e32 v2, s11
	global_store_byte v[0:1], v2, off
	s_endpgm
.LBB14_873:
	s_endpgm
.LBB14_874:
	s_trap 2
	s_or_b64 s[4:5], s[4:5], exec
	s_cbranch_execz .LBB14_792
	s_branch .LBB14_793
.LBB14_875:
	s_mov_b64 s[12:13], -1
	s_mov_b64 s[8:9], 0
                                        ; implicit-def: $sgpr14
.LBB14_876:
	s_andn2_b64 vcc, exec, s[12:13]
	v_mov_b32_e32 v2, s14
	s_cbranch_vccnz .LBB14_878
; %bb.877:
	v_mov_b32_e32 v2, 0x42800000
	v_add_f32_e64 v2, |s10|, v2
	v_and_b32_e32 v2, 0xff, v2
	v_cmp_ne_u32_e64 s[8:9], 0, v2
.LBB14_878:
	s_andn2_b64 vcc, exec, s[8:9]
	v_mov_b32_e32 v3, 0
	s_cbranch_vccnz .LBB14_880
; %bb.879:
	s_lshr_b32 s8, s10, 24
	s_and_b32 s8, s8, 0x80
	v_or_b32_e32 v3, s8, v2
.LBB14_880:
	s_mov_b64 s[8:9], 0
	global_store_byte v[0:1], v3, off
.LBB14_881:
	s_and_b64 vcc, exec, s[8:9]
	s_cbranch_vccz .LBB14_893
; %bb.882:
	s_bfe_i32 s8, s11, 0x80000
	s_sext_i32_i16 s8, s8
	v_cvt_f32_i32_e32 v2, s8
	v_readfirstlane_b32 s10, v2
	s_and_b32 s12, s10, 0x7fffffff
	s_cmp_lt_u32 s12, 0x43f00000
	s_cbranch_scc0 .LBB14_885
; %bb.883:
	s_cmp_gt_u32 s12, 0x3c7fffff
	s_cbranch_scc0 .LBB14_886
; %bb.884:
	s_bfe_u32 s8, s10, 0x10014
	s_add_i32 s8, s10, s8
	s_add_i32 s8, s8, 0x407ffff
	s_lshr_b32 s9, s8, 20
	s_and_b32 s8, s8, 0xff00000
	s_cmp_lg_u32 s8, 0x7f00000
	s_cselect_b32 s13, s9, 0x7e
	s_mov_b64 s[8:9], 0
	s_branch .LBB14_887
.LBB14_885:
	s_mov_b64 s[8:9], -1
                                        ; implicit-def: $vgpr3
	s_branch .LBB14_890
.LBB14_886:
	s_mov_b64 s[8:9], -1
                                        ; implicit-def: $sgpr13
.LBB14_887:
	s_andn2_b64 vcc, exec, s[8:9]
	v_mov_b32_e32 v3, s13
	s_cbranch_vccnz .LBB14_889
; %bb.888:
	s_mov_b32 s8, 0x46800000
	v_add_f32_e64 v3, |v2|, s8
.LBB14_889:
	s_mov_b64 s[8:9], 0
.LBB14_890:
	s_andn2_b64 vcc, exec, s[8:9]
	s_cbranch_vccnz .LBB14_892
; %bb.891:
	s_cmp_gt_u32 s12, 0x7f800000
	s_movk_i32 s8, 0x7f
	s_cselect_b32 s8, s8, 0x7e
	v_mov_b32_e32 v3, s8
.LBB14_892:
	s_lshr_b32 s8, s10, 24
	s_and_b32 s8, s8, 0x80
	v_or_b32_e32 v2, s8, v3
	global_store_byte v[0:1], v2, off
.LBB14_893:
	s_mov_b64 s[8:9], 0
.LBB14_894:
	s_andn2_b64 vcc, exec, s[8:9]
	s_cbranch_vccnz .LBB14_906
; %bb.895:
	s_bfe_i32 s8, s11, 0x80000
	s_sext_i32_i16 s8, s8
	v_cvt_f32_i32_e32 v2, s8
	v_readfirstlane_b32 s10, v2
	s_and_b32 s12, s10, 0x7fffffff
	s_cmp_lt_u32 s12, 0x47800000
	s_cbranch_scc0 .LBB14_898
; %bb.896:
	s_cmp_gt_u32 s12, 0x387fffff
	s_cbranch_scc0 .LBB14_899
; %bb.897:
	s_bfe_u32 s8, s10, 0x10015
	s_add_i32 s8, s10, s8
	s_add_i32 s8, s8, 0x80fffff
	s_lshr_b32 s13, s8, 21
	s_mov_b64 s[8:9], 0
	s_branch .LBB14_900
.LBB14_898:
	s_mov_b64 s[8:9], -1
                                        ; implicit-def: $vgpr3
	s_branch .LBB14_903
.LBB14_899:
	s_mov_b64 s[8:9], -1
                                        ; implicit-def: $sgpr13
.LBB14_900:
	s_andn2_b64 vcc, exec, s[8:9]
	v_mov_b32_e32 v3, s13
	s_cbranch_vccnz .LBB14_902
; %bb.901:
	s_mov_b32 s8, 0x43000000
	v_add_f32_e64 v3, |v2|, s8
.LBB14_902:
	s_mov_b64 s[8:9], 0
.LBB14_903:
	s_andn2_b64 vcc, exec, s[8:9]
	s_cbranch_vccnz .LBB14_905
; %bb.904:
	s_cmp_gt_u32 s12, 0x7f800000
	s_movk_i32 s8, 0x7f
	s_cselect_b32 s8, s8, 0x7c
	v_mov_b32_e32 v3, s8
.LBB14_905:
	s_lshr_b32 s8, s10, 24
	s_and_b32 s8, s8, 0x80
	v_or_b32_e32 v2, s8, v3
	global_store_byte v[0:1], v2, off
.LBB14_906:
	s_mov_b64 s[8:9], 0
.LBB14_907:
	s_andn2_b64 vcc, exec, s[8:9]
	s_mov_b64 s[8:9], 0
	s_cbranch_vccnz .LBB14_914
; %bb.908:
	s_cmp_gt_i32 s18, 14
	s_mov_b64 s[12:13], -1
	s_cbranch_scc0 .LBB14_912
; %bb.909:
	s_cmp_eq_u32 s18, 15
	s_mov_b64 s[6:7], -1
	s_cbranch_scc0 .LBB14_911
; %bb.910:
	s_bfe_i32 s6, s11, 0x80000
	s_sext_i32_i16 s6, s6
	v_cvt_f32_i32_e32 v2, s6
	s_mov_b64 s[6:7], 0
	v_bfe_u32 v3, v2, 16, 1
	v_add_u32_e32 v2, v2, v3
	v_add_u32_e32 v2, 0x7fff, v2
	global_store_short_d16_hi v[0:1], v2, off
.LBB14_911:
	s_mov_b64 s[12:13], 0
.LBB14_912:
	s_and_b64 vcc, exec, s[12:13]
	s_cbranch_vccz .LBB14_914
; %bb.913:
	s_cmp_lg_u32 s18, 11
	s_mov_b64 s[8:9], -1
	s_cselect_b64 s[6:7], -1, 0
.LBB14_914:
	s_and_b64 vcc, exec, s[6:7]
	s_cbranch_vccnz .LBB14_916
.LBB14_915:
	s_mov_b64 s[6:7], 0
	s_branch .LBB14_833
.LBB14_916:
	s_mov_b64 s[8:9], 0
	s_or_b64 s[4:5], s[4:5], exec
	s_trap 2
	s_branch .LBB14_915
	.section	.rodata,"a",@progbits
	.p2align	6, 0x0
	.amdhsa_kernel _ZN2at6native32elementwise_kernel_manual_unrollILi128ELi4EZNS0_15gpu_kernel_implINS0_11FillFunctorIaEEEEvRNS_18TensorIteratorBaseERKT_EUlibE_EEviT1_
		.amdhsa_group_segment_fixed_size 0
		.amdhsa_private_segment_fixed_size 0
		.amdhsa_kernarg_size 24
		.amdhsa_user_sgpr_count 6
		.amdhsa_user_sgpr_private_segment_buffer 1
		.amdhsa_user_sgpr_dispatch_ptr 0
		.amdhsa_user_sgpr_queue_ptr 0
		.amdhsa_user_sgpr_kernarg_segment_ptr 1
		.amdhsa_user_sgpr_dispatch_id 0
		.amdhsa_user_sgpr_flat_scratch_init 0
		.amdhsa_user_sgpr_private_segment_size 0
		.amdhsa_uses_dynamic_stack 0
		.amdhsa_system_sgpr_private_segment_wavefront_offset 0
		.amdhsa_system_sgpr_workgroup_id_x 1
		.amdhsa_system_sgpr_workgroup_id_y 0
		.amdhsa_system_sgpr_workgroup_id_z 0
		.amdhsa_system_sgpr_workgroup_info 0
		.amdhsa_system_vgpr_workitem_id 0
		.amdhsa_next_free_vgpr 18
		.amdhsa_next_free_sgpr 62
		.amdhsa_reserve_vcc 1
		.amdhsa_reserve_flat_scratch 0
		.amdhsa_float_round_mode_32 0
		.amdhsa_float_round_mode_16_64 0
		.amdhsa_float_denorm_mode_32 3
		.amdhsa_float_denorm_mode_16_64 3
		.amdhsa_dx10_clamp 1
		.amdhsa_ieee_mode 1
		.amdhsa_fp16_overflow 0
		.amdhsa_exception_fp_ieee_invalid_op 0
		.amdhsa_exception_fp_denorm_src 0
		.amdhsa_exception_fp_ieee_div_zero 0
		.amdhsa_exception_fp_ieee_overflow 0
		.amdhsa_exception_fp_ieee_underflow 0
		.amdhsa_exception_fp_ieee_inexact 0
		.amdhsa_exception_int_div_zero 0
	.end_amdhsa_kernel
	.section	.text._ZN2at6native32elementwise_kernel_manual_unrollILi128ELi4EZNS0_15gpu_kernel_implINS0_11FillFunctorIaEEEEvRNS_18TensorIteratorBaseERKT_EUlibE_EEviT1_,"axG",@progbits,_ZN2at6native32elementwise_kernel_manual_unrollILi128ELi4EZNS0_15gpu_kernel_implINS0_11FillFunctorIaEEEEvRNS_18TensorIteratorBaseERKT_EUlibE_EEviT1_,comdat
.Lfunc_end14:
	.size	_ZN2at6native32elementwise_kernel_manual_unrollILi128ELi4EZNS0_15gpu_kernel_implINS0_11FillFunctorIaEEEEvRNS_18TensorIteratorBaseERKT_EUlibE_EEviT1_, .Lfunc_end14-_ZN2at6native32elementwise_kernel_manual_unrollILi128ELi4EZNS0_15gpu_kernel_implINS0_11FillFunctorIaEEEEvRNS_18TensorIteratorBaseERKT_EUlibE_EEviT1_
                                        ; -- End function
	.set _ZN2at6native32elementwise_kernel_manual_unrollILi128ELi4EZNS0_15gpu_kernel_implINS0_11FillFunctorIaEEEEvRNS_18TensorIteratorBaseERKT_EUlibE_EEviT1_.num_vgpr, 18
	.set _ZN2at6native32elementwise_kernel_manual_unrollILi128ELi4EZNS0_15gpu_kernel_implINS0_11FillFunctorIaEEEEvRNS_18TensorIteratorBaseERKT_EUlibE_EEviT1_.num_agpr, 0
	.set _ZN2at6native32elementwise_kernel_manual_unrollILi128ELi4EZNS0_15gpu_kernel_implINS0_11FillFunctorIaEEEEvRNS_18TensorIteratorBaseERKT_EUlibE_EEviT1_.numbered_sgpr, 62
	.set _ZN2at6native32elementwise_kernel_manual_unrollILi128ELi4EZNS0_15gpu_kernel_implINS0_11FillFunctorIaEEEEvRNS_18TensorIteratorBaseERKT_EUlibE_EEviT1_.num_named_barrier, 0
	.set _ZN2at6native32elementwise_kernel_manual_unrollILi128ELi4EZNS0_15gpu_kernel_implINS0_11FillFunctorIaEEEEvRNS_18TensorIteratorBaseERKT_EUlibE_EEviT1_.private_seg_size, 0
	.set _ZN2at6native32elementwise_kernel_manual_unrollILi128ELi4EZNS0_15gpu_kernel_implINS0_11FillFunctorIaEEEEvRNS_18TensorIteratorBaseERKT_EUlibE_EEviT1_.uses_vcc, 1
	.set _ZN2at6native32elementwise_kernel_manual_unrollILi128ELi4EZNS0_15gpu_kernel_implINS0_11FillFunctorIaEEEEvRNS_18TensorIteratorBaseERKT_EUlibE_EEviT1_.uses_flat_scratch, 0
	.set _ZN2at6native32elementwise_kernel_manual_unrollILi128ELi4EZNS0_15gpu_kernel_implINS0_11FillFunctorIaEEEEvRNS_18TensorIteratorBaseERKT_EUlibE_EEviT1_.has_dyn_sized_stack, 0
	.set _ZN2at6native32elementwise_kernel_manual_unrollILi128ELi4EZNS0_15gpu_kernel_implINS0_11FillFunctorIaEEEEvRNS_18TensorIteratorBaseERKT_EUlibE_EEviT1_.has_recursion, 0
	.set _ZN2at6native32elementwise_kernel_manual_unrollILi128ELi4EZNS0_15gpu_kernel_implINS0_11FillFunctorIaEEEEvRNS_18TensorIteratorBaseERKT_EUlibE_EEviT1_.has_indirect_call, 0
	.section	.AMDGPU.csdata,"",@progbits
; Kernel info:
; codeLenInByte = 12824
; TotalNumSgprs: 66
; NumVgprs: 18
; ScratchSize: 0
; MemoryBound: 0
; FloatMode: 240
; IeeeMode: 1
; LDSByteSize: 0 bytes/workgroup (compile time only)
; SGPRBlocks: 8
; VGPRBlocks: 4
; NumSGPRsForWavesPerEU: 66
; NumVGPRsForWavesPerEU: 18
; Occupancy: 10
; WaveLimiterHint : 0
; COMPUTE_PGM_RSRC2:SCRATCH_EN: 0
; COMPUTE_PGM_RSRC2:USER_SGPR: 6
; COMPUTE_PGM_RSRC2:TRAP_HANDLER: 0
; COMPUTE_PGM_RSRC2:TGID_X_EN: 1
; COMPUTE_PGM_RSRC2:TGID_Y_EN: 0
; COMPUTE_PGM_RSRC2:TGID_Z_EN: 0
; COMPUTE_PGM_RSRC2:TIDIG_COMP_CNT: 0
	.section	.text._ZN2at6native32elementwise_kernel_manual_unrollILi128ELi4EZNS0_15gpu_kernel_implINS0_11FillFunctorIaEEEEvRNS_18TensorIteratorBaseERKT_EUlibE0_EEviT1_,"axG",@progbits,_ZN2at6native32elementwise_kernel_manual_unrollILi128ELi4EZNS0_15gpu_kernel_implINS0_11FillFunctorIaEEEEvRNS_18TensorIteratorBaseERKT_EUlibE0_EEviT1_,comdat
	.protected	_ZN2at6native32elementwise_kernel_manual_unrollILi128ELi4EZNS0_15gpu_kernel_implINS0_11FillFunctorIaEEEEvRNS_18TensorIteratorBaseERKT_EUlibE0_EEviT1_ ; -- Begin function _ZN2at6native32elementwise_kernel_manual_unrollILi128ELi4EZNS0_15gpu_kernel_implINS0_11FillFunctorIaEEEEvRNS_18TensorIteratorBaseERKT_EUlibE0_EEviT1_
	.globl	_ZN2at6native32elementwise_kernel_manual_unrollILi128ELi4EZNS0_15gpu_kernel_implINS0_11FillFunctorIaEEEEvRNS_18TensorIteratorBaseERKT_EUlibE0_EEviT1_
	.p2align	8
	.type	_ZN2at6native32elementwise_kernel_manual_unrollILi128ELi4EZNS0_15gpu_kernel_implINS0_11FillFunctorIaEEEEvRNS_18TensorIteratorBaseERKT_EUlibE0_EEviT1_,@function
_ZN2at6native32elementwise_kernel_manual_unrollILi128ELi4EZNS0_15gpu_kernel_implINS0_11FillFunctorIaEEEEvRNS_18TensorIteratorBaseERKT_EUlibE0_EEviT1_: ; @_ZN2at6native32elementwise_kernel_manual_unrollILi128ELi4EZNS0_15gpu_kernel_implINS0_11FillFunctorIaEEEEvRNS_18TensorIteratorBaseERKT_EUlibE0_EEviT1_
; %bb.0:
	s_load_dword s93, s[4:5], 0x0
	s_load_dword s33, s[4:5], 0x8
	s_add_u32 s28, s4, 8
	s_addc_u32 s29, s5, 0
	v_lshl_or_b32 v8, s6, 9, v0
	v_or_b32_e32 v9, 0x180, v8
	s_waitcnt lgkmcnt(0)
	s_add_i32 s37, s33, -1
	s_cmp_gt_u32 s37, 1
	v_cmp_le_i32_e32 vcc, s93, v9
	s_cselect_b64 s[30:31], -1, 0
	s_mov_b64 s[6:7], 0
	s_mov_b64 s[20:21], 0
	s_and_saveexec_b64 s[0:1], vcc
	s_xor_b64 s[34:35], exec, s[0:1]
	s_cbranch_execz .LBB15_462
; %bb.1:
	s_load_dwordx2 s[58:59], s[28:29], 0xc4
	s_load_dwordx2 s[56:57], s[28:29], 0x108
	s_load_dword s36, s[28:29], 0x110
	s_cmp_lg_u32 s33, 0
	s_cselect_b64 s[66:67], -1, 0
	s_add_u32 s64, s28, 0xc4
	s_addc_u32 s65, s29, 0
	s_min_u32 s94, s37, 15
	s_cmp_gt_u32 s33, 1
	s_cselect_b64 s[60:61], -1, 0
	s_waitcnt lgkmcnt(0)
	s_bfe_i32 s83, s36, 0x80000
	s_sext_i32_i16 s10, s83
	v_cvt_f32_i32_e32 v4, s10
	s_movk_i32 s1, 0xff
	s_and_b32 s0, s36, 0xffff
	s_sext_i32_i8 s84, s0
	v_and_b32_e32 v2, 0x400000, v4
	v_bfe_u32 v1, v4, 23, 8
	v_cmp_ne_u32_e32 vcc, 0, v2
	v_and_b32_e32 v2, 0x3fffff, v4
	v_cmp_eq_u32_e64 s[4:5], s1, v1
	v_or_b32_e32 v1, v1, v2
	v_cmp_ne_u32_e64 s[0:1], 0, v1
	v_readfirstlane_b32 s9, v4
	s_and_b32 s8, s36, 0xff
	s_bfe_u32 s82, s36, 0x80008
	s_bfe_i64 s[38:39], s[36:37], 0x80000
	s_and_b64 s[0:1], vcc, s[0:1]
	s_and_b32 s11, s9, 0x7fffffff
	s_cmp_lt_u32 s11, 0x43800000
	s_cselect_b64 s[52:53], -1, 0
	s_cmp_gt_u32 s11, 0x3bffffff
	v_cndmask_b32_e64 v1, 0, 1, s[0:1]
	s_cselect_b64 s[2:3], -1, 0
	s_bfe_u32 s0, s9, 0x10014
	s_add_i32 s12, s9, s0
	s_add_i32 s0, s12, 0x487ffff
	s_lshr_b32 s92, s0, 20
	s_mov_b32 s0, 0x46000000
	v_add_f32_e64 v14, |v4|, s0
	v_readfirstlane_b32 s0, v14
	s_and_b32 s0, s0, 0xff
	s_cmp_lg_u32 s0, 0
	s_cselect_b64 s[54:55], -1, 0
	s_cmp_gt_u32 s11, 0x477fffff
	s_cselect_b64 s[40:41], -1, 0
	s_cmp_lt_u32 s11, 0x47800000
	s_movk_i32 s0, 0x80
	s_cselect_b64 s[48:49], -1, 0
	s_cmp_gt_u32 s11, 0x37ffffff
	v_and_b32_sdwa v11, v4, s0 dst_sel:DWORD dst_unused:UNUSED_PAD src0_sel:BYTE_3 src1_sel:DWORD
	s_cselect_b64 s[0:1], -1, 0
	s_bfe_u32 s13, s9, 0x10015
	s_add_i32 s9, s9, s13
	s_add_i32 s13, s9, 0x88fffff
	s_lshr_b32 s90, s13, 21
	s_mov_b32 s13, 0x42800000
	v_add_f32_e64 v13, |v4|, s13
	v_readfirstlane_b32 s13, v13
	s_and_b32 s13, s13, 0xff
	s_cmp_lg_u32 s13, 0
	s_cselect_b64 s[50:51], -1, 0
	s_cmp_gt_u32 s11, 0x43efffff
	s_cselect_b64 s[44:45], -1, 0
	s_cmp_lt_u32 s11, 0x3c800000
	s_cselect_b64 s[46:47], -1, 0
	s_add_i32 s12, s12, 0x407ffff
	s_lshr_b32 s13, s12, 20
	s_and_b32 s12, s12, 0xff00000
	s_cmp_lg_u32 s12, 0x7f00000
	s_cselect_b32 s88, s13, 0x7e
	s_cmp_lt_u32 s11, 0x38800000
	s_cselect_b64 s[42:43], -1, 0
	s_add_i32 s9, s9, 0x80fffff
	s_lshr_b32 s85, s9, 21
	v_lshrrev_b32_e32 v0, 23, v4
	s_mov_b32 s12, 0x46800000
	s_cmp_gt_u32 s11, 0x7f800000
	s_movk_i32 s9, 0x7f
	v_add_u32_e32 v15, v0, v1
	v_add_f32_e64 v0, |v4|, s12
	s_cselect_b32 s91, s9, 0x7e
	s_mov_b32 s9, 0x43000000
	v_readfirstlane_b32 s89, v0
	v_add_f32_e64 v0, |v4|, s9
	v_readfirstlane_b32 s86, v0
	v_bfe_u32 v0, v4, 16, 1
	v_add_u32_e32 v0, v4, v0
	v_add_u32_e32 v0, 0x7fff, v0
	s_load_dwordx2 s[62:63], s[28:29], 0x14
	s_load_dwordx4 s[16:19], s[28:29], 0x4
	s_movk_i32 s9, 0x7c
	v_lshrrev_b32_e32 v12, 16, v0
	v_cvt_f64_i32_e32 v[0:1], s10
	s_cselect_b32 s87, 0x7f, s9
	s_cmp_lg_u32 s8, 0
	s_cselect_b64 s[8:9], -1, 0
	v_cndmask_b32_e64 v10, 0, 1, s[8:9]
	v_cvt_f16_i16_e32 v9, s83
	v_cmp_gt_i32_e32 vcc, s93, v8
	s_mov_b64 s[10:11], -1
	s_mov_b64 s[74:75], 0
	s_mov_b64 s[68:69], 0
	s_and_saveexec_b64 s[70:71], vcc
	s_cbranch_execz .LBB15_114
; %bb.2:
	s_andn2_b64 vcc, exec, s[30:31]
	s_cbranch_vccnz .LBB15_7
; %bb.3:
	s_andn2_b64 vcc, exec, s[66:67]
	s_cbranch_vccnz .LBB15_8
; %bb.4:
	s_add_i32 s77, s94, 1
	s_cmp_eq_u32 s37, 2
	s_cbranch_scc1 .LBB15_9
; %bb.5:
	s_and_b32 s76, s77, 28
	s_mov_b32 s78, 0
	v_mov_b32_e32 v2, 0
	s_mov_b64 s[68:69], s[28:29]
	s_mov_b64 s[72:73], s[64:65]
	v_mov_b32_e32 v3, v8
.LBB15_6:                               ; =>This Inner Loop Header: Depth=1
	s_load_dwordx8 s[8:15], s[68:69], 0x4
	s_load_dwordx4 s[20:23], s[68:69], 0x24
	s_load_dwordx4 s[24:27], s[72:73], 0x0
	s_add_u32 s68, s68, 48
	s_addc_u32 s69, s69, 0
	s_waitcnt lgkmcnt(0)
	v_mul_hi_u32 v5, s9, v3
	s_add_i32 s78, s78, 4
	s_add_u32 s72, s72, 16
	s_addc_u32 s73, s73, 0
	v_add_u32_e32 v5, v3, v5
	v_lshrrev_b32_e32 v5, s10, v5
	v_mul_lo_u32 v6, v5, s8
	v_mul_hi_u32 v7, s12, v5
	s_cmp_lg_u32 s76, s78
	v_sub_u32_e32 v3, v3, v6
	v_add_u32_e32 v6, v5, v7
	v_lshrrev_b32_e32 v6, s13, v6
	v_mul_lo_u32 v7, v3, s24
	v_mul_hi_u32 v3, s15, v6
	v_mul_lo_u32 v17, v6, s11
	v_add_u32_e32 v3, v6, v3
	v_lshrrev_b32_e32 v16, s20, v3
	v_mul_hi_u32 v3, s22, v16
	v_sub_u32_e32 v5, v5, v17
	v_mul_lo_u32 v17, v16, s14
	v_mul_lo_u32 v5, v5, s25
	v_add_u32_e32 v3, v16, v3
	v_lshrrev_b32_e32 v3, s23, v3
	v_mul_lo_u32 v18, v3, s21
	v_sub_u32_e32 v6, v6, v17
	v_mul_lo_u32 v6, v6, s26
	v_add3_u32 v2, v7, v2, v5
	v_sub_u32_e32 v16, v16, v18
	v_mul_lo_u32 v16, v16, s27
	v_add3_u32 v2, v6, v2, v16
	s_cbranch_scc1 .LBB15_6
	s_branch .LBB15_10
.LBB15_7:
                                        ; implicit-def: $vgpr2
	s_branch .LBB15_14
.LBB15_8:
	v_mov_b32_e32 v2, 0
	s_branch .LBB15_13
.LBB15_9:
	v_mov_b32_e32 v2, 0
	s_mov_b32 s76, 0
	v_mov_b32_e32 v3, v8
.LBB15_10:
	s_and_b32 s12, s77, 3
	s_cmp_eq_u32 s12, 0
	s_cbranch_scc1 .LBB15_13
; %bb.11:
	s_lshl_b32 s8, s76, 2
	s_add_u32 s8, s28, s8
	s_addc_u32 s9, s29, 0
	s_add_u32 s8, s8, 0xc4
	s_addc_u32 s9, s9, 0
	s_mul_i32 s10, s76, 12
	s_add_u32 s10, s28, s10
	s_addc_u32 s11, s29, 0
.LBB15_12:                              ; =>This Inner Loop Header: Depth=1
	s_load_dwordx2 s[14:15], s[10:11], 0x4
	s_load_dword s13, s[10:11], 0xc
	s_add_u32 s10, s10, 12
	s_addc_u32 s11, s11, 0
	s_waitcnt lgkmcnt(0)
	v_mul_hi_u32 v5, s15, v3
	s_load_dword s15, s[8:9], 0x0
	s_add_u32 s8, s8, 4
	s_addc_u32 s9, s9, 0
	v_add_u32_e32 v5, v3, v5
	v_lshrrev_b32_e32 v5, s13, v5
	v_mul_lo_u32 v6, v5, s14
	s_add_i32 s12, s12, -1
	s_cmp_lg_u32 s12, 0
	v_sub_u32_e32 v3, v3, v6
	s_waitcnt lgkmcnt(0)
	v_mad_u64_u32 v[2:3], s[14:15], v3, s15, v[2:3]
	v_mov_b32_e32 v3, v5
	s_cbranch_scc1 .LBB15_12
.LBB15_13:
	s_cbranch_execnz .LBB15_16
.LBB15_14:
	s_waitcnt lgkmcnt(0)
	v_mul_hi_u32 v2, s17, v8
	s_andn2_b64 vcc, exec, s[60:61]
	v_add_u32_e32 v2, v8, v2
	v_lshrrev_b32_e32 v3, s18, v2
	v_mul_lo_u32 v2, v3, s16
	v_sub_u32_e32 v2, v8, v2
	v_mul_lo_u32 v2, v2, s58
	s_cbranch_vccnz .LBB15_16
; %bb.15:
	v_mul_hi_u32 v5, s62, v3
	v_add_u32_e32 v5, v3, v5
	v_lshrrev_b32_e32 v5, s63, v5
	v_mul_lo_u32 v5, v5, s19
	v_sub_u32_e32 v3, v3, v5
	v_mad_u64_u32 v[2:3], s[8:9], v3, s59, v[2:3]
.LBB15_16:
	v_mov_b32_e32 v3, s57
	s_and_b32 s14, 0xffff, s82
	v_add_co_u32_e32 v6, vcc, s56, v2
	s_cmp_lt_i32 s14, 11
	v_addc_co_u32_e32 v7, vcc, 0, v3, vcc
	s_cbranch_scc1 .LBB15_23
; %bb.17:
	s_cmp_gt_i32 s14, 25
	s_cbranch_scc0 .LBB15_26
; %bb.18:
	s_cmp_gt_i32 s14, 28
	s_cbranch_scc0 .LBB15_27
	;; [unrolled: 3-line block ×4, first 2 shown]
; %bb.21:
	s_mov_b64 s[12:13], 0
	s_mov_b64 s[8:9], -1
	s_cmp_eq_u32 s14, 46
	s_mov_b64 s[10:11], 0
	s_cbranch_scc0 .LBB15_30
; %bb.22:
	global_store_dword v[6:7], v12, off
	s_mov_b64 s[10:11], -1
	s_mov_b64 s[8:9], 0
	s_branch .LBB15_30
.LBB15_23:
	s_mov_b64 s[8:9], 0
	s_mov_b64 s[10:11], 0
	s_cbranch_execnz .LBB15_74
.LBB15_24:
	s_andn2_b64 vcc, exec, s[10:11]
	s_cbranch_vccnz .LBB15_112
.LBB15_25:
	v_add_u32_e32 v8, 0x80, v8
	s_mov_b64 s[10:11], -1
	s_branch .LBB15_113
.LBB15_26:
	s_mov_b64 s[8:9], 0
	s_mov_b64 s[10:11], 0
	s_cbranch_execnz .LBB15_52
	s_branch .LBB15_73
.LBB15_27:
	s_mov_b64 s[12:13], -1
	s_mov_b64 s[8:9], 0
	s_mov_b64 s[10:11], 0
	s_branch .LBB15_38
.LBB15_28:
	s_mov_b64 s[12:13], -1
	s_mov_b64 s[8:9], 0
	s_mov_b64 s[10:11], 0
	s_branch .LBB15_34
.LBB15_29:
	s_mov_b64 s[12:13], -1
	s_mov_b64 s[8:9], 0
	s_mov_b64 s[10:11], 0
.LBB15_30:
	s_and_b64 vcc, exec, s[12:13]
	s_cbranch_vccz .LBB15_33
; %bb.31:
	s_cmp_eq_u32 s14, 44
	s_mov_b64 s[8:9], -1
	s_cbranch_scc0 .LBB15_33
; %bb.32:
	v_mov_b32_e32 v2, 0xffff
	v_cndmask_b32_e64 v2, v15, v2, s[4:5]
	global_store_byte v[6:7], v2, off
	s_mov_b64 s[10:11], -1
	s_mov_b64 s[8:9], 0
.LBB15_33:
	s_mov_b64 s[12:13], 0
.LBB15_34:
	s_and_b64 vcc, exec, s[12:13]
	s_cbranch_vccz .LBB15_37
; %bb.35:
	s_cmp_eq_u32 s14, 29
	s_mov_b64 s[8:9], -1
	s_cbranch_scc0 .LBB15_37
; %bb.36:
	v_mov_b32_e32 v2, s38
	v_mov_b32_e32 v3, s39
	global_store_dwordx2 v[6:7], v[2:3], off
	s_mov_b64 s[10:11], -1
	s_mov_b64 s[8:9], 0
.LBB15_37:
	s_mov_b64 s[12:13], 0
.LBB15_38:
	s_and_b64 vcc, exec, s[12:13]
	s_cbranch_vccz .LBB15_51
; %bb.39:
	s_cmp_lt_i32 s14, 27
	s_mov_b64 s[10:11], -1
	s_cbranch_scc1 .LBB15_45
; %bb.40:
	s_cmp_gt_i32 s14, 27
	s_cbranch_scc0 .LBB15_42
; %bb.41:
	v_mov_b32_e32 v2, s84
	s_mov_b64 s[10:11], 0
	global_store_dword v[6:7], v2, off
.LBB15_42:
	s_andn2_b64 vcc, exec, s[10:11]
	s_cbranch_vccnz .LBB15_44
; %bb.43:
	v_mov_b32_e32 v2, s83
	global_store_short v[6:7], v2, off
.LBB15_44:
	s_mov_b64 s[10:11], 0
.LBB15_45:
	s_andn2_b64 vcc, exec, s[10:11]
	s_cbranch_vccnz .LBB15_50
; %bb.46:
	s_andn2_b64 vcc, exec, s[52:53]
	v_mov_b32_e32 v2, 0x80
	s_cbranch_vccnz .LBB15_49
; %bb.47:
	s_or_b64 s[10:11], s[2:3], s[54:55]
	s_andn2_b64 vcc, exec, s[10:11]
	v_mov_b32_e32 v2, 0
	s_cbranch_vccnz .LBB15_49
; %bb.48:
	v_mov_b32_e32 v2, s92
	v_cndmask_b32_e64 v2, v14, v2, s[2:3]
	v_or_b32_e32 v2, v2, v11
.LBB15_49:
	global_store_byte v[6:7], v2, off
.LBB15_50:
	s_mov_b64 s[10:11], -1
.LBB15_51:
	s_branch .LBB15_73
.LBB15_52:
	s_cmp_gt_i32 s14, 22
	s_mov_b64 s[12:13], -1
	s_cbranch_scc0 .LBB15_65
; %bb.53:
	s_cmp_lt_i32 s14, 24
	s_mov_b64 s[10:11], -1
	s_cbranch_scc1 .LBB15_62
; %bb.54:
	s_cmp_gt_i32 s14, 24
	s_cbranch_scc0 .LBB15_59
; %bb.55:
	s_andn2_b64 vcc, exec, s[48:49]
	v_mov_b32_e32 v2, 0x80
	s_cbranch_vccnz .LBB15_58
; %bb.56:
	s_or_b64 s[10:11], s[0:1], s[50:51]
	s_andn2_b64 vcc, exec, s[10:11]
	v_mov_b32_e32 v2, 0
	s_cbranch_vccnz .LBB15_58
; %bb.57:
	v_mov_b32_e32 v2, s90
	v_cndmask_b32_e64 v2, v13, v2, s[0:1]
	v_or_b32_e32 v2, v2, v11
.LBB15_58:
	s_mov_b64 s[10:11], 0
	global_store_byte v[6:7], v2, off
.LBB15_59:
	s_and_b64 vcc, exec, s[10:11]
	s_cbranch_vccz .LBB15_61
; %bb.60:
	s_and_b64 s[10:11], s[46:47], exec
	s_cselect_b32 s12, s89, s88
	s_and_b64 s[10:11], s[44:45], exec
	s_cselect_b32 s10, s91, s12
	v_or_b32_e32 v2, s10, v11
	global_store_byte v[6:7], v2, off
.LBB15_61:
	s_mov_b64 s[10:11], 0
.LBB15_62:
	s_andn2_b64 vcc, exec, s[10:11]
	s_cbranch_vccnz .LBB15_64
; %bb.63:
	s_and_b64 s[10:11], s[42:43], exec
	s_cselect_b32 s12, s86, s85
	s_and_b64 s[10:11], s[40:41], exec
	s_cselect_b32 s10, s87, s12
	v_or_b32_e32 v2, s10, v11
	global_store_byte v[6:7], v2, off
.LBB15_64:
	s_mov_b64 s[12:13], 0
	s_mov_b64 s[10:11], -1
.LBB15_65:
	s_andn2_b64 vcc, exec, s[12:13]
	s_cbranch_vccnz .LBB15_73
; %bb.66:
	s_cmp_gt_i32 s14, 14
	s_mov_b64 s[12:13], -1
	s_cbranch_scc0 .LBB15_70
; %bb.67:
	s_cmp_eq_u32 s14, 15
	s_mov_b64 s[8:9], -1
	s_cbranch_scc0 .LBB15_69
; %bb.68:
	global_store_short v[6:7], v12, off
	s_mov_b64 s[10:11], -1
	s_mov_b64 s[8:9], 0
.LBB15_69:
	s_mov_b64 s[12:13], 0
.LBB15_70:
	s_and_b64 vcc, exec, s[12:13]
	s_cbranch_vccz .LBB15_73
; %bb.71:
	s_cmp_eq_u32 s14, 11
	s_mov_b64 s[8:9], -1
	s_cbranch_scc0 .LBB15_73
; %bb.72:
	s_mov_b64 s[10:11], -1
	s_mov_b64 s[8:9], 0
	global_store_byte v[6:7], v10, off
.LBB15_73:
	s_branch .LBB15_24
.LBB15_74:
	s_cmp_lt_i32 s14, 5
	s_mov_b64 s[10:11], -1
	s_cbranch_scc1 .LBB15_95
; %bb.75:
	s_cmp_lt_i32 s14, 8
	s_cbranch_scc1 .LBB15_85
; %bb.76:
	s_cmp_lt_i32 s14, 9
	s_cbranch_scc1 .LBB15_82
; %bb.77:
	s_cmp_gt_i32 s14, 9
	s_cbranch_scc0 .LBB15_79
; %bb.78:
	v_mov_b32_e32 v2, 0
	v_mov_b32_e32 v3, v2
	global_store_dwordx4 v[6:7], v[0:3], off
	s_mov_b64 s[10:11], 0
.LBB15_79:
	s_andn2_b64 vcc, exec, s[10:11]
	s_cbranch_vccnz .LBB15_81
; %bb.80:
	v_mov_b32_e32 v5, 0
	global_store_dwordx2 v[6:7], v[4:5], off
.LBB15_81:
	s_mov_b64 s[10:11], 0
.LBB15_82:
	s_andn2_b64 vcc, exec, s[10:11]
	s_cbranch_vccnz .LBB15_84
; %bb.83:
	global_store_dword v[6:7], v9, off
.LBB15_84:
	s_mov_b64 s[10:11], 0
.LBB15_85:
	s_andn2_b64 vcc, exec, s[10:11]
	s_cbranch_vccnz .LBB15_94
; %bb.86:
	s_cmp_lt_i32 s14, 6
	s_mov_b64 s[10:11], -1
	s_cbranch_scc1 .LBB15_92
; %bb.87:
	s_cmp_gt_i32 s14, 6
	s_cbranch_scc0 .LBB15_89
; %bb.88:
	global_store_dwordx2 v[6:7], v[0:1], off
	s_mov_b64 s[10:11], 0
.LBB15_89:
	s_andn2_b64 vcc, exec, s[10:11]
	s_cbranch_vccnz .LBB15_91
; %bb.90:
	global_store_dword v[6:7], v4, off
.LBB15_91:
	s_mov_b64 s[10:11], 0
.LBB15_92:
	s_andn2_b64 vcc, exec, s[10:11]
	s_cbranch_vccnz .LBB15_94
; %bb.93:
	global_store_short v[6:7], v9, off
.LBB15_94:
	s_mov_b64 s[10:11], 0
.LBB15_95:
	s_andn2_b64 vcc, exec, s[10:11]
	s_cbranch_vccnz .LBB15_111
; %bb.96:
	s_cmp_lt_i32 s14, 2
	s_mov_b64 s[10:11], -1
	s_cbranch_scc1 .LBB15_106
; %bb.97:
	s_cmp_lt_i32 s14, 3
	s_cbranch_scc1 .LBB15_103
; %bb.98:
	s_cmp_gt_i32 s14, 3
	s_cbranch_scc0 .LBB15_100
; %bb.99:
	v_mov_b32_e32 v2, s38
	v_mov_b32_e32 v3, s39
	global_store_dwordx2 v[6:7], v[2:3], off
	s_mov_b64 s[10:11], 0
.LBB15_100:
	s_andn2_b64 vcc, exec, s[10:11]
	s_cbranch_vccnz .LBB15_102
; %bb.101:
	v_mov_b32_e32 v2, s84
	global_store_dword v[6:7], v2, off
.LBB15_102:
	s_mov_b64 s[10:11], 0
.LBB15_103:
	s_andn2_b64 vcc, exec, s[10:11]
	s_cbranch_vccnz .LBB15_105
; %bb.104:
	v_mov_b32_e32 v2, s83
	global_store_short v[6:7], v2, off
.LBB15_105:
	s_mov_b64 s[10:11], 0
.LBB15_106:
	s_andn2_b64 vcc, exec, s[10:11]
	s_cbranch_vccnz .LBB15_111
; %bb.107:
	s_cmp_gt_i32 s14, 0
	s_mov_b64 s[10:11], -1
	s_cbranch_scc0 .LBB15_109
; %bb.108:
	v_mov_b32_e32 v2, s36
	global_store_byte v[6:7], v2, off
	s_mov_b64 s[10:11], 0
.LBB15_109:
	s_andn2_b64 vcc, exec, s[10:11]
	s_cbranch_vccnz .LBB15_111
; %bb.110:
	v_mov_b32_e32 v2, s36
	global_store_byte v[6:7], v2, off
.LBB15_111:
	s_branch .LBB15_25
.LBB15_112:
	s_mov_b64 s[10:11], 0
                                        ; implicit-def: $vgpr8
.LBB15_113:
	s_and_b64 s[68:69], s[8:9], exec
	s_orn2_b64 s[10:11], s[10:11], exec
.LBB15_114:
	s_or_b64 exec, exec, s[70:71]
	s_mov_b64 s[8:9], 0
                                        ; implicit-def: $vgpr6_vgpr7
	s_and_saveexec_b64 s[70:71], s[10:11]
	s_cbranch_execz .LBB15_121
; %bb.115:
	v_cmp_gt_i32_e32 vcc, s93, v8
	s_mov_b64 s[8:9], -1
	s_mov_b64 s[72:73], s[68:69]
	s_and_saveexec_b64 s[74:75], vcc
	s_cbranch_execz .LBB15_232
; %bb.116:
	s_andn2_b64 vcc, exec, s[30:31]
	s_cbranch_vccnz .LBB15_124
; %bb.117:
	s_andn2_b64 vcc, exec, s[66:67]
	s_cbranch_vccnz .LBB15_125
; %bb.118:
	s_add_i32 s79, s94, 1
	s_cmp_eq_u32 s37, 2
	s_cbranch_scc1 .LBB15_126
; %bb.119:
	s_and_b32 s78, s79, 28
	s_mov_b32 s80, 0
	v_mov_b32_e32 v2, 0
	s_mov_b64 s[72:73], s[28:29]
	s_mov_b64 s[76:77], s[64:65]
	v_mov_b32_e32 v3, v8
.LBB15_120:                             ; =>This Inner Loop Header: Depth=1
	s_load_dwordx8 s[8:15], s[72:73], 0x4
	s_load_dwordx4 s[20:23], s[72:73], 0x24
	s_load_dwordx4 s[24:27], s[76:77], 0x0
	s_add_u32 s72, s72, 48
	s_addc_u32 s73, s73, 0
	s_waitcnt lgkmcnt(0)
	v_mul_hi_u32 v5, s9, v3
	s_add_i32 s80, s80, 4
	s_add_u32 s76, s76, 16
	s_addc_u32 s77, s77, 0
	v_add_u32_e32 v5, v3, v5
	v_lshrrev_b32_e32 v5, s10, v5
	v_mul_lo_u32 v6, v5, s8
	v_mul_hi_u32 v7, s12, v5
	s_cmp_eq_u32 s78, s80
	v_sub_u32_e32 v3, v3, v6
	v_add_u32_e32 v6, v5, v7
	v_lshrrev_b32_e32 v6, s13, v6
	v_mul_lo_u32 v7, v3, s24
	v_mul_hi_u32 v3, s15, v6
	v_mul_lo_u32 v17, v6, s11
	v_add_u32_e32 v3, v6, v3
	v_lshrrev_b32_e32 v16, s20, v3
	v_mul_hi_u32 v3, s22, v16
	v_sub_u32_e32 v5, v5, v17
	v_mul_lo_u32 v17, v16, s14
	v_mul_lo_u32 v5, v5, s25
	v_add_u32_e32 v3, v16, v3
	v_lshrrev_b32_e32 v3, s23, v3
	v_mul_lo_u32 v18, v3, s21
	v_sub_u32_e32 v6, v6, v17
	v_mul_lo_u32 v6, v6, s26
	v_add3_u32 v2, v7, v2, v5
	v_sub_u32_e32 v16, v16, v18
	v_mul_lo_u32 v16, v16, s27
	v_add3_u32 v2, v6, v2, v16
	s_cbranch_scc0 .LBB15_120
	s_branch .LBB15_127
.LBB15_121:
	s_or_b64 exec, exec, s[70:71]
	s_mov_b64 s[0:1], 0
	s_and_saveexec_b64 s[2:3], s[68:69]
	s_cbranch_execnz .LBB15_422
.LBB15_122:
	s_or_b64 exec, exec, s[2:3]
	s_and_saveexec_b64 s[2:3], s[74:75]
	s_xor_b64 s[2:3], exec, s[2:3]
	s_cbranch_execz .LBB15_423
.LBB15_123:
	global_store_byte v[6:7], v10, off
	s_or_b64 exec, exec, s[2:3]
	s_and_saveexec_b64 s[2:3], s[8:9]
	s_xor_b64 s[2:3], exec, s[2:3]
	s_cbranch_execz .LBB15_461
	s_branch .LBB15_424
.LBB15_124:
                                        ; implicit-def: $vgpr2
	s_andn2_b64 vcc, exec, s[8:9]
	s_cbranch_vccz .LBB15_131
	s_branch .LBB15_133
.LBB15_125:
	v_mov_b32_e32 v2, 0
	s_branch .LBB15_130
.LBB15_126:
	v_mov_b32_e32 v2, 0
	s_mov_b32 s78, 0
	v_mov_b32_e32 v3, v8
.LBB15_127:
	s_and_b32 s12, s79, 3
	s_cmp_eq_u32 s12, 0
	s_cbranch_scc1 .LBB15_130
; %bb.128:
	s_lshl_b32 s8, s78, 2
	s_add_u32 s8, s28, s8
	s_addc_u32 s9, s29, 0
	s_add_u32 s8, s8, 0xc4
	s_addc_u32 s9, s9, 0
	s_mul_i32 s10, s78, 12
	s_add_u32 s10, s28, s10
	s_addc_u32 s11, s29, 0
.LBB15_129:                             ; =>This Inner Loop Header: Depth=1
	s_load_dwordx2 s[14:15], s[10:11], 0x4
	s_load_dword s13, s[10:11], 0xc
	s_add_u32 s10, s10, 12
	s_addc_u32 s11, s11, 0
	s_waitcnt lgkmcnt(0)
	v_mul_hi_u32 v5, s15, v3
	s_load_dword s15, s[8:9], 0x0
	s_add_u32 s8, s8, 4
	s_addc_u32 s9, s9, 0
	v_add_u32_e32 v5, v3, v5
	v_lshrrev_b32_e32 v5, s13, v5
	v_mul_lo_u32 v6, v5, s14
	s_add_i32 s12, s12, -1
	s_cmp_lg_u32 s12, 0
	v_sub_u32_e32 v3, v3, v6
	s_waitcnt lgkmcnt(0)
	v_mad_u64_u32 v[2:3], s[14:15], v3, s15, v[2:3]
	v_mov_b32_e32 v3, v5
	s_cbranch_scc1 .LBB15_129
.LBB15_130:
	s_cbranch_execnz .LBB15_133
.LBB15_131:
	s_waitcnt lgkmcnt(0)
	v_mul_hi_u32 v2, s17, v8
	s_andn2_b64 vcc, exec, s[60:61]
	v_add_u32_e32 v2, v8, v2
	v_lshrrev_b32_e32 v3, s18, v2
	v_mul_lo_u32 v2, v3, s16
	v_sub_u32_e32 v2, v8, v2
	v_mul_lo_u32 v2, v2, s58
	s_cbranch_vccnz .LBB15_133
; %bb.132:
	v_mul_hi_u32 v5, s62, v3
	v_add_u32_e32 v5, v3, v5
	v_lshrrev_b32_e32 v5, s63, v5
	v_mul_lo_u32 v5, v5, s19
	v_sub_u32_e32 v3, v3, v5
	v_mad_u64_u32 v[2:3], s[8:9], v3, s59, v[2:3]
.LBB15_133:
	v_mov_b32_e32 v3, s57
	s_and_b32 s14, 0xffff, s82
	v_add_co_u32_e32 v6, vcc, s56, v2
	s_cmp_lt_i32 s14, 11
	v_addc_co_u32_e32 v7, vcc, 0, v3, vcc
	s_cbranch_scc1 .LBB15_140
; %bb.134:
	s_cmp_gt_i32 s14, 25
	s_cbranch_scc0 .LBB15_143
; %bb.135:
	s_cmp_gt_i32 s14, 28
	s_cbranch_scc0 .LBB15_144
	;; [unrolled: 3-line block ×4, first 2 shown]
; %bb.138:
	s_mov_b64 s[12:13], 0
	s_mov_b64 s[8:9], -1
	s_cmp_eq_u32 s14, 46
	s_mov_b64 s[10:11], 0
	s_cbranch_scc0 .LBB15_147
; %bb.139:
	global_store_dword v[6:7], v12, off
	s_mov_b64 s[10:11], -1
	s_mov_b64 s[8:9], 0
	s_branch .LBB15_147
.LBB15_140:
	s_mov_b64 s[10:11], 0
	s_mov_b64 s[8:9], s[68:69]
	s_cbranch_execnz .LBB15_192
.LBB15_141:
	s_andn2_b64 vcc, exec, s[10:11]
	s_cbranch_vccnz .LBB15_230
.LBB15_142:
	v_add_u32_e32 v8, 0x80, v8
	s_mov_b64 s[10:11], -1
	s_branch .LBB15_231
.LBB15_143:
	s_mov_b64 s[12:13], -1
	s_mov_b64 s[10:11], 0
	s_mov_b64 s[8:9], s[68:69]
	s_branch .LBB15_169
.LBB15_144:
	s_mov_b64 s[12:13], -1
	s_mov_b64 s[10:11], 0
	s_mov_b64 s[8:9], s[68:69]
	s_branch .LBB15_155
.LBB15_145:
	s_mov_b64 s[12:13], -1
	s_mov_b64 s[10:11], 0
	s_mov_b64 s[8:9], s[68:69]
	s_branch .LBB15_151
.LBB15_146:
	s_mov_b64 s[12:13], -1
	s_mov_b64 s[10:11], 0
	s_mov_b64 s[8:9], s[68:69]
.LBB15_147:
	s_and_b64 vcc, exec, s[12:13]
	s_cbranch_vccz .LBB15_150
; %bb.148:
	s_cmp_eq_u32 s14, 44
	s_mov_b64 s[8:9], -1
	s_cbranch_scc0 .LBB15_150
; %bb.149:
	v_mov_b32_e32 v2, 0xffff
	v_cndmask_b32_e64 v2, v15, v2, s[4:5]
	s_mov_b64 s[10:11], -1
	s_mov_b64 s[8:9], 0
	global_store_byte v[6:7], v2, off
.LBB15_150:
	s_mov_b64 s[12:13], 0
.LBB15_151:
	s_and_b64 vcc, exec, s[12:13]
	s_cbranch_vccz .LBB15_154
; %bb.152:
	s_cmp_eq_u32 s14, 29
	s_mov_b64 s[8:9], -1
	s_cbranch_scc0 .LBB15_154
; %bb.153:
	v_mov_b32_e32 v2, s38
	v_mov_b32_e32 v3, s39
	global_store_dwordx2 v[6:7], v[2:3], off
	s_mov_b64 s[10:11], -1
	s_mov_b64 s[8:9], 0
.LBB15_154:
	s_mov_b64 s[12:13], 0
.LBB15_155:
	s_and_b64 vcc, exec, s[12:13]
	s_cbranch_vccz .LBB15_168
; %bb.156:
	s_cmp_lt_i32 s14, 27
	s_mov_b64 s[10:11], -1
	s_cbranch_scc1 .LBB15_162
; %bb.157:
	s_cmp_gt_i32 s14, 27
	s_cbranch_scc0 .LBB15_159
; %bb.158:
	v_mov_b32_e32 v2, s84
	s_mov_b64 s[10:11], 0
	global_store_dword v[6:7], v2, off
.LBB15_159:
	s_andn2_b64 vcc, exec, s[10:11]
	s_cbranch_vccnz .LBB15_161
; %bb.160:
	v_mov_b32_e32 v2, s83
	global_store_short v[6:7], v2, off
.LBB15_161:
	s_mov_b64 s[10:11], 0
.LBB15_162:
	s_andn2_b64 vcc, exec, s[10:11]
	s_cbranch_vccnz .LBB15_167
; %bb.163:
	s_andn2_b64 vcc, exec, s[52:53]
	v_mov_b32_e32 v2, 0x80
	s_cbranch_vccnz .LBB15_166
; %bb.164:
	s_or_b64 s[10:11], s[2:3], s[54:55]
	s_andn2_b64 vcc, exec, s[10:11]
	v_mov_b32_e32 v2, 0
	s_cbranch_vccnz .LBB15_166
; %bb.165:
	v_mov_b32_e32 v2, s92
	v_cndmask_b32_e64 v2, v14, v2, s[2:3]
	v_or_b32_e32 v2, v2, v11
.LBB15_166:
	global_store_byte v[6:7], v2, off
.LBB15_167:
	s_mov_b64 s[10:11], -1
.LBB15_168:
	s_mov_b64 s[12:13], 0
.LBB15_169:
	s_and_b64 vcc, exec, s[12:13]
	s_cbranch_vccz .LBB15_191
; %bb.170:
	s_cmp_gt_i32 s14, 22
	s_mov_b64 s[12:13], -1
	s_cbranch_scc0 .LBB15_183
; %bb.171:
	s_cmp_lt_i32 s14, 24
	s_mov_b64 s[10:11], -1
	s_cbranch_scc1 .LBB15_180
; %bb.172:
	s_cmp_gt_i32 s14, 24
	s_cbranch_scc0 .LBB15_177
; %bb.173:
	s_andn2_b64 vcc, exec, s[48:49]
	v_mov_b32_e32 v2, 0x80
	s_cbranch_vccnz .LBB15_176
; %bb.174:
	s_or_b64 s[10:11], s[0:1], s[50:51]
	s_andn2_b64 vcc, exec, s[10:11]
	v_mov_b32_e32 v2, 0
	s_cbranch_vccnz .LBB15_176
; %bb.175:
	v_mov_b32_e32 v2, s90
	v_cndmask_b32_e64 v2, v13, v2, s[0:1]
	v_or_b32_e32 v2, v2, v11
.LBB15_176:
	s_mov_b64 s[10:11], 0
	global_store_byte v[6:7], v2, off
.LBB15_177:
	s_and_b64 vcc, exec, s[10:11]
	s_cbranch_vccz .LBB15_179
; %bb.178:
	s_and_b64 s[10:11], s[46:47], exec
	s_cselect_b32 s12, s89, s88
	s_and_b64 s[10:11], s[44:45], exec
	s_cselect_b32 s10, s91, s12
	v_or_b32_e32 v2, s10, v11
	global_store_byte v[6:7], v2, off
.LBB15_179:
	s_mov_b64 s[10:11], 0
.LBB15_180:
	s_andn2_b64 vcc, exec, s[10:11]
	s_cbranch_vccnz .LBB15_182
; %bb.181:
	s_and_b64 s[10:11], s[42:43], exec
	s_cselect_b32 s12, s86, s85
	s_and_b64 s[10:11], s[40:41], exec
	s_cselect_b32 s10, s87, s12
	v_or_b32_e32 v2, s10, v11
	global_store_byte v[6:7], v2, off
.LBB15_182:
	s_mov_b64 s[12:13], 0
	s_mov_b64 s[10:11], -1
.LBB15_183:
	s_andn2_b64 vcc, exec, s[12:13]
	s_cbranch_vccnz .LBB15_191
; %bb.184:
	s_cmp_gt_i32 s14, 14
	s_mov_b64 s[12:13], -1
	s_cbranch_scc0 .LBB15_188
; %bb.185:
	s_cmp_eq_u32 s14, 15
	s_mov_b64 s[8:9], -1
	s_cbranch_scc0 .LBB15_187
; %bb.186:
	global_store_short v[6:7], v12, off
	s_mov_b64 s[10:11], -1
	s_mov_b64 s[8:9], 0
.LBB15_187:
	s_mov_b64 s[12:13], 0
.LBB15_188:
	s_and_b64 vcc, exec, s[12:13]
	s_cbranch_vccz .LBB15_191
; %bb.189:
	s_cmp_eq_u32 s14, 11
	s_mov_b64 s[8:9], -1
	s_cbranch_scc0 .LBB15_191
; %bb.190:
	s_mov_b64 s[10:11], -1
	s_mov_b64 s[8:9], 0
	global_store_byte v[6:7], v10, off
.LBB15_191:
	s_branch .LBB15_141
.LBB15_192:
	s_cmp_lt_i32 s14, 5
	s_mov_b64 s[10:11], -1
	s_cbranch_scc1 .LBB15_213
; %bb.193:
	s_cmp_lt_i32 s14, 8
	s_cbranch_scc1 .LBB15_203
; %bb.194:
	s_cmp_lt_i32 s14, 9
	s_cbranch_scc1 .LBB15_200
; %bb.195:
	s_cmp_gt_i32 s14, 9
	s_cbranch_scc0 .LBB15_197
; %bb.196:
	v_mov_b32_e32 v2, 0
	v_mov_b32_e32 v3, v2
	s_mov_b64 s[10:11], 0
	global_store_dwordx4 v[6:7], v[0:3], off
.LBB15_197:
	s_andn2_b64 vcc, exec, s[10:11]
	s_cbranch_vccnz .LBB15_199
; %bb.198:
	v_mov_b32_e32 v5, 0
	global_store_dwordx2 v[6:7], v[4:5], off
.LBB15_199:
	s_mov_b64 s[10:11], 0
.LBB15_200:
	s_andn2_b64 vcc, exec, s[10:11]
	s_cbranch_vccnz .LBB15_202
; %bb.201:
	global_store_dword v[6:7], v9, off
.LBB15_202:
	s_mov_b64 s[10:11], 0
.LBB15_203:
	s_andn2_b64 vcc, exec, s[10:11]
	s_cbranch_vccnz .LBB15_212
; %bb.204:
	s_cmp_lt_i32 s14, 6
	s_mov_b64 s[10:11], -1
	s_cbranch_scc1 .LBB15_210
; %bb.205:
	s_cmp_gt_i32 s14, 6
	s_cbranch_scc0 .LBB15_207
; %bb.206:
	s_mov_b64 s[10:11], 0
	global_store_dwordx2 v[6:7], v[0:1], off
.LBB15_207:
	s_andn2_b64 vcc, exec, s[10:11]
	s_cbranch_vccnz .LBB15_209
; %bb.208:
	global_store_dword v[6:7], v4, off
.LBB15_209:
	s_mov_b64 s[10:11], 0
.LBB15_210:
	s_andn2_b64 vcc, exec, s[10:11]
	s_cbranch_vccnz .LBB15_212
; %bb.211:
	global_store_short v[6:7], v9, off
.LBB15_212:
	s_mov_b64 s[10:11], 0
.LBB15_213:
	s_andn2_b64 vcc, exec, s[10:11]
	s_cbranch_vccnz .LBB15_229
; %bb.214:
	s_cmp_lt_i32 s14, 2
	s_mov_b64 s[10:11], -1
	s_cbranch_scc1 .LBB15_224
; %bb.215:
	s_cmp_lt_i32 s14, 3
	s_cbranch_scc1 .LBB15_221
; %bb.216:
	s_cmp_gt_i32 s14, 3
	s_cbranch_scc0 .LBB15_218
; %bb.217:
	v_mov_b32_e32 v2, s38
	v_mov_b32_e32 v3, s39
	s_mov_b64 s[10:11], 0
	global_store_dwordx2 v[6:7], v[2:3], off
.LBB15_218:
	s_andn2_b64 vcc, exec, s[10:11]
	s_cbranch_vccnz .LBB15_220
; %bb.219:
	v_mov_b32_e32 v2, s84
	global_store_dword v[6:7], v2, off
.LBB15_220:
	s_mov_b64 s[10:11], 0
.LBB15_221:
	s_andn2_b64 vcc, exec, s[10:11]
	s_cbranch_vccnz .LBB15_223
; %bb.222:
	v_mov_b32_e32 v2, s83
	global_store_short v[6:7], v2, off
.LBB15_223:
	s_mov_b64 s[10:11], 0
.LBB15_224:
	s_andn2_b64 vcc, exec, s[10:11]
	s_cbranch_vccnz .LBB15_229
; %bb.225:
	s_cmp_gt_i32 s14, 0
	s_mov_b64 s[10:11], -1
	s_cbranch_scc0 .LBB15_227
; %bb.226:
	v_mov_b32_e32 v2, s36
	s_mov_b64 s[10:11], 0
	global_store_byte v[6:7], v2, off
.LBB15_227:
	s_andn2_b64 vcc, exec, s[10:11]
	s_cbranch_vccnz .LBB15_229
; %bb.228:
	v_mov_b32_e32 v2, s36
	global_store_byte v[6:7], v2, off
.LBB15_229:
	s_branch .LBB15_142
.LBB15_230:
	s_mov_b64 s[10:11], 0
                                        ; implicit-def: $vgpr8
.LBB15_231:
	s_andn2_b64 s[12:13], s[68:69], exec
	s_and_b64 s[8:9], s[8:9], exec
	s_or_b64 s[72:73], s[12:13], s[8:9]
	s_orn2_b64 s[8:9], s[10:11], exec
.LBB15_232:
	s_or_b64 exec, exec, s[74:75]
	s_mov_b64 s[10:11], 0
	s_mov_b64 s[12:13], 0
                                        ; implicit-def: $vgpr6_vgpr7
	s_and_saveexec_b64 s[74:75], s[8:9]
	s_cbranch_execz .LBB15_421
; %bb.233:
	v_cmp_gt_i32_e32 vcc, s93, v8
	s_mov_b64 s[10:11], -1
	s_mov_b64 s[78:79], s[72:73]
	s_and_saveexec_b64 s[76:77], vcc
	s_cbranch_execz .LBB15_349
; %bb.234:
	s_andn2_b64 vcc, exec, s[30:31]
	s_cbranch_vccnz .LBB15_239
; %bb.235:
	s_andn2_b64 vcc, exec, s[66:67]
	s_cbranch_vccnz .LBB15_240
; %bb.236:
	s_add_i32 vcc_lo, s94, 1
	s_cmp_eq_u32 s37, 2
	s_cbranch_scc1 .LBB15_241
; %bb.237:
	s_and_b32 s95, vcc_lo, 28
	s_mov_b32 vcc_hi, 0
	v_mov_b32_e32 v2, 0
	s_mov_b64 s[78:79], s[28:29]
	s_mov_b64 s[80:81], s[64:65]
	v_mov_b32_e32 v3, v8
.LBB15_238:                             ; =>This Inner Loop Header: Depth=1
	s_load_dwordx8 s[8:15], s[78:79], 0x4
	s_load_dwordx4 s[20:23], s[78:79], 0x24
	s_load_dwordx4 s[24:27], s[80:81], 0x0
	s_add_u32 s78, s78, 48
	s_addc_u32 s79, s79, 0
	s_waitcnt lgkmcnt(0)
	v_mul_hi_u32 v5, s9, v3
	s_add_i32 vcc_hi, vcc_hi, 4
	s_add_u32 s80, s80, 16
	s_addc_u32 s81, s81, 0
	v_add_u32_e32 v5, v3, v5
	v_lshrrev_b32_e32 v5, s10, v5
	v_mul_lo_u32 v6, v5, s8
	v_mul_hi_u32 v7, s12, v5
	s_cmp_eq_u32 s95, vcc_hi
	v_sub_u32_e32 v3, v3, v6
	v_add_u32_e32 v6, v5, v7
	v_lshrrev_b32_e32 v6, s13, v6
	v_mul_lo_u32 v7, v3, s24
	v_mul_hi_u32 v3, s15, v6
	v_mul_lo_u32 v17, v6, s11
	v_add_u32_e32 v3, v6, v3
	v_lshrrev_b32_e32 v16, s20, v3
	v_mul_hi_u32 v3, s22, v16
	v_sub_u32_e32 v5, v5, v17
	v_mul_lo_u32 v17, v16, s14
	v_mul_lo_u32 v5, v5, s25
	v_add_u32_e32 v3, v16, v3
	v_lshrrev_b32_e32 v3, s23, v3
	v_mul_lo_u32 v18, v3, s21
	v_sub_u32_e32 v6, v6, v17
	v_mul_lo_u32 v6, v6, s26
	v_add3_u32 v2, v7, v2, v5
	v_sub_u32_e32 v16, v16, v18
	v_mul_lo_u32 v16, v16, s27
	v_add3_u32 v2, v6, v2, v16
	s_cbranch_scc0 .LBB15_238
	s_branch .LBB15_242
.LBB15_239:
	s_mov_b64 s[8:9], -1
                                        ; implicit-def: $vgpr2
	s_branch .LBB15_246
.LBB15_240:
	v_mov_b32_e32 v2, 0
	s_branch .LBB15_245
.LBB15_241:
	v_mov_b32_e32 v2, 0
	s_mov_b32 s95, 0
	v_mov_b32_e32 v3, v8
.LBB15_242:
	s_and_b32 s12, vcc_lo, 3
	s_cmp_eq_u32 s12, 0
	s_cbranch_scc1 .LBB15_245
; %bb.243:
	s_lshl_b32 s8, s95, 2
	s_add_u32 s8, s28, s8
	s_addc_u32 s9, s29, 0
	s_add_u32 s8, s8, 0xc4
	s_addc_u32 s9, s9, 0
	s_mul_i32 s10, s95, 12
	s_add_u32 s10, s28, s10
	s_addc_u32 s11, s29, 0
.LBB15_244:                             ; =>This Inner Loop Header: Depth=1
	s_load_dwordx2 s[14:15], s[10:11], 0x4
	s_load_dword s13, s[10:11], 0xc
	s_add_u32 s10, s10, 12
	s_addc_u32 s11, s11, 0
	s_waitcnt lgkmcnt(0)
	v_mul_hi_u32 v5, s15, v3
	s_load_dword s15, s[8:9], 0x0
	s_add_u32 s8, s8, 4
	s_addc_u32 s9, s9, 0
	v_add_u32_e32 v5, v3, v5
	v_lshrrev_b32_e32 v5, s13, v5
	v_mul_lo_u32 v6, v5, s14
	s_add_i32 s12, s12, -1
	s_cmp_lg_u32 s12, 0
	v_sub_u32_e32 v3, v3, v6
	s_waitcnt lgkmcnt(0)
	v_mad_u64_u32 v[2:3], s[14:15], v3, s15, v[2:3]
	v_mov_b32_e32 v3, v5
	s_cbranch_scc1 .LBB15_244
.LBB15_245:
	s_mov_b64 s[8:9], 0
.LBB15_246:
	s_andn2_b64 vcc, exec, s[8:9]
	s_cbranch_vccnz .LBB15_249
; %bb.247:
	s_waitcnt lgkmcnt(0)
	v_mul_hi_u32 v2, s17, v8
	s_andn2_b64 vcc, exec, s[60:61]
	v_add_u32_e32 v2, v8, v2
	v_lshrrev_b32_e32 v3, s18, v2
	v_mul_lo_u32 v2, v3, s16
	v_sub_u32_e32 v2, v8, v2
	v_mul_lo_u32 v2, v2, s58
	s_cbranch_vccnz .LBB15_249
; %bb.248:
	v_mul_hi_u32 v5, s62, v3
	v_add_u32_e32 v5, v3, v5
	v_lshrrev_b32_e32 v5, s63, v5
	v_mul_lo_u32 v5, v5, s19
	v_sub_u32_e32 v3, v3, v5
	v_mad_u64_u32 v[2:3], s[8:9], v3, s59, v[2:3]
.LBB15_249:
	v_mov_b32_e32 v3, s57
	s_and_b32 s14, 0xffff, s82
	v_add_co_u32_e32 v6, vcc, s56, v2
	s_cmp_lt_i32 s14, 11
	v_addc_co_u32_e32 v7, vcc, 0, v3, vcc
	s_cbranch_scc1 .LBB15_256
; %bb.250:
	s_cmp_gt_i32 s14, 25
	s_cbranch_scc0 .LBB15_257
; %bb.251:
	s_cmp_gt_i32 s14, 28
	s_cbranch_scc0 .LBB15_258
	;; [unrolled: 3-line block ×4, first 2 shown]
; %bb.254:
	s_mov_b64 s[12:13], 0
	s_mov_b64 s[8:9], -1
	s_cmp_eq_u32 s14, 46
	s_mov_b64 s[10:11], 0
	s_cbranch_scc0 .LBB15_261
; %bb.255:
	global_store_dword v[6:7], v12, off
	s_mov_b64 s[10:11], -1
	s_mov_b64 s[8:9], 0
	s_branch .LBB15_261
.LBB15_256:
	s_mov_b64 s[12:13], -1
	s_mov_b64 s[10:11], 0
	s_mov_b64 s[8:9], s[72:73]
	s_branch .LBB15_306
.LBB15_257:
	s_mov_b64 s[12:13], -1
	s_mov_b64 s[10:11], 0
	s_mov_b64 s[8:9], s[72:73]
	s_branch .LBB15_283
.LBB15_258:
	s_mov_b64 s[12:13], -1
	s_mov_b64 s[10:11], 0
	s_mov_b64 s[8:9], s[72:73]
	s_branch .LBB15_269
.LBB15_259:
	s_mov_b64 s[12:13], -1
	s_mov_b64 s[10:11], 0
	s_mov_b64 s[8:9], s[72:73]
	s_branch .LBB15_265
.LBB15_260:
	s_mov_b64 s[12:13], -1
	s_mov_b64 s[10:11], 0
	s_mov_b64 s[8:9], s[72:73]
.LBB15_261:
	s_and_b64 vcc, exec, s[12:13]
	s_cbranch_vccz .LBB15_264
; %bb.262:
	s_cmp_eq_u32 s14, 44
	s_mov_b64 s[8:9], -1
	s_cbranch_scc0 .LBB15_264
; %bb.263:
	v_mov_b32_e32 v2, 0xffff
	v_cndmask_b32_e64 v2, v15, v2, s[4:5]
	s_mov_b64 s[10:11], -1
	s_mov_b64 s[8:9], 0
	global_store_byte v[6:7], v2, off
.LBB15_264:
	s_mov_b64 s[12:13], 0
.LBB15_265:
	s_and_b64 vcc, exec, s[12:13]
	s_cbranch_vccz .LBB15_268
; %bb.266:
	s_cmp_eq_u32 s14, 29
	s_mov_b64 s[8:9], -1
	s_cbranch_scc0 .LBB15_268
; %bb.267:
	v_mov_b32_e32 v2, s38
	v_mov_b32_e32 v3, s39
	global_store_dwordx2 v[6:7], v[2:3], off
	s_mov_b64 s[10:11], -1
	s_mov_b64 s[8:9], 0
.LBB15_268:
	s_mov_b64 s[12:13], 0
.LBB15_269:
	s_and_b64 vcc, exec, s[12:13]
	s_cbranch_vccz .LBB15_282
; %bb.270:
	s_cmp_lt_i32 s14, 27
	s_mov_b64 s[10:11], -1
	s_cbranch_scc1 .LBB15_276
; %bb.271:
	s_cmp_gt_i32 s14, 27
	s_cbranch_scc0 .LBB15_273
; %bb.272:
	v_mov_b32_e32 v2, s84
	s_mov_b64 s[10:11], 0
	global_store_dword v[6:7], v2, off
.LBB15_273:
	s_andn2_b64 vcc, exec, s[10:11]
	s_cbranch_vccnz .LBB15_275
; %bb.274:
	v_mov_b32_e32 v2, s83
	global_store_short v[6:7], v2, off
.LBB15_275:
	s_mov_b64 s[10:11], 0
.LBB15_276:
	s_andn2_b64 vcc, exec, s[10:11]
	s_cbranch_vccnz .LBB15_281
; %bb.277:
	s_andn2_b64 vcc, exec, s[52:53]
	v_mov_b32_e32 v2, 0x80
	s_cbranch_vccnz .LBB15_280
; %bb.278:
	s_or_b64 s[10:11], s[2:3], s[54:55]
	s_andn2_b64 vcc, exec, s[10:11]
	v_mov_b32_e32 v2, 0
	s_cbranch_vccnz .LBB15_280
; %bb.279:
	v_mov_b32_e32 v2, s92
	v_cndmask_b32_e64 v2, v14, v2, s[2:3]
	v_or_b32_e32 v2, v2, v11
.LBB15_280:
	global_store_byte v[6:7], v2, off
.LBB15_281:
	s_mov_b64 s[10:11], -1
.LBB15_282:
	s_mov_b64 s[12:13], 0
.LBB15_283:
	s_and_b64 vcc, exec, s[12:13]
	s_cbranch_vccz .LBB15_305
; %bb.284:
	s_cmp_gt_i32 s14, 22
	s_mov_b64 s[12:13], -1
	s_cbranch_scc0 .LBB15_297
; %bb.285:
	s_cmp_lt_i32 s14, 24
	s_mov_b64 s[10:11], -1
	s_cbranch_scc1 .LBB15_294
; %bb.286:
	s_cmp_gt_i32 s14, 24
	s_cbranch_scc0 .LBB15_291
; %bb.287:
	s_andn2_b64 vcc, exec, s[48:49]
	v_mov_b32_e32 v2, 0x80
	s_cbranch_vccnz .LBB15_290
; %bb.288:
	s_or_b64 s[10:11], s[0:1], s[50:51]
	s_andn2_b64 vcc, exec, s[10:11]
	v_mov_b32_e32 v2, 0
	s_cbranch_vccnz .LBB15_290
; %bb.289:
	v_mov_b32_e32 v2, s90
	v_cndmask_b32_e64 v2, v13, v2, s[0:1]
	v_or_b32_e32 v2, v2, v11
.LBB15_290:
	s_mov_b64 s[10:11], 0
	global_store_byte v[6:7], v2, off
.LBB15_291:
	s_and_b64 vcc, exec, s[10:11]
	s_cbranch_vccz .LBB15_293
; %bb.292:
	s_and_b64 s[10:11], s[46:47], exec
	s_cselect_b32 s12, s89, s88
	s_and_b64 s[10:11], s[44:45], exec
	s_cselect_b32 s10, s91, s12
	v_or_b32_e32 v2, s10, v11
	global_store_byte v[6:7], v2, off
.LBB15_293:
	s_mov_b64 s[10:11], 0
.LBB15_294:
	s_andn2_b64 vcc, exec, s[10:11]
	s_cbranch_vccnz .LBB15_296
; %bb.295:
	s_and_b64 s[10:11], s[42:43], exec
	s_cselect_b32 s12, s86, s85
	s_and_b64 s[10:11], s[40:41], exec
	s_cselect_b32 s10, s87, s12
	v_or_b32_e32 v2, s10, v11
	global_store_byte v[6:7], v2, off
.LBB15_296:
	s_mov_b64 s[12:13], 0
	s_mov_b64 s[10:11], -1
.LBB15_297:
	s_andn2_b64 vcc, exec, s[12:13]
	s_cbranch_vccnz .LBB15_305
; %bb.298:
	s_cmp_gt_i32 s14, 14
	s_mov_b64 s[12:13], -1
	s_cbranch_scc0 .LBB15_302
; %bb.299:
	s_cmp_eq_u32 s14, 15
	s_mov_b64 s[8:9], -1
	s_cbranch_scc0 .LBB15_301
; %bb.300:
	global_store_short v[6:7], v12, off
	s_mov_b64 s[10:11], -1
	s_mov_b64 s[8:9], 0
.LBB15_301:
	s_mov_b64 s[12:13], 0
.LBB15_302:
	s_and_b64 vcc, exec, s[12:13]
	s_cbranch_vccz .LBB15_305
; %bb.303:
	s_cmp_eq_u32 s14, 11
	s_mov_b64 s[8:9], -1
	s_cbranch_scc0 .LBB15_305
; %bb.304:
	s_mov_b64 s[10:11], -1
	s_mov_b64 s[8:9], 0
	global_store_byte v[6:7], v10, off
.LBB15_305:
	s_mov_b64 s[12:13], 0
.LBB15_306:
	s_and_b64 vcc, exec, s[12:13]
	s_cbranch_vccz .LBB15_345
; %bb.307:
	s_cmp_lt_i32 s14, 5
	s_mov_b64 s[10:11], -1
	s_cbranch_scc1 .LBB15_328
; %bb.308:
	s_cmp_lt_i32 s14, 8
	s_cbranch_scc1 .LBB15_318
; %bb.309:
	s_cmp_lt_i32 s14, 9
	s_cbranch_scc1 .LBB15_315
; %bb.310:
	s_cmp_gt_i32 s14, 9
	s_cbranch_scc0 .LBB15_312
; %bb.311:
	v_mov_b32_e32 v2, 0
	v_mov_b32_e32 v3, v2
	s_mov_b64 s[10:11], 0
	global_store_dwordx4 v[6:7], v[0:3], off
.LBB15_312:
	s_andn2_b64 vcc, exec, s[10:11]
	s_cbranch_vccnz .LBB15_314
; %bb.313:
	v_mov_b32_e32 v5, 0
	global_store_dwordx2 v[6:7], v[4:5], off
.LBB15_314:
	s_mov_b64 s[10:11], 0
.LBB15_315:
	s_andn2_b64 vcc, exec, s[10:11]
	s_cbranch_vccnz .LBB15_317
; %bb.316:
	global_store_dword v[6:7], v9, off
.LBB15_317:
	s_mov_b64 s[10:11], 0
.LBB15_318:
	s_andn2_b64 vcc, exec, s[10:11]
	s_cbranch_vccnz .LBB15_327
; %bb.319:
	s_cmp_lt_i32 s14, 6
	s_mov_b64 s[10:11], -1
	s_cbranch_scc1 .LBB15_325
; %bb.320:
	s_cmp_gt_i32 s14, 6
	s_cbranch_scc0 .LBB15_322
; %bb.321:
	s_mov_b64 s[10:11], 0
	global_store_dwordx2 v[6:7], v[0:1], off
.LBB15_322:
	s_andn2_b64 vcc, exec, s[10:11]
	s_cbranch_vccnz .LBB15_324
; %bb.323:
	global_store_dword v[6:7], v4, off
.LBB15_324:
	s_mov_b64 s[10:11], 0
.LBB15_325:
	s_andn2_b64 vcc, exec, s[10:11]
	s_cbranch_vccnz .LBB15_327
; %bb.326:
	global_store_short v[6:7], v9, off
.LBB15_327:
	s_mov_b64 s[10:11], 0
.LBB15_328:
	s_andn2_b64 vcc, exec, s[10:11]
	s_cbranch_vccnz .LBB15_344
; %bb.329:
	s_cmp_lt_i32 s14, 2
	s_mov_b64 s[10:11], -1
	s_cbranch_scc1 .LBB15_339
; %bb.330:
	s_cmp_lt_i32 s14, 3
	s_cbranch_scc1 .LBB15_336
; %bb.331:
	s_cmp_gt_i32 s14, 3
	s_cbranch_scc0 .LBB15_333
; %bb.332:
	v_mov_b32_e32 v2, s38
	v_mov_b32_e32 v3, s39
	s_mov_b64 s[10:11], 0
	global_store_dwordx2 v[6:7], v[2:3], off
.LBB15_333:
	s_andn2_b64 vcc, exec, s[10:11]
	s_cbranch_vccnz .LBB15_335
; %bb.334:
	v_mov_b32_e32 v2, s84
	global_store_dword v[6:7], v2, off
.LBB15_335:
	s_mov_b64 s[10:11], 0
.LBB15_336:
	s_andn2_b64 vcc, exec, s[10:11]
	s_cbranch_vccnz .LBB15_338
; %bb.337:
	v_mov_b32_e32 v2, s83
	global_store_short v[6:7], v2, off
.LBB15_338:
	s_mov_b64 s[10:11], 0
.LBB15_339:
	s_andn2_b64 vcc, exec, s[10:11]
	s_cbranch_vccnz .LBB15_344
; %bb.340:
	s_cmp_gt_i32 s14, 0
	s_mov_b64 s[10:11], -1
	s_cbranch_scc0 .LBB15_342
; %bb.341:
	v_mov_b32_e32 v2, s36
	s_mov_b64 s[10:11], 0
	global_store_byte v[6:7], v2, off
.LBB15_342:
	s_andn2_b64 vcc, exec, s[10:11]
	s_cbranch_vccnz .LBB15_344
; %bb.343:
	v_mov_b32_e32 v2, s36
	global_store_byte v[6:7], v2, off
.LBB15_344:
	s_mov_b64 s[10:11], -1
.LBB15_345:
	s_andn2_b64 vcc, exec, s[10:11]
	s_cbranch_vccnz .LBB15_347
; %bb.346:
	v_add_u32_e32 v8, 0x80, v8
	s_mov_b64 s[10:11], -1
	s_branch .LBB15_348
.LBB15_347:
	s_mov_b64 s[10:11], 0
                                        ; implicit-def: $vgpr8
.LBB15_348:
	s_andn2_b64 s[12:13], s[72:73], exec
	s_and_b64 s[8:9], s[8:9], exec
	s_or_b64 s[78:79], s[12:13], s[8:9]
	s_orn2_b64 s[10:11], s[10:11], exec
.LBB15_349:
	s_or_b64 exec, exec, s[76:77]
	s_mov_b64 s[8:9], 0
	s_mov_b64 s[14:15], 0
                                        ; implicit-def: $vgpr6_vgpr7
	s_and_saveexec_b64 s[76:77], s[10:11]
	s_cbranch_execz .LBB15_420
; %bb.350:
	v_cmp_gt_i32_e32 vcc, s93, v8
	s_mov_b64 s[10:11], 0
	s_mov_b64 s[12:13], s[78:79]
                                        ; implicit-def: $vgpr6_vgpr7
	s_and_saveexec_b64 s[80:81], vcc
	s_cbranch_execz .LBB15_419
; %bb.351:
	s_andn2_b64 vcc, exec, s[30:31]
	s_cbranch_vccnz .LBB15_356
; %bb.352:
	s_andn2_b64 vcc, exec, s[66:67]
	s_cbranch_vccnz .LBB15_357
; %bb.353:
	s_add_i32 s94, s94, 1
	s_cmp_eq_u32 s37, 2
	s_cbranch_scc1 .LBB15_358
; %bb.354:
	s_and_b32 s93, s94, 28
	s_mov_b32 s95, 0
	v_mov_b32_e32 v2, 0
	s_mov_b64 s[66:67], s[28:29]
	v_mov_b32_e32 v3, v8
.LBB15_355:                             ; =>This Inner Loop Header: Depth=1
	s_load_dwordx8 s[8:15], s[66:67], 0x4
	s_load_dwordx4 s[20:23], s[66:67], 0x24
	s_load_dwordx4 s[24:27], s[64:65], 0x0
	s_add_u32 s66, s66, 48
	s_addc_u32 s67, s67, 0
	s_waitcnt lgkmcnt(0)
	v_mul_hi_u32 v5, s9, v3
	s_add_i32 s95, s95, 4
	s_add_u32 s64, s64, 16
	s_addc_u32 s65, s65, 0
	v_add_u32_e32 v5, v3, v5
	v_lshrrev_b32_e32 v5, s10, v5
	v_mul_lo_u32 v6, v5, s8
	v_mul_hi_u32 v7, s12, v5
	s_cmp_eq_u32 s93, s95
	v_sub_u32_e32 v3, v3, v6
	v_add_u32_e32 v6, v5, v7
	v_lshrrev_b32_e32 v6, s13, v6
	v_mul_lo_u32 v7, v3, s24
	v_mul_hi_u32 v3, s15, v6
	v_mul_lo_u32 v17, v6, s11
	v_add_u32_e32 v3, v6, v3
	v_lshrrev_b32_e32 v16, s20, v3
	v_mul_hi_u32 v3, s22, v16
	v_sub_u32_e32 v5, v5, v17
	v_mul_lo_u32 v17, v16, s14
	v_mul_lo_u32 v5, v5, s25
	v_add_u32_e32 v3, v16, v3
	v_lshrrev_b32_e32 v3, s23, v3
	v_mul_lo_u32 v18, v3, s21
	v_sub_u32_e32 v6, v6, v17
	v_mul_lo_u32 v6, v6, s26
	v_add3_u32 v2, v7, v2, v5
	v_sub_u32_e32 v16, v16, v18
	v_mul_lo_u32 v16, v16, s27
	v_add3_u32 v2, v6, v2, v16
	s_cbranch_scc0 .LBB15_355
	s_branch .LBB15_359
.LBB15_356:
	s_mov_b64 s[8:9], -1
                                        ; implicit-def: $vgpr2
	s_branch .LBB15_363
.LBB15_357:
	v_mov_b32_e32 v2, 0
	s_branch .LBB15_362
.LBB15_358:
	v_mov_b32_e32 v2, 0
	s_mov_b32 s93, 0
	v_mov_b32_e32 v3, v8
.LBB15_359:
	s_and_b32 s12, s94, 3
	s_cmp_eq_u32 s12, 0
	s_cbranch_scc1 .LBB15_362
; %bb.360:
	s_lshl_b32 s8, s93, 2
	s_add_u32 s8, s28, s8
	s_addc_u32 s9, s29, 0
	s_add_u32 s8, s8, 0xc4
	s_addc_u32 s9, s9, 0
	s_mul_i32 s10, s93, 12
	s_add_u32 s10, s28, s10
	s_addc_u32 s11, s29, 0
.LBB15_361:                             ; =>This Inner Loop Header: Depth=1
	s_load_dwordx2 s[14:15], s[10:11], 0x4
	s_load_dword s13, s[10:11], 0xc
	s_add_u32 s10, s10, 12
	s_addc_u32 s11, s11, 0
	s_waitcnt lgkmcnt(0)
	v_mul_hi_u32 v5, s15, v3
	s_load_dword s15, s[8:9], 0x0
	s_add_u32 s8, s8, 4
	s_addc_u32 s9, s9, 0
	v_add_u32_e32 v5, v3, v5
	v_lshrrev_b32_e32 v5, s13, v5
	v_mul_lo_u32 v6, v5, s14
	s_add_i32 s12, s12, -1
	s_cmp_lg_u32 s12, 0
	v_sub_u32_e32 v3, v3, v6
	s_waitcnt lgkmcnt(0)
	v_mad_u64_u32 v[2:3], s[14:15], v3, s15, v[2:3]
	v_mov_b32_e32 v3, v5
	s_cbranch_scc1 .LBB15_361
.LBB15_362:
	s_mov_b64 s[8:9], 0
.LBB15_363:
	s_andn2_b64 vcc, exec, s[8:9]
	s_cbranch_vccnz .LBB15_366
; %bb.364:
	s_waitcnt lgkmcnt(0)
	v_mul_hi_u32 v2, s17, v8
	s_andn2_b64 vcc, exec, s[60:61]
	v_add_u32_e32 v2, v8, v2
	v_lshrrev_b32_e32 v3, s18, v2
	v_mul_lo_u32 v2, v3, s16
	v_sub_u32_e32 v2, v8, v2
	v_mul_lo_u32 v2, v2, s58
	s_cbranch_vccnz .LBB15_366
; %bb.365:
	v_mul_hi_u32 v5, s62, v3
	v_add_u32_e32 v5, v3, v5
	v_lshrrev_b32_e32 v5, s63, v5
	v_mul_lo_u32 v5, v5, s19
	v_sub_u32_e32 v3, v3, v5
	v_mad_u64_u32 v[2:3], s[8:9], v3, s59, v[2:3]
.LBB15_366:
	v_mov_b32_e32 v3, s57
	s_and_b32 s12, 0xffff, s82
	v_add_co_u32_e32 v6, vcc, s56, v2
	s_cmp_lt_i32 s12, 11
	v_addc_co_u32_e32 v7, vcc, 0, v3, vcc
	s_cbranch_scc1 .LBB15_416
; %bb.367:
	s_mov_b64 s[10:11], -1
	s_cmp_gt_i32 s12, 25
	s_mov_b64 s[8:9], s[78:79]
	s_cbranch_scc0 .LBB15_395
; %bb.368:
	s_cmp_gt_i32 s12, 28
	s_mov_b64 s[8:9], s[78:79]
	s_cbranch_scc0 .LBB15_382
; %bb.369:
	;; [unrolled: 4-line block ×4, first 2 shown]
	s_cmp_eq_u32 s12, 46
	s_mov_b64 s[8:9], -1
	s_cbranch_scc0 .LBB15_373
; %bb.372:
	global_store_dword v[6:7], v12, off
	s_mov_b64 s[8:9], 0
.LBB15_373:
	s_mov_b64 s[10:11], 0
.LBB15_374:
	s_and_b64 vcc, exec, s[10:11]
	s_cbranch_vccz .LBB15_377
; %bb.375:
	s_cmp_eq_u32 s12, 44
	s_mov_b64 s[8:9], -1
	s_cbranch_scc0 .LBB15_377
; %bb.376:
	v_mov_b32_e32 v2, 0xffff
	v_cndmask_b32_e64 v2, v15, v2, s[4:5]
	global_store_byte v[6:7], v2, off
	s_mov_b64 s[8:9], 0
.LBB15_377:
	s_mov_b64 s[10:11], 0
.LBB15_378:
	s_and_b64 vcc, exec, s[10:11]
	s_cbranch_vccz .LBB15_381
; %bb.379:
	s_cmp_eq_u32 s12, 29
	s_mov_b64 s[8:9], -1
	s_cbranch_scc0 .LBB15_381
; %bb.380:
	v_mov_b32_e32 v2, s38
	v_mov_b32_e32 v3, s39
	global_store_dwordx2 v[6:7], v[2:3], off
	s_mov_b64 s[8:9], 0
.LBB15_381:
	s_mov_b64 s[10:11], 0
.LBB15_382:
	s_and_b64 vcc, exec, s[10:11]
	s_cbranch_vccz .LBB15_394
; %bb.383:
	s_cmp_lt_i32 s12, 27
	s_mov_b64 s[4:5], -1
	s_cbranch_scc1 .LBB15_389
; %bb.384:
	s_cmp_gt_i32 s12, 27
	s_cbranch_scc0 .LBB15_386
; %bb.385:
	v_mov_b32_e32 v2, s84
	s_mov_b64 s[4:5], 0
	global_store_dword v[6:7], v2, off
.LBB15_386:
	s_andn2_b64 vcc, exec, s[4:5]
	s_cbranch_vccnz .LBB15_388
; %bb.387:
	v_mov_b32_e32 v2, s83
	global_store_short v[6:7], v2, off
.LBB15_388:
	s_mov_b64 s[4:5], 0
.LBB15_389:
	s_andn2_b64 vcc, exec, s[4:5]
	s_cbranch_vccnz .LBB15_394
; %bb.390:
	s_andn2_b64 vcc, exec, s[52:53]
	v_mov_b32_e32 v2, 0x80
	s_cbranch_vccnz .LBB15_393
; %bb.391:
	s_or_b64 s[4:5], s[2:3], s[54:55]
	s_andn2_b64 vcc, exec, s[4:5]
	v_mov_b32_e32 v2, 0
	s_cbranch_vccnz .LBB15_393
; %bb.392:
	v_mov_b32_e32 v2, s92
	v_cndmask_b32_e64 v2, v14, v2, s[2:3]
	v_or_b32_e32 v2, v2, v11
.LBB15_393:
	global_store_byte v[6:7], v2, off
.LBB15_394:
	s_mov_b64 s[10:11], 0
.LBB15_395:
	s_mov_b64 s[2:3], 0
	s_and_b64 vcc, exec, s[10:11]
	s_cbranch_vccz .LBB15_417
; %bb.396:
	s_cmp_gt_i32 s12, 22
	s_mov_b64 s[4:5], -1
	s_cbranch_scc0 .LBB15_409
; %bb.397:
	s_cmp_lt_i32 s12, 24
	s_cbranch_scc1 .LBB15_406
; %bb.398:
	s_cmp_gt_i32 s12, 24
	s_cbranch_scc0 .LBB15_403
; %bb.399:
	s_andn2_b64 vcc, exec, s[48:49]
	v_mov_b32_e32 v2, 0x80
	s_cbranch_vccnz .LBB15_402
; %bb.400:
	s_or_b64 s[4:5], s[0:1], s[50:51]
	s_andn2_b64 vcc, exec, s[4:5]
	v_mov_b32_e32 v2, 0
	s_cbranch_vccnz .LBB15_402
; %bb.401:
	v_mov_b32_e32 v2, s90
	v_cndmask_b32_e64 v2, v13, v2, s[0:1]
	v_or_b32_e32 v2, v2, v11
.LBB15_402:
	s_mov_b64 s[4:5], 0
	global_store_byte v[6:7], v2, off
.LBB15_403:
	s_and_b64 vcc, exec, s[4:5]
	s_cbranch_vccz .LBB15_405
; %bb.404:
	s_and_b64 s[0:1], s[46:47], exec
	s_cselect_b32 s4, s89, s88
	s_and_b64 s[0:1], s[44:45], exec
	s_cselect_b32 s0, s91, s4
	v_or_b32_e32 v2, s0, v11
	global_store_byte v[6:7], v2, off
.LBB15_405:
	s_mov_b64 s[4:5], 0
.LBB15_406:
	s_andn2_b64 vcc, exec, s[4:5]
	s_cbranch_vccnz .LBB15_408
; %bb.407:
	s_and_b64 s[0:1], s[42:43], exec
	s_cselect_b32 s4, s86, s85
	s_and_b64 s[0:1], s[40:41], exec
	s_cselect_b32 s0, s87, s4
	v_or_b32_e32 v2, s0, v11
	global_store_byte v[6:7], v2, off
.LBB15_408:
	s_mov_b64 s[4:5], 0
.LBB15_409:
	s_andn2_b64 vcc, exec, s[4:5]
	s_mov_b64 s[0:1], 0
	s_cbranch_vccnz .LBB15_418
; %bb.410:
	s_cmp_gt_i32 s12, 14
	s_mov_b64 s[4:5], -1
	s_cbranch_scc0 .LBB15_414
; %bb.411:
	s_cmp_eq_u32 s12, 15
	s_mov_b64 s[8:9], -1
	s_cbranch_scc0 .LBB15_413
; %bb.412:
	global_store_short v[6:7], v12, off
	s_mov_b64 s[8:9], 0
.LBB15_413:
	s_mov_b64 s[4:5], 0
.LBB15_414:
	s_and_b64 vcc, exec, s[4:5]
	s_cbranch_vccz .LBB15_418
; %bb.415:
	s_cmp_lg_u32 s12, 11
	s_cselect_b64 s[4:5], -1, 0
	s_andn2_b64 s[8:9], s[8:9], exec
	s_and_b64 s[4:5], s[4:5], exec
	s_mov_b64 s[0:1], -1
	s_or_b64 s[8:9], s[8:9], s[4:5]
	s_branch .LBB15_418
.LBB15_416:
	s_mov_b64 s[0:1], 0
	s_mov_b64 s[2:3], -1
	s_mov_b64 s[8:9], s[78:79]
	s_branch .LBB15_418
.LBB15_417:
	s_mov_b64 s[0:1], 0
.LBB15_418:
	s_and_b64 s[14:15], s[2:3], exec
	s_and_b64 s[10:11], s[0:1], exec
	s_andn2_b64 s[0:1], s[78:79], exec
	s_and_b64 s[2:3], s[8:9], exec
	s_or_b64 s[12:13], s[0:1], s[2:3]
.LBB15_419:
	s_or_b64 exec, exec, s[80:81]
	s_andn2_b64 s[0:1], s[78:79], exec
	s_and_b64 s[2:3], s[12:13], exec
	s_and_b64 s[14:15], s[14:15], exec
	;; [unrolled: 1-line block ×3, first 2 shown]
	s_or_b64 s[78:79], s[0:1], s[2:3]
.LBB15_420:
	s_or_b64 exec, exec, s[76:77]
	s_andn2_b64 s[0:1], s[72:73], exec
	s_and_b64 s[2:3], s[78:79], exec
	s_and_b64 s[12:13], s[14:15], exec
	;; [unrolled: 1-line block ×3, first 2 shown]
	s_or_b64 s[72:73], s[0:1], s[2:3]
.LBB15_421:
	s_or_b64 exec, exec, s[74:75]
	s_andn2_b64 s[0:1], s[68:69], exec
	s_and_b64 s[2:3], s[72:73], exec
	s_and_b64 s[8:9], s[12:13], exec
	;; [unrolled: 1-line block ×3, first 2 shown]
	s_or_b64 s[68:69], s[0:1], s[2:3]
	s_or_b64 exec, exec, s[70:71]
	s_mov_b64 s[0:1], 0
	s_and_saveexec_b64 s[2:3], s[68:69]
	s_cbranch_execz .LBB15_122
.LBB15_422:
	s_mov_b64 s[0:1], exec
	s_andn2_b64 s[74:75], s[74:75], exec
	s_trap 2
	s_or_b64 exec, exec, s[2:3]
	s_and_saveexec_b64 s[2:3], s[74:75]
	s_xor_b64 s[2:3], exec, s[2:3]
	s_cbranch_execnz .LBB15_123
.LBB15_423:
	s_or_b64 exec, exec, s[2:3]
	s_and_saveexec_b64 s[2:3], s[8:9]
	s_xor_b64 s[2:3], exec, s[2:3]
	s_cbranch_execz .LBB15_461
.LBB15_424:
	s_sext_i32_i16 s8, s82
	s_cmp_lt_i32 s8, 5
	s_mov_b64 s[4:5], -1
	s_cbranch_scc1 .LBB15_445
; %bb.425:
	s_cmp_lt_i32 s8, 8
	s_cbranch_scc1 .LBB15_435
; %bb.426:
	s_cmp_lt_i32 s8, 9
	s_cbranch_scc1 .LBB15_432
; %bb.427:
	s_cmp_gt_i32 s8, 9
	s_cbranch_scc0 .LBB15_429
; %bb.428:
	v_mov_b32_e32 v2, 0
	v_mov_b32_e32 v3, v2
	s_mov_b64 s[4:5], 0
	global_store_dwordx4 v[6:7], v[0:3], off
.LBB15_429:
	s_andn2_b64 vcc, exec, s[4:5]
	s_cbranch_vccnz .LBB15_431
; %bb.430:
	v_mov_b32_e32 v5, 0
	global_store_dwordx2 v[6:7], v[4:5], off
.LBB15_431:
	s_mov_b64 s[4:5], 0
.LBB15_432:
	s_andn2_b64 vcc, exec, s[4:5]
	s_cbranch_vccnz .LBB15_434
; %bb.433:
	global_store_dword v[6:7], v9, off
.LBB15_434:
	s_mov_b64 s[4:5], 0
.LBB15_435:
	s_andn2_b64 vcc, exec, s[4:5]
	s_cbranch_vccnz .LBB15_444
; %bb.436:
	s_sext_i32_i16 s8, s82
	s_cmp_lt_i32 s8, 6
	s_mov_b64 s[4:5], -1
	s_cbranch_scc1 .LBB15_442
; %bb.437:
	s_cmp_gt_i32 s8, 6
	s_cbranch_scc0 .LBB15_439
; %bb.438:
	s_mov_b64 s[4:5], 0
	global_store_dwordx2 v[6:7], v[0:1], off
.LBB15_439:
	s_andn2_b64 vcc, exec, s[4:5]
	s_cbranch_vccnz .LBB15_441
; %bb.440:
	global_store_dword v[6:7], v4, off
.LBB15_441:
	s_mov_b64 s[4:5], 0
.LBB15_442:
	s_andn2_b64 vcc, exec, s[4:5]
	s_cbranch_vccnz .LBB15_444
; %bb.443:
	global_store_short v[6:7], v9, off
.LBB15_444:
	s_mov_b64 s[4:5], 0
.LBB15_445:
	s_andn2_b64 vcc, exec, s[4:5]
	s_cbranch_vccnz .LBB15_461
; %bb.446:
	s_sext_i32_i16 s8, s82
	s_cmp_lt_i32 s8, 2
	s_mov_b64 s[4:5], -1
	s_cbranch_scc1 .LBB15_456
; %bb.447:
	s_cmp_lt_i32 s8, 3
	s_cbranch_scc1 .LBB15_453
; %bb.448:
	s_cmp_gt_i32 s8, 3
	s_cbranch_scc0 .LBB15_450
; %bb.449:
	v_mov_b32_e32 v0, s38
	v_mov_b32_e32 v1, s39
	s_mov_b64 s[4:5], 0
	global_store_dwordx2 v[6:7], v[0:1], off
.LBB15_450:
	s_andn2_b64 vcc, exec, s[4:5]
	s_cbranch_vccnz .LBB15_452
; %bb.451:
	v_mov_b32_e32 v0, s84
	global_store_dword v[6:7], v0, off
.LBB15_452:
	s_mov_b64 s[4:5], 0
.LBB15_453:
	s_andn2_b64 vcc, exec, s[4:5]
	s_cbranch_vccnz .LBB15_455
; %bb.454:
	v_mov_b32_e32 v0, s83
	global_store_short v[6:7], v0, off
.LBB15_455:
	s_mov_b64 s[4:5], 0
.LBB15_456:
	s_andn2_b64 vcc, exec, s[4:5]
	s_cbranch_vccnz .LBB15_461
; %bb.457:
	s_sext_i32_i16 s4, s82
	s_cmp_gt_i32 s4, 0
	s_mov_b64 s[4:5], -1
	s_cbranch_scc0 .LBB15_459
; %bb.458:
	v_mov_b32_e32 v0, s36
	s_mov_b64 s[4:5], 0
	global_store_byte v[6:7], v0, off
.LBB15_459:
	s_andn2_b64 vcc, exec, s[4:5]
	s_cbranch_vccnz .LBB15_461
; %bb.460:
	v_mov_b32_e32 v0, s36
	global_store_byte v[6:7], v0, off
.LBB15_461:
	s_or_b64 exec, exec, s[2:3]
	s_and_b64 s[20:21], s[0:1], exec
                                        ; implicit-def: $vgpr9
                                        ; implicit-def: $vgpr8
.LBB15_462:
	s_or_saveexec_b64 s[22:23], s[34:35]
	s_mov_b64 s[2:3], 0
                                        ; implicit-def: $sgpr13
                                        ; implicit-def: $vgpr0_vgpr1
                                        ; implicit-def: $sgpr12
	s_xor_b64 exec, exec, s[22:23]
	s_cbranch_execz .LBB15_945
; %bb.463:
	v_cndmask_b32_e64 v0, 0, 1, s[30:31]
	v_cmp_ne_u32_e64 s[0:1], 1, v0
	s_andn2_b64 vcc, exec, s[30:31]
	s_cbranch_vccnz .LBB15_469
; %bb.464:
	s_cmp_lg_u32 s33, 0
	s_mov_b32 s26, 0
	s_cbranch_scc0 .LBB15_470
; %bb.465:
	s_min_u32 s27, s37, 15
	s_add_i32 s27, s27, 1
	s_cmp_eq_u32 s37, 2
	s_cbranch_scc1 .LBB15_471
; %bb.466:
	s_and_b32 s26, s27, 28
	s_add_u32 s2, s28, 0xc4
	s_addc_u32 s3, s29, 0
	s_mov_b32 s30, 0
	v_mov_b32_e32 v6, 0
	s_mov_b64 s[24:25], s[28:29]
	v_mov_b32_e32 v0, v8
.LBB15_467:                             ; =>This Inner Loop Header: Depth=1
	s_load_dwordx8 s[4:11], s[24:25], 0x4
	s_load_dwordx4 s[12:15], s[24:25], 0x24
	s_waitcnt lgkmcnt(0)
	s_load_dwordx4 s[16:19], s[2:3], 0x0
	s_add_u32 s24, s24, 48
	s_addc_u32 s25, s25, 0
	v_mul_hi_u32 v1, s5, v0
	s_add_i32 s30, s30, 4
	s_add_u32 s2, s2, 16
	s_addc_u32 s3, s3, 0
	v_add_u32_e32 v1, v0, v1
	v_lshrrev_b32_e32 v1, s6, v1
	v_mul_lo_u32 v2, v1, s4
	v_mul_hi_u32 v3, s8, v1
	s_cmp_lg_u32 s26, s30
	v_sub_u32_e32 v0, v0, v2
	v_add_u32_e32 v2, v1, v3
	v_lshrrev_b32_e32 v2, s9, v2
	s_waitcnt lgkmcnt(0)
	v_mul_lo_u32 v3, v0, s16
	v_mul_hi_u32 v0, s11, v2
	v_mul_lo_u32 v5, v2, s7
	v_add_u32_e32 v0, v2, v0
	v_lshrrev_b32_e32 v4, s12, v0
	v_mul_hi_u32 v0, s14, v4
	v_sub_u32_e32 v1, v1, v5
	v_mul_lo_u32 v5, v4, s10
	v_mul_lo_u32 v1, v1, s17
	v_add_u32_e32 v0, v4, v0
	v_lshrrev_b32_e32 v0, s15, v0
	v_mul_lo_u32 v7, v0, s13
	v_sub_u32_e32 v2, v2, v5
	v_mul_lo_u32 v2, v2, s18
	v_add3_u32 v1, v3, v6, v1
	v_sub_u32_e32 v4, v4, v7
	v_mul_lo_u32 v4, v4, s19
	v_add3_u32 v6, v2, v1, v4
	s_cbranch_scc1 .LBB15_467
; %bb.468:
	s_and_b32 s6, s27, 3
	s_cmp_eq_u32 s6, 0
	s_cbranch_scc0 .LBB15_472
	s_branch .LBB15_474
.LBB15_469:
                                        ; implicit-def: $vgpr6
	s_branch .LBB15_475
.LBB15_470:
	v_mov_b32_e32 v6, 0
	s_branch .LBB15_474
.LBB15_471:
	v_mov_b32_e32 v6, 0
	v_mov_b32_e32 v0, v8
	s_and_b32 s6, s27, 3
	s_cmp_eq_u32 s6, 0
	s_cbranch_scc1 .LBB15_474
.LBB15_472:
	s_lshl_b32 s2, s26, 2
	s_add_u32 s2, s28, s2
	s_addc_u32 s3, s29, 0
	s_add_u32 s2, s2, 0xc4
	s_addc_u32 s3, s3, 0
	s_mul_i32 s4, s26, 12
	s_add_u32 s4, s28, s4
	s_addc_u32 s5, s29, 0
.LBB15_473:                             ; =>This Inner Loop Header: Depth=1
	s_load_dwordx2 s[8:9], s[4:5], 0x4
	s_load_dword s7, s[4:5], 0xc
	s_add_u32 s4, s4, 12
	s_addc_u32 s5, s5, 0
	s_waitcnt lgkmcnt(0)
	v_mul_hi_u32 v1, s9, v0
	s_load_dword s9, s[2:3], 0x0
	s_add_u32 s2, s2, 4
	s_addc_u32 s3, s3, 0
	v_add_u32_e32 v1, v0, v1
	v_lshrrev_b32_e32 v1, s7, v1
	v_mul_lo_u32 v2, v1, s8
	s_add_i32 s6, s6, -1
	s_cmp_lg_u32 s6, 0
	v_sub_u32_e32 v0, v0, v2
	s_waitcnt lgkmcnt(0)
	v_mad_u64_u32 v[6:7], s[8:9], v0, s9, v[6:7]
	v_mov_b32_e32 v0, v1
	s_cbranch_scc1 .LBB15_473
.LBB15_474:
	s_cbranch_execnz .LBB15_477
.LBB15_475:
	s_load_dwordx4 s[4:7], s[28:29], 0x4
	s_load_dword s2, s[28:29], 0xc4
	s_cmp_lt_u32 s33, 2
	s_waitcnt lgkmcnt(0)
	v_mul_hi_u32 v0, s5, v8
	v_add_u32_e32 v0, v8, v0
	v_lshrrev_b32_e32 v0, s6, v0
	v_mul_lo_u32 v1, v0, s4
	v_sub_u32_e32 v1, v8, v1
	v_mul_lo_u32 v6, v1, s2
	s_cbranch_scc1 .LBB15_477
; %bb.476:
	s_load_dwordx4 s[4:7], s[28:29], 0x10
	s_load_dword s2, s[28:29], 0xc8
	s_waitcnt lgkmcnt(0)
	v_mul_hi_u32 v1, s5, v0
	v_add_u32_e32 v1, v0, v1
	v_lshrrev_b32_e32 v1, s6, v1
	v_mul_lo_u32 v1, v1, s4
	v_sub_u32_e32 v0, v0, v1
	v_mad_u64_u32 v[6:7], s[2:3], v0, s2, v[6:7]
.LBB15_477:
	s_and_b64 vcc, exec, s[0:1]
	v_add_u32_e32 v0, 0x80, v8
	s_cbranch_vccnz .LBB15_483
; %bb.478:
	s_cmp_lg_u32 s33, 0
	s_mov_b32 s26, 0
	s_cbranch_scc0 .LBB15_484
; %bb.479:
	s_min_u32 s27, s37, 15
	s_add_i32 s27, s27, 1
	s_cmp_eq_u32 s37, 2
	s_cbranch_scc1 .LBB15_485
; %bb.480:
	s_and_b32 s26, s27, 28
	s_add_u32 s2, s28, 0xc4
	s_addc_u32 s3, s29, 0
	s_mov_b32 s30, 0
	v_mov_b32_e32 v4, 0
	s_mov_b64 s[24:25], s[28:29]
	v_mov_b32_e32 v1, v0
.LBB15_481:                             ; =>This Inner Loop Header: Depth=1
	s_load_dwordx8 s[4:11], s[24:25], 0x4
	s_load_dwordx4 s[12:15], s[24:25], 0x24
	s_waitcnt lgkmcnt(0)
	s_load_dwordx4 s[16:19], s[2:3], 0x0
	s_add_u32 s24, s24, 48
	s_addc_u32 s25, s25, 0
	v_mul_hi_u32 v2, s5, v1
	s_add_i32 s30, s30, 4
	s_add_u32 s2, s2, 16
	s_addc_u32 s3, s3, 0
	v_add_u32_e32 v2, v1, v2
	v_lshrrev_b32_e32 v2, s6, v2
	v_mul_lo_u32 v3, v2, s4
	v_mul_hi_u32 v5, s8, v2
	s_cmp_lg_u32 s26, s30
	v_sub_u32_e32 v1, v1, v3
	v_add_u32_e32 v3, v2, v5
	v_lshrrev_b32_e32 v3, s9, v3
	s_waitcnt lgkmcnt(0)
	v_mul_lo_u32 v5, v1, s16
	v_mul_hi_u32 v1, s11, v3
	v_mul_lo_u32 v10, v3, s7
	v_add_u32_e32 v1, v3, v1
	v_lshrrev_b32_e32 v7, s12, v1
	v_mul_hi_u32 v1, s14, v7
	v_sub_u32_e32 v2, v2, v10
	v_mul_lo_u32 v10, v7, s10
	v_mul_lo_u32 v2, v2, s17
	v_add_u32_e32 v1, v7, v1
	v_lshrrev_b32_e32 v1, s15, v1
	v_mul_lo_u32 v11, v1, s13
	v_sub_u32_e32 v3, v3, v10
	v_mul_lo_u32 v3, v3, s18
	v_add3_u32 v2, v5, v4, v2
	v_sub_u32_e32 v7, v7, v11
	v_mul_lo_u32 v7, v7, s19
	v_add3_u32 v4, v3, v2, v7
	s_cbranch_scc1 .LBB15_481
; %bb.482:
	s_and_b32 s6, s27, 3
	s_cmp_eq_u32 s6, 0
	s_cbranch_scc0 .LBB15_486
	s_branch .LBB15_488
.LBB15_483:
                                        ; implicit-def: $vgpr4
	s_branch .LBB15_489
.LBB15_484:
	v_mov_b32_e32 v4, 0
	s_branch .LBB15_488
.LBB15_485:
	v_mov_b32_e32 v4, 0
	v_mov_b32_e32 v1, v0
	s_and_b32 s6, s27, 3
	s_cmp_eq_u32 s6, 0
	s_cbranch_scc1 .LBB15_488
.LBB15_486:
	s_lshl_b32 s2, s26, 2
	s_add_u32 s2, s28, s2
	s_addc_u32 s3, s29, 0
	s_add_u32 s2, s2, 0xc4
	s_addc_u32 s3, s3, 0
	s_mul_i32 s4, s26, 12
	s_add_u32 s4, s28, s4
	s_addc_u32 s5, s29, 0
.LBB15_487:                             ; =>This Inner Loop Header: Depth=1
	s_load_dwordx2 s[8:9], s[4:5], 0x4
	s_load_dword s7, s[4:5], 0xc
	s_add_u32 s4, s4, 12
	s_addc_u32 s5, s5, 0
	s_waitcnt lgkmcnt(0)
	v_mul_hi_u32 v2, s9, v1
	s_load_dword s9, s[2:3], 0x0
	s_add_u32 s2, s2, 4
	s_addc_u32 s3, s3, 0
	v_add_u32_e32 v2, v1, v2
	v_lshrrev_b32_e32 v2, s7, v2
	v_mul_lo_u32 v3, v2, s8
	s_add_i32 s6, s6, -1
	s_cmp_lg_u32 s6, 0
	v_sub_u32_e32 v1, v1, v3
	s_waitcnt lgkmcnt(0)
	v_mad_u64_u32 v[4:5], s[8:9], v1, s9, v[4:5]
	v_mov_b32_e32 v1, v2
	s_cbranch_scc1 .LBB15_487
.LBB15_488:
	s_cbranch_execnz .LBB15_491
.LBB15_489:
	s_load_dwordx4 s[4:7], s[28:29], 0x4
	s_load_dword s2, s[28:29], 0xc4
	s_cmp_lt_u32 s33, 2
	s_waitcnt lgkmcnt(0)
	v_mul_hi_u32 v1, s5, v0
	v_add_u32_e32 v1, v0, v1
	v_lshrrev_b32_e32 v1, s6, v1
	v_mul_lo_u32 v2, v1, s4
	v_sub_u32_e32 v0, v0, v2
	v_mul_lo_u32 v4, v0, s2
	s_cbranch_scc1 .LBB15_491
; %bb.490:
	s_load_dwordx4 s[4:7], s[28:29], 0x10
	s_load_dword s2, s[28:29], 0xc8
	s_waitcnt lgkmcnt(0)
	v_mul_hi_u32 v0, s5, v1
	v_add_u32_e32 v0, v1, v0
	v_lshrrev_b32_e32 v0, s6, v0
	v_mul_lo_u32 v0, v0, s4
	v_sub_u32_e32 v0, v1, v0
	v_mad_u64_u32 v[4:5], s[2:3], v0, s2, v[4:5]
.LBB15_491:
	s_and_b64 vcc, exec, s[0:1]
	v_add_u32_e32 v0, 0x100, v8
	s_cbranch_vccnz .LBB15_497
; %bb.492:
	s_cmp_lg_u32 s33, 0
	s_mov_b32 s26, 0
	s_cbranch_scc0 .LBB15_498
; %bb.493:
	s_min_u32 s27, s37, 15
	s_add_i32 s27, s27, 1
	s_cmp_eq_u32 s37, 2
	s_cbranch_scc1 .LBB15_499
; %bb.494:
	s_and_b32 s26, s27, 28
	s_add_u32 s2, s28, 0xc4
	s_addc_u32 s3, s29, 0
	s_mov_b32 s30, 0
	v_mov_b32_e32 v2, 0
	s_mov_b64 s[24:25], s[28:29]
	v_mov_b32_e32 v1, v0
.LBB15_495:                             ; =>This Inner Loop Header: Depth=1
	s_load_dwordx8 s[4:11], s[24:25], 0x4
	s_load_dwordx4 s[12:15], s[24:25], 0x24
	s_waitcnt lgkmcnt(0)
	s_load_dwordx4 s[16:19], s[2:3], 0x0
	s_add_u32 s24, s24, 48
	s_addc_u32 s25, s25, 0
	v_mul_hi_u32 v3, s5, v1
	s_add_i32 s30, s30, 4
	s_add_u32 s2, s2, 16
	s_addc_u32 s3, s3, 0
	v_add_u32_e32 v3, v1, v3
	v_lshrrev_b32_e32 v3, s6, v3
	v_mul_lo_u32 v5, v3, s4
	v_mul_hi_u32 v7, s8, v3
	s_cmp_lg_u32 s26, s30
	v_sub_u32_e32 v1, v1, v5
	v_add_u32_e32 v5, v3, v7
	v_lshrrev_b32_e32 v5, s9, v5
	s_waitcnt lgkmcnt(0)
	v_mul_lo_u32 v7, v1, s16
	v_mul_hi_u32 v1, s11, v5
	v_mul_lo_u32 v10, v5, s7
	v_add_u32_e32 v1, v5, v1
	v_lshrrev_b32_e32 v8, s12, v1
	v_mul_hi_u32 v1, s14, v8
	v_sub_u32_e32 v3, v3, v10
	v_mul_lo_u32 v10, v8, s10
	v_mul_lo_u32 v3, v3, s17
	v_add_u32_e32 v1, v8, v1
	v_lshrrev_b32_e32 v1, s15, v1
	v_mul_lo_u32 v11, v1, s13
	v_sub_u32_e32 v5, v5, v10
	v_mul_lo_u32 v5, v5, s18
	v_add3_u32 v2, v7, v2, v3
	v_sub_u32_e32 v8, v8, v11
	v_mul_lo_u32 v8, v8, s19
	v_add3_u32 v2, v5, v2, v8
	s_cbranch_scc1 .LBB15_495
; %bb.496:
	s_and_b32 s6, s27, 3
	s_cmp_eq_u32 s6, 0
	s_cbranch_scc0 .LBB15_500
	s_branch .LBB15_502
.LBB15_497:
                                        ; implicit-def: $vgpr2
	s_branch .LBB15_503
.LBB15_498:
	v_mov_b32_e32 v2, 0
	s_branch .LBB15_502
.LBB15_499:
	v_mov_b32_e32 v2, 0
	v_mov_b32_e32 v1, v0
	s_and_b32 s6, s27, 3
	s_cmp_eq_u32 s6, 0
	s_cbranch_scc1 .LBB15_502
.LBB15_500:
	s_lshl_b32 s2, s26, 2
	s_add_u32 s2, s28, s2
	s_addc_u32 s3, s29, 0
	s_add_u32 s2, s2, 0xc4
	s_addc_u32 s3, s3, 0
	s_mul_i32 s4, s26, 12
	s_add_u32 s4, s28, s4
	s_addc_u32 s5, s29, 0
.LBB15_501:                             ; =>This Inner Loop Header: Depth=1
	s_load_dwordx2 s[8:9], s[4:5], 0x4
	s_load_dword s7, s[4:5], 0xc
	s_add_u32 s4, s4, 12
	s_addc_u32 s5, s5, 0
	s_waitcnt lgkmcnt(0)
	v_mul_hi_u32 v3, s9, v1
	s_load_dword s9, s[2:3], 0x0
	s_add_u32 s2, s2, 4
	s_addc_u32 s3, s3, 0
	v_add_u32_e32 v3, v1, v3
	v_lshrrev_b32_e32 v5, s7, v3
	v_mul_lo_u32 v3, v5, s8
	s_add_i32 s6, s6, -1
	s_cmp_lg_u32 s6, 0
	v_sub_u32_e32 v1, v1, v3
	s_waitcnt lgkmcnt(0)
	v_mad_u64_u32 v[2:3], s[8:9], v1, s9, v[2:3]
	v_mov_b32_e32 v1, v5
	s_cbranch_scc1 .LBB15_501
.LBB15_502:
	s_cbranch_execnz .LBB15_505
.LBB15_503:
	s_load_dwordx4 s[4:7], s[28:29], 0x4
	s_load_dword s2, s[28:29], 0xc4
	s_cmp_lt_u32 s33, 2
	s_waitcnt lgkmcnt(0)
	v_mul_hi_u32 v1, s5, v0
	v_add_u32_e32 v1, v0, v1
	v_lshrrev_b32_e32 v1, s6, v1
	v_mul_lo_u32 v2, v1, s4
	v_sub_u32_e32 v0, v0, v2
	v_mul_lo_u32 v2, v0, s2
	s_cbranch_scc1 .LBB15_505
; %bb.504:
	s_load_dwordx4 s[4:7], s[28:29], 0x10
	s_load_dword s2, s[28:29], 0xc8
	s_waitcnt lgkmcnt(0)
	v_mul_hi_u32 v0, s5, v1
	v_add_u32_e32 v0, v1, v0
	v_lshrrev_b32_e32 v0, s6, v0
	v_mul_lo_u32 v0, v0, s4
	v_sub_u32_e32 v0, v1, v0
	v_mad_u64_u32 v[2:3], s[2:3], v0, s2, v[2:3]
.LBB15_505:
	s_and_b64 vcc, exec, s[0:1]
	s_cbranch_vccnz .LBB15_511
; %bb.506:
	s_cmp_lg_u32 s33, 0
	s_mov_b32 s24, 0
	s_cbranch_scc0 .LBB15_512
; %bb.507:
	s_min_u32 s25, s37, 15
	s_add_i32 s25, s25, 1
	s_cmp_eq_u32 s37, 2
	s_cbranch_scc1 .LBB15_513
; %bb.508:
	s_and_b32 s24, s25, 28
	s_waitcnt lgkmcnt(0)
	s_add_u32 s16, s28, 0xc4
	s_addc_u32 s17, s29, 0
	s_mov_b32 s26, 0
	v_mov_b32_e32 v0, 0
	s_mov_b64 s[18:19], s[28:29]
	v_mov_b32_e32 v1, v9
.LBB15_509:                             ; =>This Inner Loop Header: Depth=1
	s_load_dwordx8 s[0:7], s[18:19], 0x4
	s_load_dwordx4 s[8:11], s[18:19], 0x24
	s_load_dwordx4 s[12:15], s[16:17], 0x0
	s_add_u32 s18, s18, 48
	s_addc_u32 s19, s19, 0
	s_waitcnt lgkmcnt(0)
	v_mul_hi_u32 v3, s1, v1
	s_add_i32 s26, s26, 4
	s_add_u32 s16, s16, 16
	s_addc_u32 s17, s17, 0
	v_add_u32_e32 v3, v1, v3
	v_lshrrev_b32_e32 v3, s2, v3
	v_mul_lo_u32 v5, v3, s0
	v_mul_hi_u32 v7, s4, v3
	s_cmp_lg_u32 s24, s26
	v_sub_u32_e32 v1, v1, v5
	v_add_u32_e32 v5, v3, v7
	v_lshrrev_b32_e32 v5, s5, v5
	v_mul_lo_u32 v7, v1, s12
	v_mul_hi_u32 v1, s7, v5
	v_mul_lo_u32 v10, v5, s3
	v_add_u32_e32 v1, v5, v1
	v_lshrrev_b32_e32 v8, s8, v1
	v_mul_hi_u32 v1, s10, v8
	v_sub_u32_e32 v3, v3, v10
	v_mul_lo_u32 v10, v8, s6
	v_mul_lo_u32 v3, v3, s13
	v_add_u32_e32 v1, v8, v1
	v_lshrrev_b32_e32 v1, s11, v1
	v_mul_lo_u32 v11, v1, s9
	v_sub_u32_e32 v5, v5, v10
	v_mul_lo_u32 v5, v5, s14
	v_add3_u32 v0, v7, v0, v3
	v_sub_u32_e32 v8, v8, v11
	v_mul_lo_u32 v8, v8, s15
	v_add3_u32 v0, v5, v0, v8
	s_cbranch_scc1 .LBB15_509
; %bb.510:
	s_and_b32 s4, s25, 3
	s_cmp_eq_u32 s4, 0
	s_cbranch_scc0 .LBB15_514
	s_branch .LBB15_516
.LBB15_511:
                                        ; implicit-def: $vgpr0
	s_branch .LBB15_517
.LBB15_512:
	v_mov_b32_e32 v0, 0
	s_branch .LBB15_516
.LBB15_513:
	v_mov_b32_e32 v0, 0
	v_mov_b32_e32 v1, v9
	s_and_b32 s4, s25, 3
	s_cmp_eq_u32 s4, 0
	s_cbranch_scc1 .LBB15_516
.LBB15_514:
	s_lshl_b32 s0, s24, 2
	s_add_u32 s0, s28, s0
	s_addc_u32 s1, s29, 0
	s_add_u32 s0, s0, 0xc4
	s_addc_u32 s1, s1, 0
	s_mul_i32 s2, s24, 12
	s_add_u32 s2, s28, s2
	s_addc_u32 s3, s29, 0
.LBB15_515:                             ; =>This Inner Loop Header: Depth=1
	s_load_dwordx2 s[6:7], s[2:3], 0x4
	s_load_dword s5, s[2:3], 0xc
	s_add_u32 s2, s2, 12
	s_addc_u32 s3, s3, 0
	s_waitcnt lgkmcnt(0)
	v_mul_hi_u32 v3, s7, v1
	s_load_dword s7, s[0:1], 0x0
	s_add_u32 s0, s0, 4
	s_addc_u32 s1, s1, 0
	v_add_u32_e32 v3, v1, v3
	v_lshrrev_b32_e32 v3, s5, v3
	v_mul_lo_u32 v5, v3, s6
	s_add_i32 s4, s4, -1
	s_cmp_lg_u32 s4, 0
	v_sub_u32_e32 v1, v1, v5
	s_waitcnt lgkmcnt(0)
	v_mad_u64_u32 v[0:1], s[6:7], v1, s7, v[0:1]
	v_mov_b32_e32 v1, v3
	s_cbranch_scc1 .LBB15_515
.LBB15_516:
	s_cbranch_execnz .LBB15_519
.LBB15_517:
	s_load_dwordx4 s[0:3], s[28:29], 0x4
	s_waitcnt lgkmcnt(0)
	s_load_dword s3, s[28:29], 0xc4
	s_cmp_lt_u32 s33, 2
	v_mul_hi_u32 v0, s1, v9
	v_add_u32_e32 v0, v9, v0
	v_lshrrev_b32_e32 v1, s2, v0
	v_mul_lo_u32 v0, v1, s0
	v_sub_u32_e32 v0, v9, v0
	s_waitcnt lgkmcnt(0)
	v_mul_lo_u32 v0, v0, s3
	s_cbranch_scc1 .LBB15_519
; %bb.518:
	s_load_dwordx4 s[0:3], s[28:29], 0x10
	s_waitcnt lgkmcnt(0)
	s_load_dword s3, s[28:29], 0xc8
	v_mul_hi_u32 v3, s1, v1
	v_add_u32_e32 v3, v1, v3
	v_lshrrev_b32_e32 v3, s2, v3
	v_mul_lo_u32 v3, v3, s0
	v_sub_u32_e32 v1, v1, v3
	s_waitcnt lgkmcnt(0)
	v_mad_u64_u32 v[0:1], s[0:1], v1, s3, v[0:1]
.LBB15_519:
	s_load_dwordx2 s[2:3], s[28:29], 0x108
	s_load_dword s12, s[28:29], 0x110
	s_waitcnt lgkmcnt(0)
	v_mov_b32_e32 v1, s3
	s_bfe_u32 s13, s12, 0x80008
	v_add_co_u32_e32 v5, vcc, s2, v6
	s_cmp_lt_i32 s13, 11
	v_addc_co_u32_e32 v6, vcc, 0, v1, vcc
	s_cbranch_scc1 .LBB15_547
; %bb.520:
	s_and_b32 s10, 0xffff, s13
	s_mov_b64 s[8:9], -1
	s_mov_b64 s[4:5], 0
	s_cmp_gt_i32 s10, 25
	s_mov_b64 s[6:7], 0
	s_mov_b64 s[0:1], 0
	s_cbranch_scc0 .LBB15_557
; %bb.521:
	s_cmp_gt_i32 s10, 28
	s_cbranch_scc0 .LBB15_536
; %bb.522:
	s_cmp_gt_i32 s10, 43
	s_cbranch_scc0 .LBB15_532
; %bb.523:
	s_cmp_gt_i32 s10, 45
	s_cbranch_scc0 .LBB15_526
; %bb.524:
	s_mov_b64 s[0:1], -1
	s_mov_b64 s[8:9], 0
	s_cmp_eq_u32 s10, 46
	s_cbranch_scc0 .LBB15_526
; %bb.525:
	s_bfe_i32 s0, s12, 0x80000
	s_sext_i32_i16 s0, s0
	v_cvt_f32_i32_e32 v1, s0
	s_mov_b64 s[0:1], 0
	s_mov_b64 s[6:7], -1
	v_bfe_u32 v3, v1, 16, 1
	v_add_u32_e32 v1, v1, v3
	v_add_u32_e32 v1, 0x7fff, v1
	v_lshrrev_b32_e32 v1, 16, v1
	global_store_dword v[5:6], v1, off
.LBB15_526:
	s_and_b64 vcc, exec, s[8:9]
	s_cbranch_vccz .LBB15_531
; %bb.527:
	s_cmp_eq_u32 s10, 44
	s_mov_b64 s[0:1], -1
	s_cbranch_scc0 .LBB15_531
; %bb.528:
	s_bfe_i32 s0, s12, 0x80000
	s_sext_i32_i16 s0, s0
	v_cvt_f32_i32_e32 v1, s0
	v_mov_b32_e32 v3, 0xff
	v_readfirstlane_b32 s0, v1
	s_bfe_u32 s1, s0, 0x80017
	s_cmpk_eq_i32 s1, 0xff
	s_cbranch_scc1 .LBB15_530
; %bb.529:
	s_bitcmp1_b32 s0, 22
	s_cselect_b64 s[6:7], -1, 0
	s_and_b32 s0, s0, 0x3fffff
	s_or_b32 s0, s1, s0
	s_cmp_lg_u32 s0, 0
	s_cselect_b64 s[0:1], -1, 0
	s_and_b64 s[0:1], s[6:7], s[0:1]
	v_lshrrev_b32_e32 v1, 23, v1
	v_cndmask_b32_e64 v3, 0, 1, s[0:1]
	v_add_u32_e32 v3, v1, v3
.LBB15_530:
	s_mov_b64 s[0:1], 0
	s_mov_b64 s[6:7], -1
	global_store_byte v[5:6], v3, off
.LBB15_531:
	s_mov_b64 s[8:9], 0
.LBB15_532:
	s_and_b64 vcc, exec, s[8:9]
	s_cbranch_vccz .LBB15_535
; %bb.533:
	s_cmp_eq_u32 s10, 29
	s_mov_b64 s[0:1], -1
	s_cbranch_scc0 .LBB15_535
; %bb.534:
	v_mov_b32_e32 v1, s12
	v_bfe_i32 v7, v1, 0, 8
	v_ashrrev_i32_e32 v8, 31, v7
	global_store_dwordx2 v[5:6], v[7:8], off
	s_mov_b64 s[0:1], 0
	s_mov_b64 s[6:7], -1
.LBB15_535:
	s_mov_b64 s[8:9], 0
.LBB15_536:
	s_and_b64 vcc, exec, s[8:9]
	s_cbranch_vccz .LBB15_556
; %bb.537:
	s_cmp_lt_i32 s10, 27
	s_mov_b64 s[6:7], -1
	s_cbranch_scc1 .LBB15_543
; %bb.538:
	s_cmp_gt_i32 s10, 27
	s_cbranch_scc0 .LBB15_540
; %bb.539:
	s_sext_i32_i8 s6, s12
	v_mov_b32_e32 v1, s6
	s_mov_b64 s[6:7], 0
	global_store_dword v[5:6], v1, off
.LBB15_540:
	s_andn2_b64 vcc, exec, s[6:7]
	s_cbranch_vccnz .LBB15_542
; %bb.541:
	s_bfe_i32 s6, s12, 0x80000
	v_mov_b32_e32 v1, s6
	global_store_short v[5:6], v1, off
.LBB15_542:
	s_mov_b64 s[6:7], 0
.LBB15_543:
	s_andn2_b64 vcc, exec, s[6:7]
	s_cbranch_vccnz .LBB15_555
; %bb.544:
	s_bfe_i32 s6, s12, 0x80000
	s_sext_i32_i16 s6, s6
	v_cvt_f32_i32_e32 v1, s6
	v_mov_b32_e32 v3, 0x80
	v_readfirstlane_b32 s11, v1
	s_and_b32 s6, s11, 0x7fffffff
	s_cmp_gt_u32 s6, 0x437fffff
	s_cbranch_scc1 .LBB15_554
; %bb.545:
	s_cmp_gt_u32 s6, 0x3bffffff
	s_cbranch_scc0 .LBB15_549
; %bb.546:
	s_bfe_u32 s6, s11, 0x10014
	s_add_i32 s6, s11, s6
	s_add_i32 s6, s6, 0x487ffff
	s_lshr_b32 s14, s6, 20
	s_mov_b64 s[8:9], 0
	s_mov_b64 s[6:7], -1
	s_branch .LBB15_550
.LBB15_547:
	s_mov_b64 s[6:7], 0
	s_mov_b64 s[0:1], s[20:21]
	s_cbranch_execnz .LBB15_607
.LBB15_548:
	s_andn2_b64 vcc, exec, s[6:7]
	s_cbranch_vccz .LBB15_645
	s_branch .LBB15_943
.LBB15_549:
	s_mov_b64 s[8:9], -1
	s_mov_b64 s[6:7], 0
                                        ; implicit-def: $sgpr14
.LBB15_550:
	s_andn2_b64 vcc, exec, s[8:9]
	v_mov_b32_e32 v1, s14
	s_cbranch_vccnz .LBB15_552
; %bb.551:
	v_mov_b32_e32 v1, 0x46000000
	v_add_f32_e64 v1, |s11|, v1
	v_and_b32_e32 v1, 0xff, v1
	v_cmp_ne_u32_e64 s[6:7], 0, v1
.LBB15_552:
	s_andn2_b64 vcc, exec, s[6:7]
	v_mov_b32_e32 v3, 0
	s_cbranch_vccnz .LBB15_554
; %bb.553:
	s_lshr_b32 s6, s11, 24
	s_and_b32 s6, s6, 0x80
	v_or_b32_e32 v3, s6, v1
.LBB15_554:
	global_store_byte v[5:6], v3, off
.LBB15_555:
	s_mov_b64 s[6:7], -1
.LBB15_556:
	s_mov_b64 s[8:9], 0
.LBB15_557:
	s_and_b64 vcc, exec, s[8:9]
	s_cbranch_vccz .LBB15_603
; %bb.558:
	s_cmp_gt_i32 s10, 22
	s_mov_b64 s[4:5], -1
	s_cbranch_scc0 .LBB15_596
; %bb.559:
	s_cmp_lt_i32 s10, 24
	s_cbranch_scc1 .LBB15_583
; %bb.560:
	s_cmp_gt_i32 s10, 24
	s_cbranch_scc0 .LBB15_570
; %bb.561:
	s_bfe_i32 s4, s12, 0x80000
	s_sext_i32_i16 s4, s4
	v_cvt_f32_i32_e32 v1, s4
	v_mov_b32_e32 v3, 0x80
	v_readfirstlane_b32 s8, v1
	s_and_b32 s4, s8, 0x7fffffff
	s_cmp_gt_u32 s4, 0x477fffff
	s_cbranch_scc1 .LBB15_569
; %bb.562:
	s_cmp_gt_u32 s4, 0x37ffffff
	s_cbranch_scc0 .LBB15_564
; %bb.563:
	s_bfe_u32 s4, s8, 0x10015
	s_add_i32 s4, s8, s4
	s_add_i32 s4, s4, 0x88fffff
	s_lshr_b32 s9, s4, 21
	s_mov_b64 s[6:7], 0
	s_mov_b64 s[4:5], -1
	s_branch .LBB15_565
.LBB15_564:
	s_mov_b64 s[6:7], -1
	s_mov_b64 s[4:5], 0
                                        ; implicit-def: $sgpr9
.LBB15_565:
	s_andn2_b64 vcc, exec, s[6:7]
	v_mov_b32_e32 v1, s9
	s_cbranch_vccnz .LBB15_567
; %bb.566:
	v_mov_b32_e32 v1, 0x42800000
	v_add_f32_e64 v1, |s8|, v1
	v_and_b32_e32 v1, 0xff, v1
	v_cmp_ne_u32_e64 s[4:5], 0, v1
.LBB15_567:
	s_andn2_b64 vcc, exec, s[4:5]
	v_mov_b32_e32 v3, 0
	s_cbranch_vccnz .LBB15_569
; %bb.568:
	s_lshr_b32 s4, s8, 24
	s_and_b32 s4, s4, 0x80
	v_or_b32_e32 v3, s4, v1
.LBB15_569:
	s_mov_b64 s[4:5], 0
	global_store_byte v[5:6], v3, off
.LBB15_570:
	s_and_b64 vcc, exec, s[4:5]
	s_cbranch_vccz .LBB15_582
; %bb.571:
	s_bfe_i32 s4, s12, 0x80000
	s_sext_i32_i16 s4, s4
	v_cvt_f32_i32_e32 v1, s4
	v_readfirstlane_b32 s6, v1
	s_and_b32 s7, s6, 0x7fffffff
	s_cmp_lt_u32 s7, 0x43f00000
	s_cbranch_scc0 .LBB15_574
; %bb.572:
	s_cmp_gt_u32 s7, 0x3c7fffff
	s_cbranch_scc0 .LBB15_575
; %bb.573:
	s_bfe_u32 s4, s6, 0x10014
	s_add_i32 s4, s6, s4
	s_add_i32 s4, s4, 0x407ffff
	s_lshr_b32 s5, s4, 20
	s_and_b32 s4, s4, 0xff00000
	s_cmp_lg_u32 s4, 0x7f00000
	s_cselect_b32 s8, s5, 0x7e
	s_mov_b64 s[4:5], 0
	s_branch .LBB15_576
.LBB15_574:
	s_mov_b64 s[4:5], -1
                                        ; implicit-def: $vgpr3
	s_branch .LBB15_579
.LBB15_575:
	s_mov_b64 s[4:5], -1
                                        ; implicit-def: $sgpr8
.LBB15_576:
	s_andn2_b64 vcc, exec, s[4:5]
	v_mov_b32_e32 v3, s8
	s_cbranch_vccnz .LBB15_578
; %bb.577:
	s_mov_b32 s4, 0x46800000
	v_add_f32_e64 v3, |v1|, s4
.LBB15_578:
	s_mov_b64 s[4:5], 0
.LBB15_579:
	s_andn2_b64 vcc, exec, s[4:5]
	s_cbranch_vccnz .LBB15_581
; %bb.580:
	s_cmp_gt_u32 s7, 0x7f800000
	s_movk_i32 s4, 0x7f
	s_cselect_b32 s4, s4, 0x7e
	v_mov_b32_e32 v3, s4
.LBB15_581:
	s_lshr_b32 s4, s6, 24
	s_and_b32 s4, s4, 0x80
	v_or_b32_e32 v1, s4, v3
	global_store_byte v[5:6], v1, off
.LBB15_582:
	s_mov_b64 s[4:5], 0
.LBB15_583:
	s_andn2_b64 vcc, exec, s[4:5]
	s_cbranch_vccnz .LBB15_595
; %bb.584:
	s_bfe_i32 s4, s12, 0x80000
	s_sext_i32_i16 s4, s4
	v_cvt_f32_i32_e32 v1, s4
	v_readfirstlane_b32 s6, v1
	s_and_b32 s7, s6, 0x7fffffff
	s_cmp_lt_u32 s7, 0x47800000
	s_cbranch_scc0 .LBB15_587
; %bb.585:
	s_cmp_gt_u32 s7, 0x387fffff
	s_cbranch_scc0 .LBB15_588
; %bb.586:
	s_bfe_u32 s4, s6, 0x10015
	s_add_i32 s4, s6, s4
	s_add_i32 s4, s4, 0x80fffff
	s_lshr_b32 s8, s4, 21
	s_mov_b64 s[4:5], 0
	s_branch .LBB15_589
.LBB15_587:
	s_mov_b64 s[4:5], -1
                                        ; implicit-def: $vgpr3
	s_branch .LBB15_592
.LBB15_588:
	s_mov_b64 s[4:5], -1
                                        ; implicit-def: $sgpr8
.LBB15_589:
	s_andn2_b64 vcc, exec, s[4:5]
	v_mov_b32_e32 v3, s8
	s_cbranch_vccnz .LBB15_591
; %bb.590:
	s_mov_b32 s4, 0x43000000
	v_add_f32_e64 v3, |v1|, s4
.LBB15_591:
	s_mov_b64 s[4:5], 0
.LBB15_592:
	s_andn2_b64 vcc, exec, s[4:5]
	s_cbranch_vccnz .LBB15_594
; %bb.593:
	s_cmp_gt_u32 s7, 0x7f800000
	s_movk_i32 s4, 0x7f
	s_cselect_b32 s4, s4, 0x7c
	v_mov_b32_e32 v3, s4
.LBB15_594:
	s_lshr_b32 s4, s6, 24
	s_and_b32 s4, s4, 0x80
	v_or_b32_e32 v1, s4, v3
	global_store_byte v[5:6], v1, off
.LBB15_595:
	s_mov_b64 s[4:5], 0
	s_mov_b64 s[6:7], -1
.LBB15_596:
	s_andn2_b64 vcc, exec, s[4:5]
	s_mov_b64 s[4:5], 0
	s_cbranch_vccnz .LBB15_603
; %bb.597:
	s_cmp_gt_i32 s10, 14
	s_mov_b64 s[8:9], -1
	s_cbranch_scc0 .LBB15_601
; %bb.598:
	s_cmp_eq_u32 s10, 15
	s_mov_b64 s[0:1], -1
	s_cbranch_scc0 .LBB15_600
; %bb.599:
	s_bfe_i32 s0, s12, 0x80000
	s_sext_i32_i16 s0, s0
	v_cvt_f32_i32_e32 v1, s0
	s_mov_b64 s[0:1], 0
	s_mov_b64 s[6:7], -1
	v_bfe_u32 v3, v1, 16, 1
	v_add_u32_e32 v1, v1, v3
	v_add_u32_e32 v1, 0x7fff, v1
	global_store_short_d16_hi v[5:6], v1, off
.LBB15_600:
	s_mov_b64 s[8:9], 0
.LBB15_601:
	s_and_b64 vcc, exec, s[8:9]
	s_cbranch_vccz .LBB15_603
; %bb.602:
	s_cmp_lg_u32 s10, 11
	s_mov_b64 s[4:5], -1
	s_cselect_b64 s[0:1], -1, 0
.LBB15_603:
	s_and_b64 vcc, exec, s[0:1]
	s_mov_b64 s[0:1], s[20:21]
	s_cbranch_vccnz .LBB15_675
; %bb.604:
	s_andn2_b64 vcc, exec, s[4:5]
	s_cbranch_vccnz .LBB15_606
.LBB15_605:
	s_and_b32 s4, s12, 0xff
	s_cmp_lg_u32 s4, 0
	s_cselect_b64 s[4:5], -1, 0
	v_cndmask_b32_e64 v1, 0, 1, s[4:5]
	global_store_byte v[5:6], v1, off
	s_mov_b64 s[6:7], -1
.LBB15_606:
	s_branch .LBB15_548
.LBB15_607:
	s_and_b32 s6, 0xffff, s13
	s_cmp_lt_i32 s6, 5
	s_mov_b64 s[4:5], -1
	s_cbranch_scc1 .LBB15_628
; %bb.608:
	s_cmp_lt_i32 s6, 8
	s_cbranch_scc1 .LBB15_618
; %bb.609:
	s_cmp_lt_i32 s6, 9
	s_cbranch_scc1 .LBB15_615
; %bb.610:
	s_cmp_gt_i32 s6, 9
	s_cbranch_scc0 .LBB15_612
; %bb.611:
	s_bfe_i32 s4, s12, 0x80000
	s_sext_i32_i16 s4, s4
	v_cvt_f64_i32_e32 v[7:8], s4
	v_mov_b32_e32 v9, 0
	v_mov_b32_e32 v10, v9
	s_mov_b64 s[4:5], 0
	global_store_dwordx4 v[5:6], v[7:10], off
.LBB15_612:
	s_andn2_b64 vcc, exec, s[4:5]
	s_cbranch_vccnz .LBB15_614
; %bb.613:
	s_bfe_i32 s4, s12, 0x80000
	s_sext_i32_i16 s4, s4
	v_cvt_f32_i32_e32 v7, s4
	v_mov_b32_e32 v8, 0
	global_store_dwordx2 v[5:6], v[7:8], off
.LBB15_614:
	s_mov_b64 s[4:5], 0
.LBB15_615:
	s_andn2_b64 vcc, exec, s[4:5]
	s_cbranch_vccnz .LBB15_617
; %bb.616:
	s_bfe_i32 s4, s12, 0x80000
	v_cvt_f16_i16_e32 v1, s4
	global_store_dword v[5:6], v1, off
.LBB15_617:
	s_mov_b64 s[4:5], 0
.LBB15_618:
	s_andn2_b64 vcc, exec, s[4:5]
	s_cbranch_vccnz .LBB15_627
; %bb.619:
	s_cmp_lt_i32 s6, 6
	s_mov_b64 s[4:5], -1
	s_cbranch_scc1 .LBB15_625
; %bb.620:
	s_cmp_gt_i32 s6, 6
	s_cbranch_scc0 .LBB15_622
; %bb.621:
	s_bfe_i32 s4, s12, 0x80000
	s_sext_i32_i16 s4, s4
	v_cvt_f64_i32_e32 v[7:8], s4
	s_mov_b64 s[4:5], 0
	global_store_dwordx2 v[5:6], v[7:8], off
.LBB15_622:
	s_andn2_b64 vcc, exec, s[4:5]
	s_cbranch_vccnz .LBB15_624
; %bb.623:
	s_bfe_i32 s4, s12, 0x80000
	s_sext_i32_i16 s4, s4
	v_cvt_f32_i32_e32 v1, s4
	global_store_dword v[5:6], v1, off
.LBB15_624:
	s_mov_b64 s[4:5], 0
.LBB15_625:
	s_andn2_b64 vcc, exec, s[4:5]
	s_cbranch_vccnz .LBB15_627
; %bb.626:
	s_bfe_i32 s4, s12, 0x80000
	v_cvt_f16_i16_e32 v1, s4
	global_store_short v[5:6], v1, off
.LBB15_627:
	s_mov_b64 s[4:5], 0
.LBB15_628:
	s_andn2_b64 vcc, exec, s[4:5]
	s_cbranch_vccnz .LBB15_644
; %bb.629:
	s_cmp_lt_i32 s6, 2
	s_mov_b64 s[4:5], -1
	s_cbranch_scc1 .LBB15_639
; %bb.630:
	s_cmp_lt_i32 s6, 3
	s_cbranch_scc1 .LBB15_636
; %bb.631:
	s_cmp_gt_i32 s6, 3
	s_cbranch_scc0 .LBB15_633
; %bb.632:
	v_mov_b32_e32 v1, s12
	v_bfe_i32 v7, v1, 0, 8
	v_ashrrev_i32_e32 v8, 31, v7
	global_store_dwordx2 v[5:6], v[7:8], off
	s_mov_b64 s[4:5], 0
.LBB15_633:
	s_andn2_b64 vcc, exec, s[4:5]
	s_cbranch_vccnz .LBB15_635
; %bb.634:
	s_sext_i32_i8 s4, s12
	v_mov_b32_e32 v1, s4
	global_store_dword v[5:6], v1, off
.LBB15_635:
	s_mov_b64 s[4:5], 0
.LBB15_636:
	s_andn2_b64 vcc, exec, s[4:5]
	s_cbranch_vccnz .LBB15_638
; %bb.637:
	s_bfe_i32 s4, s12, 0x80000
	v_mov_b32_e32 v1, s4
	global_store_short v[5:6], v1, off
.LBB15_638:
	s_mov_b64 s[4:5], 0
.LBB15_639:
	s_andn2_b64 vcc, exec, s[4:5]
	s_cbranch_vccnz .LBB15_644
; %bb.640:
	s_cmp_gt_i32 s6, 0
	s_mov_b64 s[4:5], -1
	s_cbranch_scc0 .LBB15_642
; %bb.641:
	v_mov_b32_e32 v1, s12
	global_store_byte v[5:6], v1, off
	s_mov_b64 s[4:5], 0
.LBB15_642:
	s_andn2_b64 vcc, exec, s[4:5]
	s_cbranch_vccnz .LBB15_644
; %bb.643:
	v_mov_b32_e32 v1, s12
	global_store_byte v[5:6], v1, off
.LBB15_644:
.LBB15_645:
	v_mov_b32_e32 v1, s3
	s_and_b32 s14, 0xffff, s13
	v_add_co_u32_e32 v3, vcc, s2, v4
	s_cmp_lt_i32 s14, 11
	v_addc_co_u32_e32 v4, vcc, 0, v1, vcc
	s_cbranch_scc1 .LBB15_673
; %bb.646:
	s_mov_b64 s[10:11], -1
	s_mov_b64 s[6:7], 0
	s_cmp_gt_i32 s14, 25
	s_mov_b64 s[8:9], 0
	s_mov_b64 s[4:5], 0
	s_cbranch_scc0 .LBB15_684
; %bb.647:
	s_cmp_gt_i32 s14, 28
	s_cbranch_scc0 .LBB15_662
; %bb.648:
	s_cmp_gt_i32 s14, 43
	;; [unrolled: 3-line block ×3, first 2 shown]
	s_cbranch_scc0 .LBB15_652
; %bb.650:
	s_mov_b64 s[4:5], -1
	s_mov_b64 s[10:11], 0
	s_cmp_eq_u32 s14, 46
	s_cbranch_scc0 .LBB15_652
; %bb.651:
	s_bfe_i32 s4, s12, 0x80000
	s_sext_i32_i16 s4, s4
	v_cvt_f32_i32_e32 v1, s4
	s_mov_b64 s[4:5], 0
	s_mov_b64 s[8:9], -1
	v_bfe_u32 v5, v1, 16, 1
	v_add_u32_e32 v1, v1, v5
	v_add_u32_e32 v1, 0x7fff, v1
	v_lshrrev_b32_e32 v1, 16, v1
	global_store_dword v[3:4], v1, off
.LBB15_652:
	s_and_b64 vcc, exec, s[10:11]
	s_cbranch_vccz .LBB15_657
; %bb.653:
	s_cmp_eq_u32 s14, 44
	s_mov_b64 s[4:5], -1
	s_cbranch_scc0 .LBB15_657
; %bb.654:
	s_bfe_i32 s4, s12, 0x80000
	s_sext_i32_i16 s4, s4
	v_cvt_f32_i32_e32 v1, s4
	v_mov_b32_e32 v5, 0xff
	v_readfirstlane_b32 s4, v1
	s_bfe_u32 s5, s4, 0x80017
	s_cmpk_eq_i32 s5, 0xff
	s_cbranch_scc1 .LBB15_656
; %bb.655:
	s_bitcmp1_b32 s4, 22
	s_cselect_b64 s[8:9], -1, 0
	s_and_b32 s4, s4, 0x3fffff
	s_or_b32 s4, s5, s4
	s_cmp_lg_u32 s4, 0
	s_cselect_b64 s[4:5], -1, 0
	s_and_b64 s[4:5], s[8:9], s[4:5]
	v_lshrrev_b32_e32 v1, 23, v1
	v_cndmask_b32_e64 v5, 0, 1, s[4:5]
	v_add_u32_e32 v5, v1, v5
.LBB15_656:
	s_mov_b64 s[4:5], 0
	s_mov_b64 s[8:9], -1
	global_store_byte v[3:4], v5, off
.LBB15_657:
	s_mov_b64 s[10:11], 0
.LBB15_658:
	s_and_b64 vcc, exec, s[10:11]
	s_cbranch_vccz .LBB15_661
; %bb.659:
	s_cmp_eq_u32 s14, 29
	s_mov_b64 s[4:5], -1
	s_cbranch_scc0 .LBB15_661
; %bb.660:
	v_mov_b32_e32 v1, s12
	v_bfe_i32 v5, v1, 0, 8
	v_ashrrev_i32_e32 v6, 31, v5
	global_store_dwordx2 v[3:4], v[5:6], off
	s_mov_b64 s[4:5], 0
	s_mov_b64 s[8:9], -1
.LBB15_661:
	s_mov_b64 s[10:11], 0
.LBB15_662:
	s_and_b64 vcc, exec, s[10:11]
	s_cbranch_vccz .LBB15_683
; %bb.663:
	s_cmp_lt_i32 s14, 27
	s_mov_b64 s[8:9], -1
	s_cbranch_scc1 .LBB15_669
; %bb.664:
	s_cmp_gt_i32 s14, 27
	s_cbranch_scc0 .LBB15_666
; %bb.665:
	s_sext_i32_i8 s8, s12
	v_mov_b32_e32 v1, s8
	s_mov_b64 s[8:9], 0
	global_store_dword v[3:4], v1, off
.LBB15_666:
	s_andn2_b64 vcc, exec, s[8:9]
	s_cbranch_vccnz .LBB15_668
; %bb.667:
	s_bfe_i32 s8, s12, 0x80000
	v_mov_b32_e32 v1, s8
	global_store_short v[3:4], v1, off
.LBB15_668:
	s_mov_b64 s[8:9], 0
.LBB15_669:
	s_andn2_b64 vcc, exec, s[8:9]
	s_cbranch_vccnz .LBB15_682
; %bb.670:
	s_bfe_i32 s8, s12, 0x80000
	s_sext_i32_i16 s8, s8
	v_cvt_f32_i32_e32 v1, s8
	v_mov_b32_e32 v5, 0x80
	v_readfirstlane_b32 s15, v1
	s_and_b32 s8, s15, 0x7fffffff
	s_cmp_gt_u32 s8, 0x437fffff
	s_cbranch_scc1 .LBB15_681
; %bb.671:
	s_cmp_gt_u32 s8, 0x3bffffff
	s_cbranch_scc0 .LBB15_676
; %bb.672:
	s_bfe_u32 s8, s15, 0x10014
	s_add_i32 s8, s15, s8
	s_add_i32 s8, s8, 0x487ffff
	s_lshr_b32 s16, s8, 20
	s_mov_b64 s[10:11], 0
	s_mov_b64 s[8:9], -1
	s_branch .LBB15_677
.LBB15_673:
	s_mov_b64 s[8:9], 0
	s_cbranch_execnz .LBB15_734
.LBB15_674:
	s_andn2_b64 vcc, exec, s[8:9]
	s_cbranch_vccz .LBB15_772
	s_branch .LBB15_943
.LBB15_675:
	s_or_b64 s[0:1], s[20:21], exec
	s_trap 2
	s_cbranch_execz .LBB15_605
	s_branch .LBB15_606
.LBB15_676:
	s_mov_b64 s[10:11], -1
	s_mov_b64 s[8:9], 0
                                        ; implicit-def: $sgpr16
.LBB15_677:
	s_andn2_b64 vcc, exec, s[10:11]
	v_mov_b32_e32 v1, s16
	s_cbranch_vccnz .LBB15_679
; %bb.678:
	v_mov_b32_e32 v1, 0x46000000
	v_add_f32_e64 v1, |s15|, v1
	v_and_b32_e32 v1, 0xff, v1
	v_cmp_ne_u32_e64 s[8:9], 0, v1
.LBB15_679:
	s_andn2_b64 vcc, exec, s[8:9]
	v_mov_b32_e32 v5, 0
	s_cbranch_vccnz .LBB15_681
; %bb.680:
	s_lshr_b32 s8, s15, 24
	s_and_b32 s8, s8, 0x80
	v_or_b32_e32 v5, s8, v1
.LBB15_681:
	global_store_byte v[3:4], v5, off
.LBB15_682:
	s_mov_b64 s[8:9], -1
.LBB15_683:
	s_mov_b64 s[10:11], 0
.LBB15_684:
	s_and_b64 vcc, exec, s[10:11]
	s_cbranch_vccz .LBB15_730
; %bb.685:
	s_cmp_gt_i32 s14, 22
	s_mov_b64 s[6:7], -1
	s_cbranch_scc0 .LBB15_723
; %bb.686:
	s_cmp_lt_i32 s14, 24
	s_cbranch_scc1 .LBB15_710
; %bb.687:
	s_cmp_gt_i32 s14, 24
	s_cbranch_scc0 .LBB15_697
; %bb.688:
	s_bfe_i32 s6, s12, 0x80000
	s_sext_i32_i16 s6, s6
	v_cvt_f32_i32_e32 v1, s6
	v_mov_b32_e32 v5, 0x80
	v_readfirstlane_b32 s10, v1
	s_and_b32 s6, s10, 0x7fffffff
	s_cmp_gt_u32 s6, 0x477fffff
	s_cbranch_scc1 .LBB15_696
; %bb.689:
	s_cmp_gt_u32 s6, 0x37ffffff
	s_cbranch_scc0 .LBB15_691
; %bb.690:
	s_bfe_u32 s6, s10, 0x10015
	s_add_i32 s6, s10, s6
	s_add_i32 s6, s6, 0x88fffff
	s_lshr_b32 s11, s6, 21
	s_mov_b64 s[8:9], 0
	s_mov_b64 s[6:7], -1
	s_branch .LBB15_692
.LBB15_691:
	s_mov_b64 s[8:9], -1
	s_mov_b64 s[6:7], 0
                                        ; implicit-def: $sgpr11
.LBB15_692:
	s_andn2_b64 vcc, exec, s[8:9]
	v_mov_b32_e32 v1, s11
	s_cbranch_vccnz .LBB15_694
; %bb.693:
	v_mov_b32_e32 v1, 0x42800000
	v_add_f32_e64 v1, |s10|, v1
	v_and_b32_e32 v1, 0xff, v1
	v_cmp_ne_u32_e64 s[6:7], 0, v1
.LBB15_694:
	s_andn2_b64 vcc, exec, s[6:7]
	v_mov_b32_e32 v5, 0
	s_cbranch_vccnz .LBB15_696
; %bb.695:
	s_lshr_b32 s6, s10, 24
	s_and_b32 s6, s6, 0x80
	v_or_b32_e32 v5, s6, v1
.LBB15_696:
	s_mov_b64 s[6:7], 0
	global_store_byte v[3:4], v5, off
.LBB15_697:
	s_and_b64 vcc, exec, s[6:7]
	s_cbranch_vccz .LBB15_709
; %bb.698:
	s_bfe_i32 s6, s12, 0x80000
	s_sext_i32_i16 s6, s6
	v_cvt_f32_i32_e32 v1, s6
	v_readfirstlane_b32 s8, v1
	s_and_b32 s9, s8, 0x7fffffff
	s_cmp_lt_u32 s9, 0x43f00000
	s_cbranch_scc0 .LBB15_701
; %bb.699:
	s_cmp_gt_u32 s9, 0x3c7fffff
	s_cbranch_scc0 .LBB15_702
; %bb.700:
	s_bfe_u32 s6, s8, 0x10014
	s_add_i32 s6, s8, s6
	s_add_i32 s6, s6, 0x407ffff
	s_lshr_b32 s7, s6, 20
	s_and_b32 s6, s6, 0xff00000
	s_cmp_lg_u32 s6, 0x7f00000
	s_cselect_b32 s10, s7, 0x7e
	s_mov_b64 s[6:7], 0
	s_branch .LBB15_703
.LBB15_701:
	s_mov_b64 s[6:7], -1
                                        ; implicit-def: $vgpr5
	s_branch .LBB15_706
.LBB15_702:
	s_mov_b64 s[6:7], -1
                                        ; implicit-def: $sgpr10
.LBB15_703:
	s_andn2_b64 vcc, exec, s[6:7]
	v_mov_b32_e32 v5, s10
	s_cbranch_vccnz .LBB15_705
; %bb.704:
	s_mov_b32 s6, 0x46800000
	v_add_f32_e64 v5, |v1|, s6
.LBB15_705:
	s_mov_b64 s[6:7], 0
.LBB15_706:
	s_andn2_b64 vcc, exec, s[6:7]
	s_cbranch_vccnz .LBB15_708
; %bb.707:
	s_cmp_gt_u32 s9, 0x7f800000
	s_movk_i32 s6, 0x7f
	s_cselect_b32 s6, s6, 0x7e
	v_mov_b32_e32 v5, s6
.LBB15_708:
	s_lshr_b32 s6, s8, 24
	s_and_b32 s6, s6, 0x80
	v_or_b32_e32 v1, s6, v5
	global_store_byte v[3:4], v1, off
.LBB15_709:
	s_mov_b64 s[6:7], 0
.LBB15_710:
	s_andn2_b64 vcc, exec, s[6:7]
	s_cbranch_vccnz .LBB15_722
; %bb.711:
	s_bfe_i32 s6, s12, 0x80000
	s_sext_i32_i16 s6, s6
	v_cvt_f32_i32_e32 v1, s6
	v_readfirstlane_b32 s8, v1
	s_and_b32 s9, s8, 0x7fffffff
	s_cmp_lt_u32 s9, 0x47800000
	s_cbranch_scc0 .LBB15_714
; %bb.712:
	s_cmp_gt_u32 s9, 0x387fffff
	s_cbranch_scc0 .LBB15_715
; %bb.713:
	s_bfe_u32 s6, s8, 0x10015
	s_add_i32 s6, s8, s6
	s_add_i32 s6, s6, 0x80fffff
	s_lshr_b32 s10, s6, 21
	s_mov_b64 s[6:7], 0
	s_branch .LBB15_716
.LBB15_714:
	s_mov_b64 s[6:7], -1
                                        ; implicit-def: $vgpr5
	s_branch .LBB15_719
.LBB15_715:
	s_mov_b64 s[6:7], -1
                                        ; implicit-def: $sgpr10
.LBB15_716:
	s_andn2_b64 vcc, exec, s[6:7]
	v_mov_b32_e32 v5, s10
	s_cbranch_vccnz .LBB15_718
; %bb.717:
	s_mov_b32 s6, 0x43000000
	v_add_f32_e64 v5, |v1|, s6
.LBB15_718:
	s_mov_b64 s[6:7], 0
.LBB15_719:
	s_andn2_b64 vcc, exec, s[6:7]
	s_cbranch_vccnz .LBB15_721
; %bb.720:
	s_cmp_gt_u32 s9, 0x7f800000
	s_movk_i32 s6, 0x7f
	s_cselect_b32 s6, s6, 0x7c
	v_mov_b32_e32 v5, s6
.LBB15_721:
	s_lshr_b32 s6, s8, 24
	s_and_b32 s6, s6, 0x80
	v_or_b32_e32 v1, s6, v5
	global_store_byte v[3:4], v1, off
.LBB15_722:
	s_mov_b64 s[6:7], 0
	s_mov_b64 s[8:9], -1
.LBB15_723:
	s_andn2_b64 vcc, exec, s[6:7]
	s_mov_b64 s[6:7], 0
	s_cbranch_vccnz .LBB15_730
; %bb.724:
	s_cmp_gt_i32 s14, 14
	s_mov_b64 s[10:11], -1
	s_cbranch_scc0 .LBB15_728
; %bb.725:
	s_cmp_eq_u32 s14, 15
	s_mov_b64 s[4:5], -1
	s_cbranch_scc0 .LBB15_727
; %bb.726:
	s_bfe_i32 s4, s12, 0x80000
	s_sext_i32_i16 s4, s4
	v_cvt_f32_i32_e32 v1, s4
	s_mov_b64 s[4:5], 0
	s_mov_b64 s[8:9], -1
	v_bfe_u32 v5, v1, 16, 1
	v_add_u32_e32 v1, v1, v5
	v_add_u32_e32 v1, 0x7fff, v1
	global_store_short_d16_hi v[3:4], v1, off
.LBB15_727:
	s_mov_b64 s[10:11], 0
.LBB15_728:
	s_and_b64 vcc, exec, s[10:11]
	s_cbranch_vccz .LBB15_730
; %bb.729:
	s_cmp_lg_u32 s14, 11
	s_mov_b64 s[6:7], -1
	s_cselect_b64 s[4:5], -1, 0
.LBB15_730:
	s_and_b64 vcc, exec, s[4:5]
	s_cbranch_vccnz .LBB15_832
; %bb.731:
	s_andn2_b64 vcc, exec, s[6:7]
	s_cbranch_vccnz .LBB15_733
.LBB15_732:
	s_and_b32 s4, s12, 0xff
	s_cmp_lg_u32 s4, 0
	s_cselect_b64 s[4:5], -1, 0
	v_cndmask_b32_e64 v1, 0, 1, s[4:5]
	s_mov_b64 s[8:9], -1
	global_store_byte v[3:4], v1, off
.LBB15_733:
	s_branch .LBB15_674
.LBB15_734:
	s_cmp_lt_i32 s14, 5
	s_mov_b64 s[4:5], -1
	s_cbranch_scc1 .LBB15_755
; %bb.735:
	s_cmp_lt_i32 s14, 8
	s_cbranch_scc1 .LBB15_745
; %bb.736:
	s_cmp_lt_i32 s14, 9
	s_cbranch_scc1 .LBB15_742
; %bb.737:
	s_cmp_gt_i32 s14, 9
	s_cbranch_scc0 .LBB15_739
; %bb.738:
	s_bfe_i32 s4, s12, 0x80000
	s_sext_i32_i16 s4, s4
	v_cvt_f64_i32_e32 v[5:6], s4
	v_mov_b32_e32 v7, 0
	v_mov_b32_e32 v8, v7
	s_mov_b64 s[4:5], 0
	global_store_dwordx4 v[3:4], v[5:8], off
.LBB15_739:
	s_andn2_b64 vcc, exec, s[4:5]
	s_cbranch_vccnz .LBB15_741
; %bb.740:
	s_bfe_i32 s4, s12, 0x80000
	s_sext_i32_i16 s4, s4
	v_cvt_f32_i32_e32 v5, s4
	v_mov_b32_e32 v6, 0
	global_store_dwordx2 v[3:4], v[5:6], off
.LBB15_741:
	s_mov_b64 s[4:5], 0
.LBB15_742:
	s_andn2_b64 vcc, exec, s[4:5]
	s_cbranch_vccnz .LBB15_744
; %bb.743:
	s_bfe_i32 s4, s12, 0x80000
	v_cvt_f16_i16_e32 v1, s4
	global_store_dword v[3:4], v1, off
.LBB15_744:
	s_mov_b64 s[4:5], 0
.LBB15_745:
	s_andn2_b64 vcc, exec, s[4:5]
	s_cbranch_vccnz .LBB15_754
; %bb.746:
	s_cmp_lt_i32 s14, 6
	s_mov_b64 s[4:5], -1
	s_cbranch_scc1 .LBB15_752
; %bb.747:
	s_cmp_gt_i32 s14, 6
	s_cbranch_scc0 .LBB15_749
; %bb.748:
	s_bfe_i32 s4, s12, 0x80000
	s_sext_i32_i16 s4, s4
	v_cvt_f64_i32_e32 v[5:6], s4
	s_mov_b64 s[4:5], 0
	global_store_dwordx2 v[3:4], v[5:6], off
.LBB15_749:
	s_andn2_b64 vcc, exec, s[4:5]
	s_cbranch_vccnz .LBB15_751
; %bb.750:
	s_bfe_i32 s4, s12, 0x80000
	s_sext_i32_i16 s4, s4
	v_cvt_f32_i32_e32 v1, s4
	global_store_dword v[3:4], v1, off
.LBB15_751:
	s_mov_b64 s[4:5], 0
.LBB15_752:
	s_andn2_b64 vcc, exec, s[4:5]
	s_cbranch_vccnz .LBB15_754
; %bb.753:
	s_bfe_i32 s4, s12, 0x80000
	v_cvt_f16_i16_e32 v1, s4
	global_store_short v[3:4], v1, off
.LBB15_754:
	s_mov_b64 s[4:5], 0
.LBB15_755:
	s_andn2_b64 vcc, exec, s[4:5]
	s_cbranch_vccnz .LBB15_771
; %bb.756:
	s_cmp_lt_i32 s14, 2
	s_mov_b64 s[4:5], -1
	s_cbranch_scc1 .LBB15_766
; %bb.757:
	s_cmp_lt_i32 s14, 3
	s_cbranch_scc1 .LBB15_763
; %bb.758:
	s_cmp_gt_i32 s14, 3
	s_cbranch_scc0 .LBB15_760
; %bb.759:
	v_mov_b32_e32 v1, s12
	v_bfe_i32 v5, v1, 0, 8
	v_ashrrev_i32_e32 v6, 31, v5
	global_store_dwordx2 v[3:4], v[5:6], off
	s_mov_b64 s[4:5], 0
.LBB15_760:
	s_andn2_b64 vcc, exec, s[4:5]
	s_cbranch_vccnz .LBB15_762
; %bb.761:
	s_sext_i32_i8 s4, s12
	v_mov_b32_e32 v1, s4
	global_store_dword v[3:4], v1, off
.LBB15_762:
	s_mov_b64 s[4:5], 0
.LBB15_763:
	s_andn2_b64 vcc, exec, s[4:5]
	s_cbranch_vccnz .LBB15_765
; %bb.764:
	s_bfe_i32 s4, s12, 0x80000
	v_mov_b32_e32 v1, s4
	global_store_short v[3:4], v1, off
.LBB15_765:
	s_mov_b64 s[4:5], 0
.LBB15_766:
	s_andn2_b64 vcc, exec, s[4:5]
	s_cbranch_vccnz .LBB15_771
; %bb.767:
	s_cmp_gt_i32 s14, 0
	s_mov_b64 s[4:5], -1
	s_cbranch_scc0 .LBB15_769
; %bb.768:
	v_mov_b32_e32 v1, s12
	global_store_byte v[3:4], v1, off
	s_mov_b64 s[4:5], 0
.LBB15_769:
	s_andn2_b64 vcc, exec, s[4:5]
	s_cbranch_vccnz .LBB15_771
; %bb.770:
	v_mov_b32_e32 v1, s12
	global_store_byte v[3:4], v1, off
.LBB15_771:
.LBB15_772:
	v_mov_b32_e32 v3, s3
	v_add_co_u32_e32 v1, vcc, s2, v2
	s_cmp_lt_i32 s14, 11
	v_addc_co_u32_e32 v2, vcc, 0, v3, vcc
	s_cbranch_scc1 .LBB15_800
; %bb.773:
	s_mov_b64 s[10:11], -1
	s_mov_b64 s[6:7], 0
	s_cmp_gt_i32 s14, 25
	s_mov_b64 s[8:9], 0
	s_mov_b64 s[4:5], 0
	s_cbranch_scc0 .LBB15_841
; %bb.774:
	s_cmp_gt_i32 s14, 28
	s_cbranch_scc0 .LBB15_789
; %bb.775:
	s_cmp_gt_i32 s14, 43
	;; [unrolled: 3-line block ×3, first 2 shown]
	s_cbranch_scc0 .LBB15_779
; %bb.777:
	s_mov_b64 s[4:5], -1
	s_mov_b64 s[10:11], 0
	s_cmp_eq_u32 s14, 46
	s_cbranch_scc0 .LBB15_779
; %bb.778:
	s_bfe_i32 s4, s12, 0x80000
	s_sext_i32_i16 s4, s4
	v_cvt_f32_i32_e32 v3, s4
	s_mov_b64 s[4:5], 0
	s_mov_b64 s[8:9], -1
	v_bfe_u32 v4, v3, 16, 1
	v_add_u32_e32 v3, v3, v4
	v_add_u32_e32 v3, 0x7fff, v3
	v_lshrrev_b32_e32 v3, 16, v3
	global_store_dword v[1:2], v3, off
.LBB15_779:
	s_and_b64 vcc, exec, s[10:11]
	s_cbranch_vccz .LBB15_784
; %bb.780:
	s_cmp_eq_u32 s14, 44
	s_mov_b64 s[4:5], -1
	s_cbranch_scc0 .LBB15_784
; %bb.781:
	s_bfe_i32 s4, s12, 0x80000
	s_sext_i32_i16 s4, s4
	v_cvt_f32_i32_e32 v3, s4
	v_mov_b32_e32 v4, 0xff
	v_readfirstlane_b32 s4, v3
	s_bfe_u32 s5, s4, 0x80017
	s_cmpk_eq_i32 s5, 0xff
	s_cbranch_scc1 .LBB15_783
; %bb.782:
	s_bitcmp1_b32 s4, 22
	s_cselect_b64 s[8:9], -1, 0
	s_and_b32 s4, s4, 0x3fffff
	s_or_b32 s4, s5, s4
	s_cmp_lg_u32 s4, 0
	s_cselect_b64 s[4:5], -1, 0
	s_and_b64 s[4:5], s[8:9], s[4:5]
	v_lshrrev_b32_e32 v3, 23, v3
	v_cndmask_b32_e64 v4, 0, 1, s[4:5]
	v_add_u32_e32 v4, v3, v4
.LBB15_783:
	s_mov_b64 s[4:5], 0
	s_mov_b64 s[8:9], -1
	global_store_byte v[1:2], v4, off
.LBB15_784:
	s_mov_b64 s[10:11], 0
.LBB15_785:
	s_and_b64 vcc, exec, s[10:11]
	s_cbranch_vccz .LBB15_788
; %bb.786:
	s_cmp_eq_u32 s14, 29
	s_mov_b64 s[4:5], -1
	s_cbranch_scc0 .LBB15_788
; %bb.787:
	v_mov_b32_e32 v3, s12
	v_bfe_i32 v3, v3, 0, 8
	v_ashrrev_i32_e32 v4, 31, v3
	global_store_dwordx2 v[1:2], v[3:4], off
	s_mov_b64 s[4:5], 0
	s_mov_b64 s[8:9], -1
.LBB15_788:
	s_mov_b64 s[10:11], 0
.LBB15_789:
	s_and_b64 vcc, exec, s[10:11]
	s_cbranch_vccz .LBB15_840
; %bb.790:
	s_cmp_lt_i32 s14, 27
	s_mov_b64 s[8:9], -1
	s_cbranch_scc1 .LBB15_796
; %bb.791:
	s_cmp_gt_i32 s14, 27
	s_cbranch_scc0 .LBB15_793
; %bb.792:
	s_sext_i32_i8 s8, s12
	v_mov_b32_e32 v3, s8
	s_mov_b64 s[8:9], 0
	global_store_dword v[1:2], v3, off
.LBB15_793:
	s_andn2_b64 vcc, exec, s[8:9]
	s_cbranch_vccnz .LBB15_795
; %bb.794:
	s_bfe_i32 s8, s12, 0x80000
	v_mov_b32_e32 v3, s8
	global_store_short v[1:2], v3, off
.LBB15_795:
	s_mov_b64 s[8:9], 0
.LBB15_796:
	s_andn2_b64 vcc, exec, s[8:9]
	s_cbranch_vccnz .LBB15_839
; %bb.797:
	s_bfe_i32 s8, s12, 0x80000
	s_sext_i32_i16 s8, s8
	v_cvt_f32_i32_e32 v3, s8
	v_mov_b32_e32 v4, 0x80
	v_readfirstlane_b32 s15, v3
	s_and_b32 s8, s15, 0x7fffffff
	s_cmp_gt_u32 s8, 0x437fffff
	s_cbranch_scc1 .LBB15_838
; %bb.798:
	s_cmp_gt_u32 s8, 0x3bffffff
	s_cbranch_scc0 .LBB15_833
; %bb.799:
	s_bfe_u32 s8, s15, 0x10014
	s_add_i32 s8, s15, s8
	s_add_i32 s8, s8, 0x487ffff
	s_lshr_b32 s16, s8, 20
	s_mov_b64 s[10:11], 0
	s_mov_b64 s[8:9], -1
	s_branch .LBB15_834
.LBB15_800:
	s_mov_b64 s[8:9], 0
	s_cbranch_execnz .LBB15_905
.LBB15_801:
	s_andn2_b64 vcc, exec, s[8:9]
	s_cbranch_vccnz .LBB15_943
.LBB15_802:
	v_mov_b32_e32 v1, s3
	v_add_co_u32_e32 v0, vcc, s2, v0
	s_cmp_lt_i32 s14, 11
	v_addc_co_u32_e32 v1, vcc, 0, v1, vcc
	s_cbranch_scc1 .LBB15_831
; %bb.803:
	s_mov_b64 s[6:7], -1
	s_mov_b64 s[4:5], 0
	s_cmp_gt_i32 s14, 25
	s_mov_b64 s[2:3], 0
	s_cbranch_scc0 .LBB15_855
; %bb.804:
	s_cmp_gt_i32 s14, 28
	s_cbranch_scc0 .LBB15_820
; %bb.805:
	s_cmp_gt_i32 s14, 43
	;; [unrolled: 3-line block ×3, first 2 shown]
	s_cbranch_scc0 .LBB15_810
; %bb.807:
	s_cmp_eq_u32 s14, 46
	s_mov_b64 s[2:3], -1
	s_cbranch_scc0 .LBB15_809
; %bb.808:
	s_bfe_i32 s2, s12, 0x80000
	s_sext_i32_i16 s2, s2
	v_cvt_f32_i32_e32 v2, s2
	s_mov_b64 s[2:3], 0
	v_bfe_u32 v3, v2, 16, 1
	v_add_u32_e32 v2, v2, v3
	v_add_u32_e32 v2, 0x7fff, v2
	v_lshrrev_b32_e32 v2, 16, v2
	global_store_dword v[0:1], v2, off
.LBB15_809:
	s_mov_b64 s[6:7], 0
.LBB15_810:
	s_and_b64 vcc, exec, s[6:7]
	s_cbranch_vccz .LBB15_815
; %bb.811:
	s_cmp_eq_u32 s14, 44
	s_mov_b64 s[2:3], -1
	s_cbranch_scc0 .LBB15_815
; %bb.812:
	s_bfe_i32 s2, s12, 0x80000
	s_sext_i32_i16 s2, s2
	v_cvt_f32_i32_e32 v2, s2
	v_mov_b32_e32 v3, 0xff
	v_readfirstlane_b32 s2, v2
	s_bfe_u32 s3, s2, 0x80017
	s_cmpk_eq_i32 s3, 0xff
	s_cbranch_scc1 .LBB15_814
; %bb.813:
	s_bitcmp1_b32 s2, 22
	s_cselect_b64 s[6:7], -1, 0
	s_and_b32 s2, s2, 0x3fffff
	s_or_b32 s2, s3, s2
	s_cmp_lg_u32 s2, 0
	s_cselect_b64 s[2:3], -1, 0
	s_and_b64 s[2:3], s[6:7], s[2:3]
	v_lshrrev_b32_e32 v2, 23, v2
	v_cndmask_b32_e64 v3, 0, 1, s[2:3]
	v_add_u32_e32 v3, v2, v3
.LBB15_814:
	s_mov_b64 s[2:3], 0
	global_store_byte v[0:1], v3, off
.LBB15_815:
	s_mov_b64 s[6:7], 0
.LBB15_816:
	s_and_b64 vcc, exec, s[6:7]
	s_cbranch_vccz .LBB15_819
; %bb.817:
	s_cmp_eq_u32 s14, 29
	s_mov_b64 s[2:3], -1
	s_cbranch_scc0 .LBB15_819
; %bb.818:
	v_mov_b32_e32 v2, s12
	v_bfe_i32 v2, v2, 0, 8
	v_ashrrev_i32_e32 v3, 31, v2
	global_store_dwordx2 v[0:1], v[2:3], off
	s_mov_b64 s[2:3], 0
.LBB15_819:
	s_mov_b64 s[6:7], 0
.LBB15_820:
	s_and_b64 vcc, exec, s[6:7]
	s_cbranch_vccz .LBB15_854
; %bb.821:
	s_cmp_lt_i32 s14, 27
	s_mov_b64 s[6:7], -1
	s_cbranch_scc1 .LBB15_827
; %bb.822:
	s_cmp_gt_i32 s14, 27
	s_cbranch_scc0 .LBB15_824
; %bb.823:
	s_sext_i32_i8 s6, s12
	v_mov_b32_e32 v2, s6
	global_store_dword v[0:1], v2, off
	s_mov_b64 s[6:7], 0
.LBB15_824:
	s_andn2_b64 vcc, exec, s[6:7]
	s_cbranch_vccnz .LBB15_826
; %bb.825:
	s_bfe_i32 s6, s12, 0x80000
	v_mov_b32_e32 v2, s6
	global_store_short v[0:1], v2, off
.LBB15_826:
	s_mov_b64 s[6:7], 0
.LBB15_827:
	s_andn2_b64 vcc, exec, s[6:7]
	s_cbranch_vccnz .LBB15_854
; %bb.828:
	s_bfe_i32 s6, s12, 0x80000
	s_sext_i32_i16 s6, s6
	v_cvt_f32_i32_e32 v2, s6
	v_mov_b32_e32 v3, 0x80
	v_readfirstlane_b32 s10, v2
	s_and_b32 s6, s10, 0x7fffffff
	s_cmp_gt_u32 s6, 0x437fffff
	s_cbranch_scc1 .LBB15_853
; %bb.829:
	s_cmp_gt_u32 s6, 0x3bffffff
	s_cbranch_scc0 .LBB15_848
; %bb.830:
	s_bfe_u32 s6, s10, 0x10014
	s_add_i32 s6, s10, s6
	s_add_i32 s6, s6, 0x487ffff
	s_lshr_b32 s11, s6, 20
	s_mov_b64 s[8:9], 0
	s_mov_b64 s[6:7], -1
	s_branch .LBB15_849
.LBB15_831:
	s_mov_b64 s[4:5], 0
	s_mov_b64 s[2:3], -1
	s_branch .LBB15_944
.LBB15_832:
	s_trap 2
	s_or_b64 s[0:1], s[0:1], exec
	s_cbranch_execz .LBB15_732
	s_branch .LBB15_733
.LBB15_833:
	s_mov_b64 s[10:11], -1
	s_mov_b64 s[8:9], 0
                                        ; implicit-def: $sgpr16
.LBB15_834:
	s_andn2_b64 vcc, exec, s[10:11]
	v_mov_b32_e32 v3, s16
	s_cbranch_vccnz .LBB15_836
; %bb.835:
	v_mov_b32_e32 v3, 0x46000000
	v_add_f32_e64 v3, |s15|, v3
	v_and_b32_e32 v3, 0xff, v3
	v_cmp_ne_u32_e64 s[8:9], 0, v3
.LBB15_836:
	s_andn2_b64 vcc, exec, s[8:9]
	v_mov_b32_e32 v4, 0
	s_cbranch_vccnz .LBB15_838
; %bb.837:
	s_lshr_b32 s8, s15, 24
	s_and_b32 s8, s8, 0x80
	v_or_b32_e32 v4, s8, v3
.LBB15_838:
	global_store_byte v[1:2], v4, off
.LBB15_839:
	s_mov_b64 s[8:9], -1
.LBB15_840:
	s_mov_b64 s[10:11], 0
.LBB15_841:
	s_and_b64 vcc, exec, s[10:11]
	s_cbranch_vccz .LBB15_901
; %bb.842:
	s_cmp_gt_i32 s14, 22
	s_mov_b64 s[6:7], -1
	s_cbranch_scc0 .LBB15_894
; %bb.843:
	s_cmp_lt_i32 s14, 24
	s_cbranch_scc1 .LBB15_881
; %bb.844:
	s_cmp_gt_i32 s14, 24
	s_cbranch_scc0 .LBB15_868
; %bb.845:
	s_bfe_i32 s6, s12, 0x80000
	s_sext_i32_i16 s6, s6
	v_cvt_f32_i32_e32 v3, s6
	v_mov_b32_e32 v4, 0x80
	v_readfirstlane_b32 s10, v3
	s_and_b32 s6, s10, 0x7fffffff
	s_cmp_gt_u32 s6, 0x477fffff
	s_cbranch_scc1 .LBB15_867
; %bb.846:
	s_cmp_gt_u32 s6, 0x37ffffff
	s_cbranch_scc0 .LBB15_862
; %bb.847:
	s_bfe_u32 s6, s10, 0x10015
	s_add_i32 s6, s10, s6
	s_add_i32 s6, s6, 0x88fffff
	s_lshr_b32 s11, s6, 21
	s_mov_b64 s[8:9], 0
	s_mov_b64 s[6:7], -1
	s_branch .LBB15_863
.LBB15_848:
	s_mov_b64 s[8:9], -1
	s_mov_b64 s[6:7], 0
                                        ; implicit-def: $sgpr11
.LBB15_849:
	s_andn2_b64 vcc, exec, s[8:9]
	v_mov_b32_e32 v2, s11
	s_cbranch_vccnz .LBB15_851
; %bb.850:
	v_mov_b32_e32 v2, 0x46000000
	v_add_f32_e64 v2, |s10|, v2
	v_and_b32_e32 v2, 0xff, v2
	v_cmp_ne_u32_e64 s[6:7], 0, v2
.LBB15_851:
	s_andn2_b64 vcc, exec, s[6:7]
	v_mov_b32_e32 v3, 0
	s_cbranch_vccnz .LBB15_853
; %bb.852:
	s_lshr_b32 s6, s10, 24
	s_and_b32 s6, s6, 0x80
	v_or_b32_e32 v3, s6, v2
.LBB15_853:
	global_store_byte v[0:1], v3, off
.LBB15_854:
	s_mov_b64 s[6:7], 0
.LBB15_855:
	s_and_b64 vcc, exec, s[6:7]
	s_cbranch_vccz .LBB15_1028
; %bb.856:
	s_cmp_gt_i32 s14, 22
	s_mov_b64 s[4:5], -1
	s_cbranch_scc0 .LBB15_1021
; %bb.857:
	s_cmp_lt_i32 s14, 24
	s_cbranch_scc1 .LBB15_1008
; %bb.858:
	s_cmp_gt_i32 s14, 24
	s_cbranch_scc0 .LBB15_995
; %bb.859:
	s_bfe_i32 s4, s12, 0x80000
	s_sext_i32_i16 s4, s4
	v_cvt_f32_i32_e32 v2, s4
	v_mov_b32_e32 v3, 0x80
	v_readfirstlane_b32 s8, v2
	s_and_b32 s4, s8, 0x7fffffff
	s_cmp_gt_u32 s4, 0x477fffff
	s_cbranch_scc1 .LBB15_994
; %bb.860:
	s_cmp_gt_u32 s4, 0x37ffffff
	s_cbranch_scc0 .LBB15_989
; %bb.861:
	s_bfe_u32 s4, s8, 0x10015
	s_add_i32 s4, s8, s4
	s_add_i32 s4, s4, 0x88fffff
	s_lshr_b32 s9, s4, 21
	s_mov_b64 s[6:7], 0
	s_mov_b64 s[4:5], -1
	s_branch .LBB15_990
.LBB15_862:
	s_mov_b64 s[8:9], -1
	s_mov_b64 s[6:7], 0
                                        ; implicit-def: $sgpr11
.LBB15_863:
	s_andn2_b64 vcc, exec, s[8:9]
	v_mov_b32_e32 v3, s11
	s_cbranch_vccnz .LBB15_865
; %bb.864:
	v_mov_b32_e32 v3, 0x42800000
	v_add_f32_e64 v3, |s10|, v3
	v_and_b32_e32 v3, 0xff, v3
	v_cmp_ne_u32_e64 s[6:7], 0, v3
.LBB15_865:
	s_andn2_b64 vcc, exec, s[6:7]
	v_mov_b32_e32 v4, 0
	s_cbranch_vccnz .LBB15_867
; %bb.866:
	s_lshr_b32 s6, s10, 24
	s_and_b32 s6, s6, 0x80
	v_or_b32_e32 v4, s6, v3
.LBB15_867:
	s_mov_b64 s[6:7], 0
	global_store_byte v[1:2], v4, off
.LBB15_868:
	s_and_b64 vcc, exec, s[6:7]
	s_cbranch_vccz .LBB15_880
; %bb.869:
	s_bfe_i32 s6, s12, 0x80000
	s_sext_i32_i16 s6, s6
	v_cvt_f32_i32_e32 v3, s6
	v_readfirstlane_b32 s8, v3
	s_and_b32 s9, s8, 0x7fffffff
	s_cmp_lt_u32 s9, 0x43f00000
	s_cbranch_scc0 .LBB15_872
; %bb.870:
	s_cmp_gt_u32 s9, 0x3c7fffff
	s_cbranch_scc0 .LBB15_873
; %bb.871:
	s_bfe_u32 s6, s8, 0x10014
	s_add_i32 s6, s8, s6
	s_add_i32 s6, s6, 0x407ffff
	s_lshr_b32 s7, s6, 20
	s_and_b32 s6, s6, 0xff00000
	s_cmp_lg_u32 s6, 0x7f00000
	s_cselect_b32 s10, s7, 0x7e
	s_mov_b64 s[6:7], 0
	s_branch .LBB15_874
.LBB15_872:
	s_mov_b64 s[6:7], -1
                                        ; implicit-def: $vgpr4
	s_branch .LBB15_877
.LBB15_873:
	s_mov_b64 s[6:7], -1
                                        ; implicit-def: $sgpr10
.LBB15_874:
	s_andn2_b64 vcc, exec, s[6:7]
	v_mov_b32_e32 v4, s10
	s_cbranch_vccnz .LBB15_876
; %bb.875:
	s_mov_b32 s6, 0x46800000
	v_add_f32_e64 v4, |v3|, s6
.LBB15_876:
	s_mov_b64 s[6:7], 0
.LBB15_877:
	s_andn2_b64 vcc, exec, s[6:7]
	s_cbranch_vccnz .LBB15_879
; %bb.878:
	s_cmp_gt_u32 s9, 0x7f800000
	s_movk_i32 s6, 0x7f
	s_cselect_b32 s6, s6, 0x7e
	v_mov_b32_e32 v4, s6
.LBB15_879:
	s_lshr_b32 s6, s8, 24
	s_and_b32 s6, s6, 0x80
	v_or_b32_e32 v3, s6, v4
	global_store_byte v[1:2], v3, off
.LBB15_880:
	s_mov_b64 s[6:7], 0
.LBB15_881:
	s_andn2_b64 vcc, exec, s[6:7]
	s_cbranch_vccnz .LBB15_893
; %bb.882:
	s_bfe_i32 s6, s12, 0x80000
	s_sext_i32_i16 s6, s6
	v_cvt_f32_i32_e32 v3, s6
	v_readfirstlane_b32 s8, v3
	s_and_b32 s9, s8, 0x7fffffff
	s_cmp_lt_u32 s9, 0x47800000
	s_cbranch_scc0 .LBB15_885
; %bb.883:
	s_cmp_gt_u32 s9, 0x387fffff
	s_cbranch_scc0 .LBB15_886
; %bb.884:
	s_bfe_u32 s6, s8, 0x10015
	s_add_i32 s6, s8, s6
	s_add_i32 s6, s6, 0x80fffff
	s_lshr_b32 s10, s6, 21
	s_mov_b64 s[6:7], 0
	s_branch .LBB15_887
.LBB15_885:
	s_mov_b64 s[6:7], -1
                                        ; implicit-def: $vgpr4
	s_branch .LBB15_890
.LBB15_886:
	s_mov_b64 s[6:7], -1
                                        ; implicit-def: $sgpr10
.LBB15_887:
	s_andn2_b64 vcc, exec, s[6:7]
	v_mov_b32_e32 v4, s10
	s_cbranch_vccnz .LBB15_889
; %bb.888:
	s_mov_b32 s6, 0x43000000
	v_add_f32_e64 v4, |v3|, s6
.LBB15_889:
	s_mov_b64 s[6:7], 0
.LBB15_890:
	s_andn2_b64 vcc, exec, s[6:7]
	s_cbranch_vccnz .LBB15_892
; %bb.891:
	s_cmp_gt_u32 s9, 0x7f800000
	s_movk_i32 s6, 0x7f
	s_cselect_b32 s6, s6, 0x7c
	v_mov_b32_e32 v4, s6
.LBB15_892:
	s_lshr_b32 s6, s8, 24
	s_and_b32 s6, s6, 0x80
	v_or_b32_e32 v3, s6, v4
	global_store_byte v[1:2], v3, off
.LBB15_893:
	s_mov_b64 s[6:7], 0
	s_mov_b64 s[8:9], -1
.LBB15_894:
	s_andn2_b64 vcc, exec, s[6:7]
	s_mov_b64 s[6:7], 0
	s_cbranch_vccnz .LBB15_901
; %bb.895:
	s_cmp_gt_i32 s14, 14
	s_mov_b64 s[10:11], -1
	s_cbranch_scc0 .LBB15_899
; %bb.896:
	s_cmp_eq_u32 s14, 15
	s_mov_b64 s[4:5], -1
	s_cbranch_scc0 .LBB15_898
; %bb.897:
	s_bfe_i32 s4, s12, 0x80000
	s_sext_i32_i16 s4, s4
	v_cvt_f32_i32_e32 v3, s4
	s_mov_b64 s[4:5], 0
	s_mov_b64 s[8:9], -1
	v_bfe_u32 v4, v3, 16, 1
	v_add_u32_e32 v3, v3, v4
	v_add_u32_e32 v3, 0x7fff, v3
	global_store_short_d16_hi v[1:2], v3, off
.LBB15_898:
	s_mov_b64 s[10:11], 0
.LBB15_899:
	s_and_b64 vcc, exec, s[10:11]
	s_cbranch_vccz .LBB15_901
; %bb.900:
	s_cmp_lg_u32 s14, 11
	s_mov_b64 s[6:7], -1
	s_cselect_b64 s[4:5], -1, 0
.LBB15_901:
	s_and_b64 vcc, exec, s[4:5]
	s_cbranch_vccnz .LBB15_988
; %bb.902:
	s_andn2_b64 vcc, exec, s[6:7]
	s_cbranch_vccnz .LBB15_904
.LBB15_903:
	s_and_b32 s4, s12, 0xff
	s_cmp_lg_u32 s4, 0
	s_cselect_b64 s[4:5], -1, 0
	v_cndmask_b32_e64 v3, 0, 1, s[4:5]
	s_mov_b64 s[8:9], -1
	global_store_byte v[1:2], v3, off
.LBB15_904:
	s_branch .LBB15_801
.LBB15_905:
	s_cmp_lt_i32 s14, 5
	s_mov_b64 s[4:5], -1
	s_cbranch_scc1 .LBB15_926
; %bb.906:
	s_cmp_lt_i32 s14, 8
	s_cbranch_scc1 .LBB15_916
; %bb.907:
	s_cmp_lt_i32 s14, 9
	s_cbranch_scc1 .LBB15_913
; %bb.908:
	s_cmp_gt_i32 s14, 9
	s_cbranch_scc0 .LBB15_910
; %bb.909:
	s_bfe_i32 s4, s12, 0x80000
	s_sext_i32_i16 s4, s4
	v_cvt_f64_i32_e32 v[3:4], s4
	v_mov_b32_e32 v5, 0
	v_mov_b32_e32 v6, v5
	s_mov_b64 s[4:5], 0
	global_store_dwordx4 v[1:2], v[3:6], off
.LBB15_910:
	s_andn2_b64 vcc, exec, s[4:5]
	s_cbranch_vccnz .LBB15_912
; %bb.911:
	s_bfe_i32 s4, s12, 0x80000
	s_sext_i32_i16 s4, s4
	v_cvt_f32_i32_e32 v3, s4
	v_mov_b32_e32 v4, 0
	global_store_dwordx2 v[1:2], v[3:4], off
.LBB15_912:
	s_mov_b64 s[4:5], 0
.LBB15_913:
	s_andn2_b64 vcc, exec, s[4:5]
	s_cbranch_vccnz .LBB15_915
; %bb.914:
	s_bfe_i32 s4, s12, 0x80000
	v_cvt_f16_i16_e32 v3, s4
	global_store_dword v[1:2], v3, off
.LBB15_915:
	s_mov_b64 s[4:5], 0
.LBB15_916:
	s_andn2_b64 vcc, exec, s[4:5]
	s_cbranch_vccnz .LBB15_925
; %bb.917:
	s_cmp_lt_i32 s14, 6
	s_mov_b64 s[4:5], -1
	s_cbranch_scc1 .LBB15_923
; %bb.918:
	s_cmp_gt_i32 s14, 6
	s_cbranch_scc0 .LBB15_920
; %bb.919:
	s_bfe_i32 s4, s12, 0x80000
	s_sext_i32_i16 s4, s4
	v_cvt_f64_i32_e32 v[3:4], s4
	s_mov_b64 s[4:5], 0
	global_store_dwordx2 v[1:2], v[3:4], off
.LBB15_920:
	s_andn2_b64 vcc, exec, s[4:5]
	s_cbranch_vccnz .LBB15_922
; %bb.921:
	s_bfe_i32 s4, s12, 0x80000
	s_sext_i32_i16 s4, s4
	v_cvt_f32_i32_e32 v3, s4
	global_store_dword v[1:2], v3, off
.LBB15_922:
	s_mov_b64 s[4:5], 0
.LBB15_923:
	s_andn2_b64 vcc, exec, s[4:5]
	s_cbranch_vccnz .LBB15_925
; %bb.924:
	s_bfe_i32 s4, s12, 0x80000
	v_cvt_f16_i16_e32 v3, s4
	global_store_short v[1:2], v3, off
.LBB15_925:
	s_mov_b64 s[4:5], 0
.LBB15_926:
	s_andn2_b64 vcc, exec, s[4:5]
	s_cbranch_vccnz .LBB15_942
; %bb.927:
	s_cmp_lt_i32 s14, 2
	s_mov_b64 s[4:5], -1
	s_cbranch_scc1 .LBB15_937
; %bb.928:
	s_cmp_lt_i32 s14, 3
	s_cbranch_scc1 .LBB15_934
; %bb.929:
	s_cmp_gt_i32 s14, 3
	s_cbranch_scc0 .LBB15_931
; %bb.930:
	v_mov_b32_e32 v3, s12
	v_bfe_i32 v3, v3, 0, 8
	v_ashrrev_i32_e32 v4, 31, v3
	global_store_dwordx2 v[1:2], v[3:4], off
	s_mov_b64 s[4:5], 0
.LBB15_931:
	s_andn2_b64 vcc, exec, s[4:5]
	s_cbranch_vccnz .LBB15_933
; %bb.932:
	s_sext_i32_i8 s4, s12
	v_mov_b32_e32 v3, s4
	global_store_dword v[1:2], v3, off
.LBB15_933:
	s_mov_b64 s[4:5], 0
.LBB15_934:
	s_andn2_b64 vcc, exec, s[4:5]
	s_cbranch_vccnz .LBB15_936
; %bb.935:
	s_bfe_i32 s4, s12, 0x80000
	v_mov_b32_e32 v3, s4
	global_store_short v[1:2], v3, off
.LBB15_936:
	s_mov_b64 s[4:5], 0
.LBB15_937:
	s_andn2_b64 vcc, exec, s[4:5]
	s_cbranch_vccnz .LBB15_942
; %bb.938:
	s_cmp_gt_i32 s14, 0
	s_mov_b64 s[4:5], -1
	s_cbranch_scc0 .LBB15_940
; %bb.939:
	v_mov_b32_e32 v3, s12
	global_store_byte v[1:2], v3, off
	s_mov_b64 s[4:5], 0
.LBB15_940:
	s_andn2_b64 vcc, exec, s[4:5]
	s_cbranch_vccnz .LBB15_942
; %bb.941:
	v_mov_b32_e32 v3, s12
	global_store_byte v[1:2], v3, off
.LBB15_942:
	s_branch .LBB15_802
.LBB15_943:
	s_mov_b64 s[2:3], 0
	s_mov_b64 s[4:5], 0
                                        ; implicit-def: $sgpr13
                                        ; implicit-def: $vgpr0_vgpr1
.LBB15_944:
	s_and_b64 s[6:7], s[4:5], exec
	s_andn2_b64 s[4:5], s[20:21], exec
	s_and_b64 s[0:1], s[0:1], exec
	s_and_b64 s[2:3], s[2:3], exec
	s_or_b64 s[20:21], s[4:5], s[0:1]
.LBB15_945:
	s_or_b64 exec, exec, s[22:23]
	s_and_saveexec_b64 s[0:1], s[20:21]
	s_cbranch_execz .LBB15_948
; %bb.946:
	; divergent unreachable
	s_or_b64 exec, exec, s[0:1]
	s_and_saveexec_b64 s[0:1], s[6:7]
	s_xor_b64 s[0:1], exec, s[0:1]
	s_cbranch_execnz .LBB15_949
.LBB15_947:
	s_or_b64 exec, exec, s[0:1]
	s_and_saveexec_b64 s[0:1], s[2:3]
	s_cbranch_execnz .LBB15_950
	s_branch .LBB15_987
.LBB15_948:
	s_or_b64 exec, exec, s[0:1]
	s_and_saveexec_b64 s[0:1], s[6:7]
	s_xor_b64 s[0:1], exec, s[0:1]
	s_cbranch_execz .LBB15_947
.LBB15_949:
	s_and_b32 s4, s12, 0xff
	s_cmp_lg_u32 s4, 0
	s_cselect_b64 s[4:5], -1, 0
	v_cndmask_b32_e64 v2, 0, 1, s[4:5]
	global_store_byte v[0:1], v2, off
	s_or_b64 exec, exec, s[0:1]
	s_and_saveexec_b64 s[0:1], s[2:3]
	s_cbranch_execz .LBB15_987
.LBB15_950:
	s_sext_i32_i16 s2, s13
	s_cmp_lt_i32 s2, 5
	s_mov_b64 s[0:1], -1
	s_cbranch_scc1 .LBB15_971
; %bb.951:
	s_cmp_lt_i32 s2, 8
	s_cbranch_scc1 .LBB15_961
; %bb.952:
	s_cmp_lt_i32 s2, 9
	s_cbranch_scc1 .LBB15_958
; %bb.953:
	s_cmp_gt_i32 s2, 9
	s_cbranch_scc0 .LBB15_955
; %bb.954:
	s_bfe_i32 s0, s12, 0x80000
	s_sext_i32_i16 s0, s0
	v_cvt_f64_i32_e32 v[2:3], s0
	v_mov_b32_e32 v4, 0
	v_mov_b32_e32 v5, v4
	s_mov_b64 s[0:1], 0
	global_store_dwordx4 v[0:1], v[2:5], off
.LBB15_955:
	s_andn2_b64 vcc, exec, s[0:1]
	s_cbranch_vccnz .LBB15_957
; %bb.956:
	s_bfe_i32 s0, s12, 0x80000
	s_sext_i32_i16 s0, s0
	v_cvt_f32_i32_e32 v2, s0
	v_mov_b32_e32 v3, 0
	global_store_dwordx2 v[0:1], v[2:3], off
.LBB15_957:
	s_mov_b64 s[0:1], 0
.LBB15_958:
	s_andn2_b64 vcc, exec, s[0:1]
	s_cbranch_vccnz .LBB15_960
; %bb.959:
	s_bfe_i32 s0, s12, 0x80000
	v_cvt_f16_i16_e32 v2, s0
	global_store_dword v[0:1], v2, off
.LBB15_960:
	s_mov_b64 s[0:1], 0
.LBB15_961:
	s_andn2_b64 vcc, exec, s[0:1]
	s_cbranch_vccnz .LBB15_970
; %bb.962:
	s_sext_i32_i16 s2, s13
	s_cmp_lt_i32 s2, 6
	s_mov_b64 s[0:1], -1
	s_cbranch_scc1 .LBB15_968
; %bb.963:
	s_cmp_gt_i32 s2, 6
	s_cbranch_scc0 .LBB15_965
; %bb.964:
	s_bfe_i32 s0, s12, 0x80000
	s_sext_i32_i16 s0, s0
	v_cvt_f64_i32_e32 v[2:3], s0
	s_mov_b64 s[0:1], 0
	global_store_dwordx2 v[0:1], v[2:3], off
.LBB15_965:
	s_andn2_b64 vcc, exec, s[0:1]
	s_cbranch_vccnz .LBB15_967
; %bb.966:
	s_bfe_i32 s0, s12, 0x80000
	s_sext_i32_i16 s0, s0
	v_cvt_f32_i32_e32 v2, s0
	global_store_dword v[0:1], v2, off
.LBB15_967:
	s_mov_b64 s[0:1], 0
.LBB15_968:
	s_andn2_b64 vcc, exec, s[0:1]
	s_cbranch_vccnz .LBB15_970
; %bb.969:
	s_bfe_i32 s0, s12, 0x80000
	v_cvt_f16_i16_e32 v2, s0
	global_store_short v[0:1], v2, off
.LBB15_970:
	s_mov_b64 s[0:1], 0
.LBB15_971:
	s_andn2_b64 vcc, exec, s[0:1]
	s_cbranch_vccnz .LBB15_987
; %bb.972:
	s_sext_i32_i16 s2, s13
	s_cmp_lt_i32 s2, 2
	s_mov_b64 s[0:1], -1
	s_cbranch_scc1 .LBB15_982
; %bb.973:
	s_cmp_lt_i32 s2, 3
	s_cbranch_scc1 .LBB15_979
; %bb.974:
	s_cmp_gt_i32 s2, 3
	s_cbranch_scc0 .LBB15_976
; %bb.975:
	v_mov_b32_e32 v2, s12
	v_bfe_i32 v2, v2, 0, 8
	v_ashrrev_i32_e32 v3, 31, v2
	global_store_dwordx2 v[0:1], v[2:3], off
	s_mov_b64 s[0:1], 0
.LBB15_976:
	s_andn2_b64 vcc, exec, s[0:1]
	s_cbranch_vccnz .LBB15_978
; %bb.977:
	s_sext_i32_i8 s0, s12
	v_mov_b32_e32 v2, s0
	global_store_dword v[0:1], v2, off
.LBB15_978:
	s_mov_b64 s[0:1], 0
.LBB15_979:
	s_andn2_b64 vcc, exec, s[0:1]
	s_cbranch_vccnz .LBB15_981
; %bb.980:
	s_bfe_i32 s0, s12, 0x80000
	v_mov_b32_e32 v2, s0
	global_store_short v[0:1], v2, off
.LBB15_981:
	s_mov_b64 s[0:1], 0
.LBB15_982:
	s_andn2_b64 vcc, exec, s[0:1]
	s_cbranch_vccnz .LBB15_987
; %bb.983:
	s_sext_i32_i16 s0, s13
	s_cmp_gt_i32 s0, 0
	s_mov_b64 s[0:1], -1
	s_cbranch_scc0 .LBB15_985
; %bb.984:
	v_mov_b32_e32 v2, s12
	global_store_byte v[0:1], v2, off
	s_mov_b64 s[0:1], 0
.LBB15_985:
	s_andn2_b64 vcc, exec, s[0:1]
	s_cbranch_vccnz .LBB15_987
; %bb.986:
	v_mov_b32_e32 v2, s12
	global_store_byte v[0:1], v2, off
	s_endpgm
.LBB15_987:
	s_endpgm
.LBB15_988:
	s_trap 2
	s_or_b64 s[0:1], s[0:1], exec
	s_cbranch_execz .LBB15_903
	s_branch .LBB15_904
.LBB15_989:
	s_mov_b64 s[6:7], -1
	s_mov_b64 s[4:5], 0
                                        ; implicit-def: $sgpr9
.LBB15_990:
	s_andn2_b64 vcc, exec, s[6:7]
	v_mov_b32_e32 v2, s9
	s_cbranch_vccnz .LBB15_992
; %bb.991:
	v_mov_b32_e32 v2, 0x42800000
	v_add_f32_e64 v2, |s8|, v2
	v_and_b32_e32 v2, 0xff, v2
	v_cmp_ne_u32_e64 s[4:5], 0, v2
.LBB15_992:
	s_andn2_b64 vcc, exec, s[4:5]
	v_mov_b32_e32 v3, 0
	s_cbranch_vccnz .LBB15_994
; %bb.993:
	s_lshr_b32 s4, s8, 24
	s_and_b32 s4, s4, 0x80
	v_or_b32_e32 v3, s4, v2
.LBB15_994:
	s_mov_b64 s[4:5], 0
	global_store_byte v[0:1], v3, off
.LBB15_995:
	s_and_b64 vcc, exec, s[4:5]
	s_cbranch_vccz .LBB15_1007
; %bb.996:
	s_bfe_i32 s4, s12, 0x80000
	s_sext_i32_i16 s4, s4
	v_cvt_f32_i32_e32 v2, s4
	v_readfirstlane_b32 s6, v2
	s_and_b32 s7, s6, 0x7fffffff
	s_cmp_lt_u32 s7, 0x43f00000
	s_cbranch_scc0 .LBB15_999
; %bb.997:
	s_cmp_gt_u32 s7, 0x3c7fffff
	s_cbranch_scc0 .LBB15_1000
; %bb.998:
	s_bfe_u32 s4, s6, 0x10014
	s_add_i32 s4, s6, s4
	s_add_i32 s4, s4, 0x407ffff
	s_lshr_b32 s5, s4, 20
	s_and_b32 s4, s4, 0xff00000
	s_cmp_lg_u32 s4, 0x7f00000
	s_cselect_b32 s8, s5, 0x7e
	s_mov_b64 s[4:5], 0
	s_branch .LBB15_1001
.LBB15_999:
	s_mov_b64 s[4:5], -1
                                        ; implicit-def: $vgpr3
	s_branch .LBB15_1004
.LBB15_1000:
	s_mov_b64 s[4:5], -1
                                        ; implicit-def: $sgpr8
.LBB15_1001:
	s_andn2_b64 vcc, exec, s[4:5]
	v_mov_b32_e32 v3, s8
	s_cbranch_vccnz .LBB15_1003
; %bb.1002:
	s_mov_b32 s4, 0x46800000
	v_add_f32_e64 v3, |v2|, s4
.LBB15_1003:
	s_mov_b64 s[4:5], 0
.LBB15_1004:
	s_andn2_b64 vcc, exec, s[4:5]
	s_cbranch_vccnz .LBB15_1006
; %bb.1005:
	s_cmp_gt_u32 s7, 0x7f800000
	s_movk_i32 s4, 0x7f
	s_cselect_b32 s4, s4, 0x7e
	v_mov_b32_e32 v3, s4
.LBB15_1006:
	s_lshr_b32 s4, s6, 24
	s_and_b32 s4, s4, 0x80
	v_or_b32_e32 v2, s4, v3
	global_store_byte v[0:1], v2, off
.LBB15_1007:
	s_mov_b64 s[4:5], 0
.LBB15_1008:
	s_andn2_b64 vcc, exec, s[4:5]
	s_cbranch_vccnz .LBB15_1020
; %bb.1009:
	s_bfe_i32 s4, s12, 0x80000
	s_sext_i32_i16 s4, s4
	v_cvt_f32_i32_e32 v2, s4
	v_readfirstlane_b32 s6, v2
	s_and_b32 s7, s6, 0x7fffffff
	s_cmp_lt_u32 s7, 0x47800000
	s_cbranch_scc0 .LBB15_1012
; %bb.1010:
	s_cmp_gt_u32 s7, 0x387fffff
	s_cbranch_scc0 .LBB15_1013
; %bb.1011:
	s_bfe_u32 s4, s6, 0x10015
	s_add_i32 s4, s6, s4
	s_add_i32 s4, s4, 0x80fffff
	s_lshr_b32 s8, s4, 21
	s_mov_b64 s[4:5], 0
	s_branch .LBB15_1014
.LBB15_1012:
	s_mov_b64 s[4:5], -1
                                        ; implicit-def: $vgpr3
	s_branch .LBB15_1017
.LBB15_1013:
	s_mov_b64 s[4:5], -1
                                        ; implicit-def: $sgpr8
.LBB15_1014:
	s_andn2_b64 vcc, exec, s[4:5]
	v_mov_b32_e32 v3, s8
	s_cbranch_vccnz .LBB15_1016
; %bb.1015:
	s_mov_b32 s4, 0x43000000
	v_add_f32_e64 v3, |v2|, s4
.LBB15_1016:
	s_mov_b64 s[4:5], 0
.LBB15_1017:
	s_andn2_b64 vcc, exec, s[4:5]
	s_cbranch_vccnz .LBB15_1019
; %bb.1018:
	s_cmp_gt_u32 s7, 0x7f800000
	s_movk_i32 s4, 0x7f
	s_cselect_b32 s4, s4, 0x7c
	v_mov_b32_e32 v3, s4
.LBB15_1019:
	s_lshr_b32 s4, s6, 24
	s_and_b32 s4, s4, 0x80
	v_or_b32_e32 v2, s4, v3
	global_store_byte v[0:1], v2, off
.LBB15_1020:
	s_mov_b64 s[4:5], 0
.LBB15_1021:
	s_andn2_b64 vcc, exec, s[4:5]
	s_mov_b64 s[4:5], 0
	s_cbranch_vccnz .LBB15_1028
; %bb.1022:
	s_cmp_gt_i32 s14, 14
	s_mov_b64 s[6:7], -1
	s_cbranch_scc0 .LBB15_1026
; %bb.1023:
	s_cmp_eq_u32 s14, 15
	s_mov_b64 s[2:3], -1
	s_cbranch_scc0 .LBB15_1025
; %bb.1024:
	s_bfe_i32 s2, s12, 0x80000
	s_sext_i32_i16 s2, s2
	v_cvt_f32_i32_e32 v2, s2
	s_mov_b64 s[2:3], 0
	v_bfe_u32 v3, v2, 16, 1
	v_add_u32_e32 v2, v2, v3
	v_add_u32_e32 v2, 0x7fff, v2
	global_store_short_d16_hi v[0:1], v2, off
.LBB15_1025:
	s_mov_b64 s[6:7], 0
.LBB15_1026:
	s_and_b64 vcc, exec, s[6:7]
	s_cbranch_vccz .LBB15_1028
; %bb.1027:
	s_cmp_lg_u32 s14, 11
	s_mov_b64 s[4:5], -1
	s_cselect_b64 s[2:3], -1, 0
.LBB15_1028:
	s_and_b64 vcc, exec, s[2:3]
	s_cbranch_vccnz .LBB15_1030
.LBB15_1029:
	s_mov_b64 s[2:3], 0
	s_branch .LBB15_944
.LBB15_1030:
	s_mov_b64 s[4:5], 0
	s_or_b64 s[0:1], s[0:1], exec
	s_trap 2
	s_branch .LBB15_1029
	.section	.rodata,"a",@progbits
	.p2align	6, 0x0
	.amdhsa_kernel _ZN2at6native32elementwise_kernel_manual_unrollILi128ELi4EZNS0_15gpu_kernel_implINS0_11FillFunctorIaEEEEvRNS_18TensorIteratorBaseERKT_EUlibE0_EEviT1_
		.amdhsa_group_segment_fixed_size 0
		.amdhsa_private_segment_fixed_size 0
		.amdhsa_kernarg_size 288
		.amdhsa_user_sgpr_count 6
		.amdhsa_user_sgpr_private_segment_buffer 1
		.amdhsa_user_sgpr_dispatch_ptr 0
		.amdhsa_user_sgpr_queue_ptr 0
		.amdhsa_user_sgpr_kernarg_segment_ptr 1
		.amdhsa_user_sgpr_dispatch_id 0
		.amdhsa_user_sgpr_flat_scratch_init 0
		.amdhsa_user_sgpr_private_segment_size 0
		.amdhsa_uses_dynamic_stack 0
		.amdhsa_system_sgpr_private_segment_wavefront_offset 0
		.amdhsa_system_sgpr_workgroup_id_x 1
		.amdhsa_system_sgpr_workgroup_id_y 0
		.amdhsa_system_sgpr_workgroup_id_z 0
		.amdhsa_system_sgpr_workgroup_info 0
		.amdhsa_system_vgpr_workitem_id 0
		.amdhsa_next_free_vgpr 19
		.amdhsa_next_free_sgpr 96
		.amdhsa_reserve_vcc 1
		.amdhsa_reserve_flat_scratch 0
		.amdhsa_float_round_mode_32 0
		.amdhsa_float_round_mode_16_64 0
		.amdhsa_float_denorm_mode_32 3
		.amdhsa_float_denorm_mode_16_64 3
		.amdhsa_dx10_clamp 1
		.amdhsa_ieee_mode 1
		.amdhsa_fp16_overflow 0
		.amdhsa_exception_fp_ieee_invalid_op 0
		.amdhsa_exception_fp_denorm_src 0
		.amdhsa_exception_fp_ieee_div_zero 0
		.amdhsa_exception_fp_ieee_overflow 0
		.amdhsa_exception_fp_ieee_underflow 0
		.amdhsa_exception_fp_ieee_inexact 0
		.amdhsa_exception_int_div_zero 0
	.end_amdhsa_kernel
	.section	.text._ZN2at6native32elementwise_kernel_manual_unrollILi128ELi4EZNS0_15gpu_kernel_implINS0_11FillFunctorIaEEEEvRNS_18TensorIteratorBaseERKT_EUlibE0_EEviT1_,"axG",@progbits,_ZN2at6native32elementwise_kernel_manual_unrollILi128ELi4EZNS0_15gpu_kernel_implINS0_11FillFunctorIaEEEEvRNS_18TensorIteratorBaseERKT_EUlibE0_EEviT1_,comdat
.Lfunc_end15:
	.size	_ZN2at6native32elementwise_kernel_manual_unrollILi128ELi4EZNS0_15gpu_kernel_implINS0_11FillFunctorIaEEEEvRNS_18TensorIteratorBaseERKT_EUlibE0_EEviT1_, .Lfunc_end15-_ZN2at6native32elementwise_kernel_manual_unrollILi128ELi4EZNS0_15gpu_kernel_implINS0_11FillFunctorIaEEEEvRNS_18TensorIteratorBaseERKT_EUlibE0_EEviT1_
                                        ; -- End function
	.set _ZN2at6native32elementwise_kernel_manual_unrollILi128ELi4EZNS0_15gpu_kernel_implINS0_11FillFunctorIaEEEEvRNS_18TensorIteratorBaseERKT_EUlibE0_EEviT1_.num_vgpr, 19
	.set _ZN2at6native32elementwise_kernel_manual_unrollILi128ELi4EZNS0_15gpu_kernel_implINS0_11FillFunctorIaEEEEvRNS_18TensorIteratorBaseERKT_EUlibE0_EEviT1_.num_agpr, 0
	.set _ZN2at6native32elementwise_kernel_manual_unrollILi128ELi4EZNS0_15gpu_kernel_implINS0_11FillFunctorIaEEEEvRNS_18TensorIteratorBaseERKT_EUlibE0_EEviT1_.numbered_sgpr, 96
	.set _ZN2at6native32elementwise_kernel_manual_unrollILi128ELi4EZNS0_15gpu_kernel_implINS0_11FillFunctorIaEEEEvRNS_18TensorIteratorBaseERKT_EUlibE0_EEviT1_.num_named_barrier, 0
	.set _ZN2at6native32elementwise_kernel_manual_unrollILi128ELi4EZNS0_15gpu_kernel_implINS0_11FillFunctorIaEEEEvRNS_18TensorIteratorBaseERKT_EUlibE0_EEviT1_.private_seg_size, 0
	.set _ZN2at6native32elementwise_kernel_manual_unrollILi128ELi4EZNS0_15gpu_kernel_implINS0_11FillFunctorIaEEEEvRNS_18TensorIteratorBaseERKT_EUlibE0_EEviT1_.uses_vcc, 1
	.set _ZN2at6native32elementwise_kernel_manual_unrollILi128ELi4EZNS0_15gpu_kernel_implINS0_11FillFunctorIaEEEEvRNS_18TensorIteratorBaseERKT_EUlibE0_EEviT1_.uses_flat_scratch, 0
	.set _ZN2at6native32elementwise_kernel_manual_unrollILi128ELi4EZNS0_15gpu_kernel_implINS0_11FillFunctorIaEEEEvRNS_18TensorIteratorBaseERKT_EUlibE0_EEviT1_.has_dyn_sized_stack, 0
	.set _ZN2at6native32elementwise_kernel_manual_unrollILi128ELi4EZNS0_15gpu_kernel_implINS0_11FillFunctorIaEEEEvRNS_18TensorIteratorBaseERKT_EUlibE0_EEviT1_.has_recursion, 0
	.set _ZN2at6native32elementwise_kernel_manual_unrollILi128ELi4EZNS0_15gpu_kernel_implINS0_11FillFunctorIaEEEEvRNS_18TensorIteratorBaseERKT_EUlibE0_EEviT1_.has_indirect_call, 0
	.section	.AMDGPU.csdata,"",@progbits
; Kernel info:
; codeLenInByte = 17620
; TotalNumSgprs: 100
; NumVgprs: 19
; ScratchSize: 0
; MemoryBound: 0
; FloatMode: 240
; IeeeMode: 1
; LDSByteSize: 0 bytes/workgroup (compile time only)
; SGPRBlocks: 12
; VGPRBlocks: 4
; NumSGPRsForWavesPerEU: 100
; NumVGPRsForWavesPerEU: 19
; Occupancy: 8
; WaveLimiterHint : 1
; COMPUTE_PGM_RSRC2:SCRATCH_EN: 0
; COMPUTE_PGM_RSRC2:USER_SGPR: 6
; COMPUTE_PGM_RSRC2:TRAP_HANDLER: 0
; COMPUTE_PGM_RSRC2:TGID_X_EN: 1
; COMPUTE_PGM_RSRC2:TGID_Y_EN: 0
; COMPUTE_PGM_RSRC2:TGID_Z_EN: 0
; COMPUTE_PGM_RSRC2:TIDIG_COMP_CNT: 0
	.section	.text._ZN2at6native29vectorized_elementwise_kernelILi16ENS0_11FillFunctorIiEESt5arrayIPcLm1EEEEviT0_T1_,"axG",@progbits,_ZN2at6native29vectorized_elementwise_kernelILi16ENS0_11FillFunctorIiEESt5arrayIPcLm1EEEEviT0_T1_,comdat
	.protected	_ZN2at6native29vectorized_elementwise_kernelILi16ENS0_11FillFunctorIiEESt5arrayIPcLm1EEEEviT0_T1_ ; -- Begin function _ZN2at6native29vectorized_elementwise_kernelILi16ENS0_11FillFunctorIiEESt5arrayIPcLm1EEEEviT0_T1_
	.globl	_ZN2at6native29vectorized_elementwise_kernelILi16ENS0_11FillFunctorIiEESt5arrayIPcLm1EEEEviT0_T1_
	.p2align	8
	.type	_ZN2at6native29vectorized_elementwise_kernelILi16ENS0_11FillFunctorIiEESt5arrayIPcLm1EEEEviT0_T1_,@function
_ZN2at6native29vectorized_elementwise_kernelILi16ENS0_11FillFunctorIiEESt5arrayIPcLm1EEEEviT0_T1_: ; @_ZN2at6native29vectorized_elementwise_kernelILi16ENS0_11FillFunctorIiEESt5arrayIPcLm1EEEEviT0_T1_
; %bb.0:
	s_load_dwordx4 s[0:3], s[4:5], 0x0
	s_lshl_b32 s4, s6, 10
	s_mov_b64 s[6:7], -1
	s_waitcnt lgkmcnt(0)
	s_sub_i32 s8, s0, s4
	s_cmpk_gt_i32 s8, 0x3ff
	s_cbranch_scc0 .LBB16_2
; %bb.1:
	s_ashr_i32 s5, s4, 31
	s_lshl_b64 s[6:7], s[4:5], 2
	s_add_u32 s6, s2, s6
	s_addc_u32 s7, s3, s7
	v_lshlrev_b32_e32 v5, 4, v0
	v_mov_b32_e32 v1, s1
	v_mov_b32_e32 v2, s1
	v_mov_b32_e32 v3, s1
	v_mov_b32_e32 v4, s1
	global_store_dwordx4 v5, v[1:4], s[6:7]
	s_mov_b64 s[6:7], 0
.LBB16_2:
	s_andn2_b64 vcc, exec, s[6:7]
	s_cbranch_vccnz .LBB16_8
; %bb.3:
	v_or_b32_e32 v4, 0x100, v0
	v_mov_b32_e32 v1, s1
	v_cmp_gt_i32_e64 s[0:1], s8, v4
	v_or_b32_e32 v2, 0x200, v0
	v_cndmask_b32_e64 v3, 0, v1, s[0:1]
	v_cmp_gt_i32_e64 s[0:1], s8, v2
	v_or_b32_e32 v6, 0x300, v0
	v_cmp_gt_i32_e32 vcc, s8, v0
	v_cndmask_b32_e64 v2, 0, v1, s[0:1]
	v_cmp_gt_i32_e64 s[0:1], s8, v6
	v_cndmask_b32_e32 v5, 0, v1, vcc
	v_cndmask_b32_e64 v1, 0, v1, s[0:1]
	s_and_saveexec_b64 s[0:1], vcc
	s_cbranch_execnz .LBB16_9
; %bb.4:
	s_or_b64 exec, exec, s[0:1]
	v_cmp_gt_i32_e32 vcc, s8, v0
	s_and_saveexec_b64 s[0:1], vcc
	s_cbranch_execnz .LBB16_10
.LBB16_5:
	s_or_b64 exec, exec, s[0:1]
	v_cmp_gt_i32_e32 vcc, s8, v0
	s_and_saveexec_b64 s[0:1], vcc
	s_cbranch_execnz .LBB16_11
.LBB16_6:
	s_or_b64 exec, exec, s[0:1]
	v_cmp_gt_i32_e32 vcc, s8, v0
	s_and_saveexec_b64 s[0:1], vcc
	s_cbranch_execz .LBB16_8
.LBB16_7:
	v_add_u32_e32 v2, s4, v0
	v_mov_b32_e32 v3, 0
	v_lshlrev_b64 v[2:3], 2, v[2:3]
	v_mov_b32_e32 v0, s3
	v_add_co_u32_e32 v2, vcc, s2, v2
	v_addc_co_u32_e32 v3, vcc, v0, v3, vcc
	global_store_dword v[2:3], v1, off
.LBB16_8:
	s_endpgm
.LBB16_9:
	v_or_b32_e32 v6, s4, v0
	v_mov_b32_e32 v7, 0
	v_lshlrev_b64 v[6:7], 2, v[6:7]
	v_mov_b32_e32 v0, s3
	v_add_co_u32_e32 v6, vcc, s2, v6
	v_addc_co_u32_e32 v7, vcc, v0, v7, vcc
	v_mov_b32_e32 v0, v4
	global_store_dword v[6:7], v5, off
	s_or_b64 exec, exec, s[0:1]
	v_cmp_gt_i32_e32 vcc, s8, v0
	s_and_saveexec_b64 s[0:1], vcc
	s_cbranch_execz .LBB16_5
.LBB16_10:
	v_add_u32_e32 v4, s4, v0
	v_mov_b32_e32 v5, 0
	v_lshlrev_b64 v[4:5], 2, v[4:5]
	v_mov_b32_e32 v6, s3
	v_add_co_u32_e32 v4, vcc, s2, v4
	v_addc_co_u32_e32 v5, vcc, v6, v5, vcc
	v_add_u32_e32 v0, 0x100, v0
	global_store_dword v[4:5], v3, off
	s_or_b64 exec, exec, s[0:1]
	v_cmp_gt_i32_e32 vcc, s8, v0
	s_and_saveexec_b64 s[0:1], vcc
	s_cbranch_execz .LBB16_6
.LBB16_11:
	v_add_u32_e32 v3, s4, v0
	v_mov_b32_e32 v4, 0
	v_lshlrev_b64 v[3:4], 2, v[3:4]
	v_mov_b32_e32 v5, s3
	v_add_co_u32_e32 v3, vcc, s2, v3
	v_addc_co_u32_e32 v4, vcc, v5, v4, vcc
	v_add_u32_e32 v0, 0x100, v0
	global_store_dword v[3:4], v2, off
	s_or_b64 exec, exec, s[0:1]
	v_cmp_gt_i32_e32 vcc, s8, v0
	s_and_saveexec_b64 s[0:1], vcc
	s_cbranch_execnz .LBB16_7
	s_branch .LBB16_8
	.section	.rodata,"a",@progbits
	.p2align	6, 0x0
	.amdhsa_kernel _ZN2at6native29vectorized_elementwise_kernelILi16ENS0_11FillFunctorIiEESt5arrayIPcLm1EEEEviT0_T1_
		.amdhsa_group_segment_fixed_size 0
		.amdhsa_private_segment_fixed_size 0
		.amdhsa_kernarg_size 16
		.amdhsa_user_sgpr_count 6
		.amdhsa_user_sgpr_private_segment_buffer 1
		.amdhsa_user_sgpr_dispatch_ptr 0
		.amdhsa_user_sgpr_queue_ptr 0
		.amdhsa_user_sgpr_kernarg_segment_ptr 1
		.amdhsa_user_sgpr_dispatch_id 0
		.amdhsa_user_sgpr_flat_scratch_init 0
		.amdhsa_user_sgpr_private_segment_size 0
		.amdhsa_uses_dynamic_stack 0
		.amdhsa_system_sgpr_private_segment_wavefront_offset 0
		.amdhsa_system_sgpr_workgroup_id_x 1
		.amdhsa_system_sgpr_workgroup_id_y 0
		.amdhsa_system_sgpr_workgroup_id_z 0
		.amdhsa_system_sgpr_workgroup_info 0
		.amdhsa_system_vgpr_workitem_id 0
		.amdhsa_next_free_vgpr 8
		.amdhsa_next_free_sgpr 9
		.amdhsa_reserve_vcc 1
		.amdhsa_reserve_flat_scratch 0
		.amdhsa_float_round_mode_32 0
		.amdhsa_float_round_mode_16_64 0
		.amdhsa_float_denorm_mode_32 3
		.amdhsa_float_denorm_mode_16_64 3
		.amdhsa_dx10_clamp 1
		.amdhsa_ieee_mode 1
		.amdhsa_fp16_overflow 0
		.amdhsa_exception_fp_ieee_invalid_op 0
		.amdhsa_exception_fp_denorm_src 0
		.amdhsa_exception_fp_ieee_div_zero 0
		.amdhsa_exception_fp_ieee_overflow 0
		.amdhsa_exception_fp_ieee_underflow 0
		.amdhsa_exception_fp_ieee_inexact 0
		.amdhsa_exception_int_div_zero 0
	.end_amdhsa_kernel
	.section	.text._ZN2at6native29vectorized_elementwise_kernelILi16ENS0_11FillFunctorIiEESt5arrayIPcLm1EEEEviT0_T1_,"axG",@progbits,_ZN2at6native29vectorized_elementwise_kernelILi16ENS0_11FillFunctorIiEESt5arrayIPcLm1EEEEviT0_T1_,comdat
.Lfunc_end16:
	.size	_ZN2at6native29vectorized_elementwise_kernelILi16ENS0_11FillFunctorIiEESt5arrayIPcLm1EEEEviT0_T1_, .Lfunc_end16-_ZN2at6native29vectorized_elementwise_kernelILi16ENS0_11FillFunctorIiEESt5arrayIPcLm1EEEEviT0_T1_
                                        ; -- End function
	.set _ZN2at6native29vectorized_elementwise_kernelILi16ENS0_11FillFunctorIiEESt5arrayIPcLm1EEEEviT0_T1_.num_vgpr, 8
	.set _ZN2at6native29vectorized_elementwise_kernelILi16ENS0_11FillFunctorIiEESt5arrayIPcLm1EEEEviT0_T1_.num_agpr, 0
	.set _ZN2at6native29vectorized_elementwise_kernelILi16ENS0_11FillFunctorIiEESt5arrayIPcLm1EEEEviT0_T1_.numbered_sgpr, 9
	.set _ZN2at6native29vectorized_elementwise_kernelILi16ENS0_11FillFunctorIiEESt5arrayIPcLm1EEEEviT0_T1_.num_named_barrier, 0
	.set _ZN2at6native29vectorized_elementwise_kernelILi16ENS0_11FillFunctorIiEESt5arrayIPcLm1EEEEviT0_T1_.private_seg_size, 0
	.set _ZN2at6native29vectorized_elementwise_kernelILi16ENS0_11FillFunctorIiEESt5arrayIPcLm1EEEEviT0_T1_.uses_vcc, 1
	.set _ZN2at6native29vectorized_elementwise_kernelILi16ENS0_11FillFunctorIiEESt5arrayIPcLm1EEEEviT0_T1_.uses_flat_scratch, 0
	.set _ZN2at6native29vectorized_elementwise_kernelILi16ENS0_11FillFunctorIiEESt5arrayIPcLm1EEEEviT0_T1_.has_dyn_sized_stack, 0
	.set _ZN2at6native29vectorized_elementwise_kernelILi16ENS0_11FillFunctorIiEESt5arrayIPcLm1EEEEviT0_T1_.has_recursion, 0
	.set _ZN2at6native29vectorized_elementwise_kernelILi16ENS0_11FillFunctorIiEESt5arrayIPcLm1EEEEviT0_T1_.has_indirect_call, 0
	.section	.AMDGPU.csdata,"",@progbits
; Kernel info:
; codeLenInByte = 448
; TotalNumSgprs: 13
; NumVgprs: 8
; ScratchSize: 0
; MemoryBound: 0
; FloatMode: 240
; IeeeMode: 1
; LDSByteSize: 0 bytes/workgroup (compile time only)
; SGPRBlocks: 1
; VGPRBlocks: 1
; NumSGPRsForWavesPerEU: 13
; NumVGPRsForWavesPerEU: 8
; Occupancy: 10
; WaveLimiterHint : 0
; COMPUTE_PGM_RSRC2:SCRATCH_EN: 0
; COMPUTE_PGM_RSRC2:USER_SGPR: 6
; COMPUTE_PGM_RSRC2:TRAP_HANDLER: 0
; COMPUTE_PGM_RSRC2:TGID_X_EN: 1
; COMPUTE_PGM_RSRC2:TGID_Y_EN: 0
; COMPUTE_PGM_RSRC2:TGID_Z_EN: 0
; COMPUTE_PGM_RSRC2:TIDIG_COMP_CNT: 0
	.section	.text._ZN2at6native29vectorized_elementwise_kernelILi8ENS0_11FillFunctorIiEESt5arrayIPcLm1EEEEviT0_T1_,"axG",@progbits,_ZN2at6native29vectorized_elementwise_kernelILi8ENS0_11FillFunctorIiEESt5arrayIPcLm1EEEEviT0_T1_,comdat
	.protected	_ZN2at6native29vectorized_elementwise_kernelILi8ENS0_11FillFunctorIiEESt5arrayIPcLm1EEEEviT0_T1_ ; -- Begin function _ZN2at6native29vectorized_elementwise_kernelILi8ENS0_11FillFunctorIiEESt5arrayIPcLm1EEEEviT0_T1_
	.globl	_ZN2at6native29vectorized_elementwise_kernelILi8ENS0_11FillFunctorIiEESt5arrayIPcLm1EEEEviT0_T1_
	.p2align	8
	.type	_ZN2at6native29vectorized_elementwise_kernelILi8ENS0_11FillFunctorIiEESt5arrayIPcLm1EEEEviT0_T1_,@function
_ZN2at6native29vectorized_elementwise_kernelILi8ENS0_11FillFunctorIiEESt5arrayIPcLm1EEEEviT0_T1_: ; @_ZN2at6native29vectorized_elementwise_kernelILi8ENS0_11FillFunctorIiEESt5arrayIPcLm1EEEEviT0_T1_
; %bb.0:
	s_load_dwordx4 s[0:3], s[4:5], 0x0
	s_lshl_b32 s4, s6, 10
	s_mov_b64 s[6:7], -1
	s_waitcnt lgkmcnt(0)
	s_sub_i32 s8, s0, s4
	s_cmpk_gt_i32 s8, 0x3ff
	s_cbranch_scc0 .LBB17_2
; %bb.1:
	s_ashr_i32 s5, s4, 31
	s_lshl_b64 s[6:7], s[4:5], 2
	s_add_u32 s6, s2, s6
	s_addc_u32 s7, s3, s7
	v_lshlrev_b32_e32 v5, 4, v0
	v_mov_b32_e32 v1, s1
	v_mov_b32_e32 v2, s1
	;; [unrolled: 1-line block ×4, first 2 shown]
	global_store_dwordx4 v5, v[1:4], s[6:7]
	s_mov_b64 s[6:7], 0
.LBB17_2:
	s_andn2_b64 vcc, exec, s[6:7]
	s_cbranch_vccnz .LBB17_8
; %bb.3:
	v_or_b32_e32 v4, 0x100, v0
	v_mov_b32_e32 v1, s1
	v_cmp_gt_i32_e64 s[0:1], s8, v4
	v_or_b32_e32 v2, 0x200, v0
	v_cndmask_b32_e64 v3, 0, v1, s[0:1]
	v_cmp_gt_i32_e64 s[0:1], s8, v2
	v_or_b32_e32 v6, 0x300, v0
	v_cmp_gt_i32_e32 vcc, s8, v0
	v_cndmask_b32_e64 v2, 0, v1, s[0:1]
	v_cmp_gt_i32_e64 s[0:1], s8, v6
	v_cndmask_b32_e32 v5, 0, v1, vcc
	v_cndmask_b32_e64 v1, 0, v1, s[0:1]
	s_and_saveexec_b64 s[0:1], vcc
	s_cbranch_execnz .LBB17_9
; %bb.4:
	s_or_b64 exec, exec, s[0:1]
	v_cmp_gt_i32_e32 vcc, s8, v0
	s_and_saveexec_b64 s[0:1], vcc
	s_cbranch_execnz .LBB17_10
.LBB17_5:
	s_or_b64 exec, exec, s[0:1]
	v_cmp_gt_i32_e32 vcc, s8, v0
	s_and_saveexec_b64 s[0:1], vcc
	s_cbranch_execnz .LBB17_11
.LBB17_6:
	s_or_b64 exec, exec, s[0:1]
	v_cmp_gt_i32_e32 vcc, s8, v0
	s_and_saveexec_b64 s[0:1], vcc
	s_cbranch_execz .LBB17_8
.LBB17_7:
	v_add_u32_e32 v2, s4, v0
	v_mov_b32_e32 v3, 0
	v_lshlrev_b64 v[2:3], 2, v[2:3]
	v_mov_b32_e32 v0, s3
	v_add_co_u32_e32 v2, vcc, s2, v2
	v_addc_co_u32_e32 v3, vcc, v0, v3, vcc
	global_store_dword v[2:3], v1, off
.LBB17_8:
	s_endpgm
.LBB17_9:
	v_or_b32_e32 v6, s4, v0
	v_mov_b32_e32 v7, 0
	v_lshlrev_b64 v[6:7], 2, v[6:7]
	v_mov_b32_e32 v0, s3
	v_add_co_u32_e32 v6, vcc, s2, v6
	v_addc_co_u32_e32 v7, vcc, v0, v7, vcc
	v_mov_b32_e32 v0, v4
	global_store_dword v[6:7], v5, off
	s_or_b64 exec, exec, s[0:1]
	v_cmp_gt_i32_e32 vcc, s8, v0
	s_and_saveexec_b64 s[0:1], vcc
	s_cbranch_execz .LBB17_5
.LBB17_10:
	v_add_u32_e32 v4, s4, v0
	v_mov_b32_e32 v5, 0
	v_lshlrev_b64 v[4:5], 2, v[4:5]
	v_mov_b32_e32 v6, s3
	v_add_co_u32_e32 v4, vcc, s2, v4
	v_addc_co_u32_e32 v5, vcc, v6, v5, vcc
	v_add_u32_e32 v0, 0x100, v0
	global_store_dword v[4:5], v3, off
	s_or_b64 exec, exec, s[0:1]
	v_cmp_gt_i32_e32 vcc, s8, v0
	s_and_saveexec_b64 s[0:1], vcc
	s_cbranch_execz .LBB17_6
.LBB17_11:
	v_add_u32_e32 v3, s4, v0
	v_mov_b32_e32 v4, 0
	v_lshlrev_b64 v[3:4], 2, v[3:4]
	v_mov_b32_e32 v5, s3
	v_add_co_u32_e32 v3, vcc, s2, v3
	v_addc_co_u32_e32 v4, vcc, v5, v4, vcc
	v_add_u32_e32 v0, 0x100, v0
	global_store_dword v[3:4], v2, off
	s_or_b64 exec, exec, s[0:1]
	v_cmp_gt_i32_e32 vcc, s8, v0
	s_and_saveexec_b64 s[0:1], vcc
	s_cbranch_execnz .LBB17_7
	s_branch .LBB17_8
	.section	.rodata,"a",@progbits
	.p2align	6, 0x0
	.amdhsa_kernel _ZN2at6native29vectorized_elementwise_kernelILi8ENS0_11FillFunctorIiEESt5arrayIPcLm1EEEEviT0_T1_
		.amdhsa_group_segment_fixed_size 0
		.amdhsa_private_segment_fixed_size 0
		.amdhsa_kernarg_size 16
		.amdhsa_user_sgpr_count 6
		.amdhsa_user_sgpr_private_segment_buffer 1
		.amdhsa_user_sgpr_dispatch_ptr 0
		.amdhsa_user_sgpr_queue_ptr 0
		.amdhsa_user_sgpr_kernarg_segment_ptr 1
		.amdhsa_user_sgpr_dispatch_id 0
		.amdhsa_user_sgpr_flat_scratch_init 0
		.amdhsa_user_sgpr_private_segment_size 0
		.amdhsa_uses_dynamic_stack 0
		.amdhsa_system_sgpr_private_segment_wavefront_offset 0
		.amdhsa_system_sgpr_workgroup_id_x 1
		.amdhsa_system_sgpr_workgroup_id_y 0
		.amdhsa_system_sgpr_workgroup_id_z 0
		.amdhsa_system_sgpr_workgroup_info 0
		.amdhsa_system_vgpr_workitem_id 0
		.amdhsa_next_free_vgpr 8
		.amdhsa_next_free_sgpr 9
		.amdhsa_reserve_vcc 1
		.amdhsa_reserve_flat_scratch 0
		.amdhsa_float_round_mode_32 0
		.amdhsa_float_round_mode_16_64 0
		.amdhsa_float_denorm_mode_32 3
		.amdhsa_float_denorm_mode_16_64 3
		.amdhsa_dx10_clamp 1
		.amdhsa_ieee_mode 1
		.amdhsa_fp16_overflow 0
		.amdhsa_exception_fp_ieee_invalid_op 0
		.amdhsa_exception_fp_denorm_src 0
		.amdhsa_exception_fp_ieee_div_zero 0
		.amdhsa_exception_fp_ieee_overflow 0
		.amdhsa_exception_fp_ieee_underflow 0
		.amdhsa_exception_fp_ieee_inexact 0
		.amdhsa_exception_int_div_zero 0
	.end_amdhsa_kernel
	.section	.text._ZN2at6native29vectorized_elementwise_kernelILi8ENS0_11FillFunctorIiEESt5arrayIPcLm1EEEEviT0_T1_,"axG",@progbits,_ZN2at6native29vectorized_elementwise_kernelILi8ENS0_11FillFunctorIiEESt5arrayIPcLm1EEEEviT0_T1_,comdat
.Lfunc_end17:
	.size	_ZN2at6native29vectorized_elementwise_kernelILi8ENS0_11FillFunctorIiEESt5arrayIPcLm1EEEEviT0_T1_, .Lfunc_end17-_ZN2at6native29vectorized_elementwise_kernelILi8ENS0_11FillFunctorIiEESt5arrayIPcLm1EEEEviT0_T1_
                                        ; -- End function
	.set _ZN2at6native29vectorized_elementwise_kernelILi8ENS0_11FillFunctorIiEESt5arrayIPcLm1EEEEviT0_T1_.num_vgpr, 8
	.set _ZN2at6native29vectorized_elementwise_kernelILi8ENS0_11FillFunctorIiEESt5arrayIPcLm1EEEEviT0_T1_.num_agpr, 0
	.set _ZN2at6native29vectorized_elementwise_kernelILi8ENS0_11FillFunctorIiEESt5arrayIPcLm1EEEEviT0_T1_.numbered_sgpr, 9
	.set _ZN2at6native29vectorized_elementwise_kernelILi8ENS0_11FillFunctorIiEESt5arrayIPcLm1EEEEviT0_T1_.num_named_barrier, 0
	.set _ZN2at6native29vectorized_elementwise_kernelILi8ENS0_11FillFunctorIiEESt5arrayIPcLm1EEEEviT0_T1_.private_seg_size, 0
	.set _ZN2at6native29vectorized_elementwise_kernelILi8ENS0_11FillFunctorIiEESt5arrayIPcLm1EEEEviT0_T1_.uses_vcc, 1
	.set _ZN2at6native29vectorized_elementwise_kernelILi8ENS0_11FillFunctorIiEESt5arrayIPcLm1EEEEviT0_T1_.uses_flat_scratch, 0
	.set _ZN2at6native29vectorized_elementwise_kernelILi8ENS0_11FillFunctorIiEESt5arrayIPcLm1EEEEviT0_T1_.has_dyn_sized_stack, 0
	.set _ZN2at6native29vectorized_elementwise_kernelILi8ENS0_11FillFunctorIiEESt5arrayIPcLm1EEEEviT0_T1_.has_recursion, 0
	.set _ZN2at6native29vectorized_elementwise_kernelILi8ENS0_11FillFunctorIiEESt5arrayIPcLm1EEEEviT0_T1_.has_indirect_call, 0
	.section	.AMDGPU.csdata,"",@progbits
; Kernel info:
; codeLenInByte = 448
; TotalNumSgprs: 13
; NumVgprs: 8
; ScratchSize: 0
; MemoryBound: 0
; FloatMode: 240
; IeeeMode: 1
; LDSByteSize: 0 bytes/workgroup (compile time only)
; SGPRBlocks: 1
; VGPRBlocks: 1
; NumSGPRsForWavesPerEU: 13
; NumVGPRsForWavesPerEU: 8
; Occupancy: 10
; WaveLimiterHint : 0
; COMPUTE_PGM_RSRC2:SCRATCH_EN: 0
; COMPUTE_PGM_RSRC2:USER_SGPR: 6
; COMPUTE_PGM_RSRC2:TRAP_HANDLER: 0
; COMPUTE_PGM_RSRC2:TGID_X_EN: 1
; COMPUTE_PGM_RSRC2:TGID_Y_EN: 0
; COMPUTE_PGM_RSRC2:TGID_Z_EN: 0
; COMPUTE_PGM_RSRC2:TIDIG_COMP_CNT: 0
	.section	.text._ZN2at6native29vectorized_elementwise_kernelILi4ENS0_11FillFunctorIiEESt5arrayIPcLm1EEEEviT0_T1_,"axG",@progbits,_ZN2at6native29vectorized_elementwise_kernelILi4ENS0_11FillFunctorIiEESt5arrayIPcLm1EEEEviT0_T1_,comdat
	.protected	_ZN2at6native29vectorized_elementwise_kernelILi4ENS0_11FillFunctorIiEESt5arrayIPcLm1EEEEviT0_T1_ ; -- Begin function _ZN2at6native29vectorized_elementwise_kernelILi4ENS0_11FillFunctorIiEESt5arrayIPcLm1EEEEviT0_T1_
	.globl	_ZN2at6native29vectorized_elementwise_kernelILi4ENS0_11FillFunctorIiEESt5arrayIPcLm1EEEEviT0_T1_
	.p2align	8
	.type	_ZN2at6native29vectorized_elementwise_kernelILi4ENS0_11FillFunctorIiEESt5arrayIPcLm1EEEEviT0_T1_,@function
_ZN2at6native29vectorized_elementwise_kernelILi4ENS0_11FillFunctorIiEESt5arrayIPcLm1EEEEviT0_T1_: ; @_ZN2at6native29vectorized_elementwise_kernelILi4ENS0_11FillFunctorIiEESt5arrayIPcLm1EEEEviT0_T1_
; %bb.0:
	s_load_dwordx4 s[0:3], s[4:5], 0x0
	s_lshl_b32 s4, s6, 10
	s_mov_b64 s[6:7], -1
	s_waitcnt lgkmcnt(0)
	s_sub_i32 s8, s0, s4
	s_cmpk_gt_i32 s8, 0x3ff
	s_cbranch_scc0 .LBB18_2
; %bb.1:
	s_ashr_i32 s5, s4, 31
	s_lshl_b64 s[6:7], s[4:5], 2
	s_add_u32 s6, s2, s6
	s_addc_u32 s7, s3, s7
	v_lshlrev_b32_e32 v5, 4, v0
	v_mov_b32_e32 v1, s1
	v_mov_b32_e32 v2, s1
	;; [unrolled: 1-line block ×4, first 2 shown]
	global_store_dwordx4 v5, v[1:4], s[6:7]
	s_mov_b64 s[6:7], 0
.LBB18_2:
	s_andn2_b64 vcc, exec, s[6:7]
	s_cbranch_vccnz .LBB18_8
; %bb.3:
	v_or_b32_e32 v4, 0x100, v0
	v_mov_b32_e32 v1, s1
	v_cmp_gt_i32_e64 s[0:1], s8, v4
	v_or_b32_e32 v2, 0x200, v0
	v_cndmask_b32_e64 v3, 0, v1, s[0:1]
	v_cmp_gt_i32_e64 s[0:1], s8, v2
	v_or_b32_e32 v6, 0x300, v0
	v_cmp_gt_i32_e32 vcc, s8, v0
	v_cndmask_b32_e64 v2, 0, v1, s[0:1]
	v_cmp_gt_i32_e64 s[0:1], s8, v6
	v_cndmask_b32_e32 v5, 0, v1, vcc
	v_cndmask_b32_e64 v1, 0, v1, s[0:1]
	s_and_saveexec_b64 s[0:1], vcc
	s_cbranch_execnz .LBB18_9
; %bb.4:
	s_or_b64 exec, exec, s[0:1]
	v_cmp_gt_i32_e32 vcc, s8, v0
	s_and_saveexec_b64 s[0:1], vcc
	s_cbranch_execnz .LBB18_10
.LBB18_5:
	s_or_b64 exec, exec, s[0:1]
	v_cmp_gt_i32_e32 vcc, s8, v0
	s_and_saveexec_b64 s[0:1], vcc
	s_cbranch_execnz .LBB18_11
.LBB18_6:
	s_or_b64 exec, exec, s[0:1]
	v_cmp_gt_i32_e32 vcc, s8, v0
	s_and_saveexec_b64 s[0:1], vcc
	s_cbranch_execz .LBB18_8
.LBB18_7:
	v_add_u32_e32 v2, s4, v0
	v_mov_b32_e32 v3, 0
	v_lshlrev_b64 v[2:3], 2, v[2:3]
	v_mov_b32_e32 v0, s3
	v_add_co_u32_e32 v2, vcc, s2, v2
	v_addc_co_u32_e32 v3, vcc, v0, v3, vcc
	global_store_dword v[2:3], v1, off
.LBB18_8:
	s_endpgm
.LBB18_9:
	v_or_b32_e32 v6, s4, v0
	v_mov_b32_e32 v7, 0
	v_lshlrev_b64 v[6:7], 2, v[6:7]
	v_mov_b32_e32 v0, s3
	v_add_co_u32_e32 v6, vcc, s2, v6
	v_addc_co_u32_e32 v7, vcc, v0, v7, vcc
	v_mov_b32_e32 v0, v4
	global_store_dword v[6:7], v5, off
	s_or_b64 exec, exec, s[0:1]
	v_cmp_gt_i32_e32 vcc, s8, v0
	s_and_saveexec_b64 s[0:1], vcc
	s_cbranch_execz .LBB18_5
.LBB18_10:
	v_add_u32_e32 v4, s4, v0
	v_mov_b32_e32 v5, 0
	v_lshlrev_b64 v[4:5], 2, v[4:5]
	v_mov_b32_e32 v6, s3
	v_add_co_u32_e32 v4, vcc, s2, v4
	v_addc_co_u32_e32 v5, vcc, v6, v5, vcc
	v_add_u32_e32 v0, 0x100, v0
	global_store_dword v[4:5], v3, off
	s_or_b64 exec, exec, s[0:1]
	v_cmp_gt_i32_e32 vcc, s8, v0
	s_and_saveexec_b64 s[0:1], vcc
	s_cbranch_execz .LBB18_6
.LBB18_11:
	v_add_u32_e32 v3, s4, v0
	v_mov_b32_e32 v4, 0
	v_lshlrev_b64 v[3:4], 2, v[3:4]
	v_mov_b32_e32 v5, s3
	v_add_co_u32_e32 v3, vcc, s2, v3
	v_addc_co_u32_e32 v4, vcc, v5, v4, vcc
	v_add_u32_e32 v0, 0x100, v0
	global_store_dword v[3:4], v2, off
	s_or_b64 exec, exec, s[0:1]
	v_cmp_gt_i32_e32 vcc, s8, v0
	s_and_saveexec_b64 s[0:1], vcc
	s_cbranch_execnz .LBB18_7
	s_branch .LBB18_8
	.section	.rodata,"a",@progbits
	.p2align	6, 0x0
	.amdhsa_kernel _ZN2at6native29vectorized_elementwise_kernelILi4ENS0_11FillFunctorIiEESt5arrayIPcLm1EEEEviT0_T1_
		.amdhsa_group_segment_fixed_size 0
		.amdhsa_private_segment_fixed_size 0
		.amdhsa_kernarg_size 16
		.amdhsa_user_sgpr_count 6
		.amdhsa_user_sgpr_private_segment_buffer 1
		.amdhsa_user_sgpr_dispatch_ptr 0
		.amdhsa_user_sgpr_queue_ptr 0
		.amdhsa_user_sgpr_kernarg_segment_ptr 1
		.amdhsa_user_sgpr_dispatch_id 0
		.amdhsa_user_sgpr_flat_scratch_init 0
		.amdhsa_user_sgpr_private_segment_size 0
		.amdhsa_uses_dynamic_stack 0
		.amdhsa_system_sgpr_private_segment_wavefront_offset 0
		.amdhsa_system_sgpr_workgroup_id_x 1
		.amdhsa_system_sgpr_workgroup_id_y 0
		.amdhsa_system_sgpr_workgroup_id_z 0
		.amdhsa_system_sgpr_workgroup_info 0
		.amdhsa_system_vgpr_workitem_id 0
		.amdhsa_next_free_vgpr 8
		.amdhsa_next_free_sgpr 9
		.amdhsa_reserve_vcc 1
		.amdhsa_reserve_flat_scratch 0
		.amdhsa_float_round_mode_32 0
		.amdhsa_float_round_mode_16_64 0
		.amdhsa_float_denorm_mode_32 3
		.amdhsa_float_denorm_mode_16_64 3
		.amdhsa_dx10_clamp 1
		.amdhsa_ieee_mode 1
		.amdhsa_fp16_overflow 0
		.amdhsa_exception_fp_ieee_invalid_op 0
		.amdhsa_exception_fp_denorm_src 0
		.amdhsa_exception_fp_ieee_div_zero 0
		.amdhsa_exception_fp_ieee_overflow 0
		.amdhsa_exception_fp_ieee_underflow 0
		.amdhsa_exception_fp_ieee_inexact 0
		.amdhsa_exception_int_div_zero 0
	.end_amdhsa_kernel
	.section	.text._ZN2at6native29vectorized_elementwise_kernelILi4ENS0_11FillFunctorIiEESt5arrayIPcLm1EEEEviT0_T1_,"axG",@progbits,_ZN2at6native29vectorized_elementwise_kernelILi4ENS0_11FillFunctorIiEESt5arrayIPcLm1EEEEviT0_T1_,comdat
.Lfunc_end18:
	.size	_ZN2at6native29vectorized_elementwise_kernelILi4ENS0_11FillFunctorIiEESt5arrayIPcLm1EEEEviT0_T1_, .Lfunc_end18-_ZN2at6native29vectorized_elementwise_kernelILi4ENS0_11FillFunctorIiEESt5arrayIPcLm1EEEEviT0_T1_
                                        ; -- End function
	.set _ZN2at6native29vectorized_elementwise_kernelILi4ENS0_11FillFunctorIiEESt5arrayIPcLm1EEEEviT0_T1_.num_vgpr, 8
	.set _ZN2at6native29vectorized_elementwise_kernelILi4ENS0_11FillFunctorIiEESt5arrayIPcLm1EEEEviT0_T1_.num_agpr, 0
	.set _ZN2at6native29vectorized_elementwise_kernelILi4ENS0_11FillFunctorIiEESt5arrayIPcLm1EEEEviT0_T1_.numbered_sgpr, 9
	.set _ZN2at6native29vectorized_elementwise_kernelILi4ENS0_11FillFunctorIiEESt5arrayIPcLm1EEEEviT0_T1_.num_named_barrier, 0
	.set _ZN2at6native29vectorized_elementwise_kernelILi4ENS0_11FillFunctorIiEESt5arrayIPcLm1EEEEviT0_T1_.private_seg_size, 0
	.set _ZN2at6native29vectorized_elementwise_kernelILi4ENS0_11FillFunctorIiEESt5arrayIPcLm1EEEEviT0_T1_.uses_vcc, 1
	.set _ZN2at6native29vectorized_elementwise_kernelILi4ENS0_11FillFunctorIiEESt5arrayIPcLm1EEEEviT0_T1_.uses_flat_scratch, 0
	.set _ZN2at6native29vectorized_elementwise_kernelILi4ENS0_11FillFunctorIiEESt5arrayIPcLm1EEEEviT0_T1_.has_dyn_sized_stack, 0
	.set _ZN2at6native29vectorized_elementwise_kernelILi4ENS0_11FillFunctorIiEESt5arrayIPcLm1EEEEviT0_T1_.has_recursion, 0
	.set _ZN2at6native29vectorized_elementwise_kernelILi4ENS0_11FillFunctorIiEESt5arrayIPcLm1EEEEviT0_T1_.has_indirect_call, 0
	.section	.AMDGPU.csdata,"",@progbits
; Kernel info:
; codeLenInByte = 448
; TotalNumSgprs: 13
; NumVgprs: 8
; ScratchSize: 0
; MemoryBound: 0
; FloatMode: 240
; IeeeMode: 1
; LDSByteSize: 0 bytes/workgroup (compile time only)
; SGPRBlocks: 1
; VGPRBlocks: 1
; NumSGPRsForWavesPerEU: 13
; NumVGPRsForWavesPerEU: 8
; Occupancy: 10
; WaveLimiterHint : 0
; COMPUTE_PGM_RSRC2:SCRATCH_EN: 0
; COMPUTE_PGM_RSRC2:USER_SGPR: 6
; COMPUTE_PGM_RSRC2:TRAP_HANDLER: 0
; COMPUTE_PGM_RSRC2:TGID_X_EN: 1
; COMPUTE_PGM_RSRC2:TGID_Y_EN: 0
; COMPUTE_PGM_RSRC2:TGID_Z_EN: 0
; COMPUTE_PGM_RSRC2:TIDIG_COMP_CNT: 0
	.section	.text._ZN2at6native29vectorized_elementwise_kernelILi2ENS0_11FillFunctorIiEESt5arrayIPcLm1EEEEviT0_T1_,"axG",@progbits,_ZN2at6native29vectorized_elementwise_kernelILi2ENS0_11FillFunctorIiEESt5arrayIPcLm1EEEEviT0_T1_,comdat
	.protected	_ZN2at6native29vectorized_elementwise_kernelILi2ENS0_11FillFunctorIiEESt5arrayIPcLm1EEEEviT0_T1_ ; -- Begin function _ZN2at6native29vectorized_elementwise_kernelILi2ENS0_11FillFunctorIiEESt5arrayIPcLm1EEEEviT0_T1_
	.globl	_ZN2at6native29vectorized_elementwise_kernelILi2ENS0_11FillFunctorIiEESt5arrayIPcLm1EEEEviT0_T1_
	.p2align	8
	.type	_ZN2at6native29vectorized_elementwise_kernelILi2ENS0_11FillFunctorIiEESt5arrayIPcLm1EEEEviT0_T1_,@function
_ZN2at6native29vectorized_elementwise_kernelILi2ENS0_11FillFunctorIiEESt5arrayIPcLm1EEEEviT0_T1_: ; @_ZN2at6native29vectorized_elementwise_kernelILi2ENS0_11FillFunctorIiEESt5arrayIPcLm1EEEEviT0_T1_
; %bb.0:
	s_load_dwordx4 s[0:3], s[4:5], 0x0
	s_lshl_b32 s4, s6, 10
	s_mov_b64 s[6:7], -1
	s_waitcnt lgkmcnt(0)
	s_sub_i32 s8, s0, s4
	s_cmpk_gt_i32 s8, 0x3ff
	s_cbranch_scc0 .LBB19_2
; %bb.1:
	s_ashr_i32 s5, s4, 31
	s_lshl_b64 s[6:7], s[4:5], 2
	s_add_u32 s6, s2, s6
	s_mov_b32 s0, s1
	v_mov_b32_e32 v2, s1
	s_addc_u32 s7, s3, s7
	v_lshlrev_b32_e32 v3, 3, v0
	v_mov_b32_e32 v1, s0
	global_store_dwordx2 v3, v[1:2], s[6:7]
	global_store_dwordx2 v3, v[1:2], s[6:7] offset:2048
	s_mov_b64 s[6:7], 0
.LBB19_2:
	s_andn2_b64 vcc, exec, s[6:7]
	s_cbranch_vccnz .LBB19_8
; %bb.3:
	v_or_b32_e32 v4, 0x100, v0
	v_mov_b32_e32 v1, s1
	v_cmp_gt_i32_e64 s[0:1], s8, v4
	v_or_b32_e32 v2, 0x200, v0
	v_cndmask_b32_e64 v3, 0, v1, s[0:1]
	v_cmp_gt_i32_e64 s[0:1], s8, v2
	v_or_b32_e32 v6, 0x300, v0
	v_cmp_gt_i32_e32 vcc, s8, v0
	v_cndmask_b32_e64 v2, 0, v1, s[0:1]
	v_cmp_gt_i32_e64 s[0:1], s8, v6
	v_cndmask_b32_e32 v5, 0, v1, vcc
	v_cndmask_b32_e64 v1, 0, v1, s[0:1]
	s_and_saveexec_b64 s[0:1], vcc
	s_cbranch_execnz .LBB19_9
; %bb.4:
	s_or_b64 exec, exec, s[0:1]
	v_cmp_gt_i32_e32 vcc, s8, v0
	s_and_saveexec_b64 s[0:1], vcc
	s_cbranch_execnz .LBB19_10
.LBB19_5:
	s_or_b64 exec, exec, s[0:1]
	v_cmp_gt_i32_e32 vcc, s8, v0
	s_and_saveexec_b64 s[0:1], vcc
	s_cbranch_execnz .LBB19_11
.LBB19_6:
	s_or_b64 exec, exec, s[0:1]
	v_cmp_gt_i32_e32 vcc, s8, v0
	s_and_saveexec_b64 s[0:1], vcc
	s_cbranch_execz .LBB19_8
.LBB19_7:
	v_add_u32_e32 v2, s4, v0
	v_mov_b32_e32 v3, 0
	v_lshlrev_b64 v[2:3], 2, v[2:3]
	v_mov_b32_e32 v0, s3
	v_add_co_u32_e32 v2, vcc, s2, v2
	v_addc_co_u32_e32 v3, vcc, v0, v3, vcc
	global_store_dword v[2:3], v1, off
.LBB19_8:
	s_endpgm
.LBB19_9:
	v_or_b32_e32 v6, s4, v0
	v_mov_b32_e32 v7, 0
	v_lshlrev_b64 v[6:7], 2, v[6:7]
	v_mov_b32_e32 v0, s3
	v_add_co_u32_e32 v6, vcc, s2, v6
	v_addc_co_u32_e32 v7, vcc, v0, v7, vcc
	v_mov_b32_e32 v0, v4
	global_store_dword v[6:7], v5, off
	s_or_b64 exec, exec, s[0:1]
	v_cmp_gt_i32_e32 vcc, s8, v0
	s_and_saveexec_b64 s[0:1], vcc
	s_cbranch_execz .LBB19_5
.LBB19_10:
	v_add_u32_e32 v4, s4, v0
	v_mov_b32_e32 v5, 0
	v_lshlrev_b64 v[4:5], 2, v[4:5]
	v_mov_b32_e32 v6, s3
	v_add_co_u32_e32 v4, vcc, s2, v4
	v_addc_co_u32_e32 v5, vcc, v6, v5, vcc
	v_add_u32_e32 v0, 0x100, v0
	global_store_dword v[4:5], v3, off
	s_or_b64 exec, exec, s[0:1]
	v_cmp_gt_i32_e32 vcc, s8, v0
	s_and_saveexec_b64 s[0:1], vcc
	s_cbranch_execz .LBB19_6
.LBB19_11:
	v_add_u32_e32 v3, s4, v0
	v_mov_b32_e32 v4, 0
	v_lshlrev_b64 v[3:4], 2, v[3:4]
	v_mov_b32_e32 v5, s3
	v_add_co_u32_e32 v3, vcc, s2, v3
	v_addc_co_u32_e32 v4, vcc, v5, v4, vcc
	v_add_u32_e32 v0, 0x100, v0
	global_store_dword v[3:4], v2, off
	s_or_b64 exec, exec, s[0:1]
	v_cmp_gt_i32_e32 vcc, s8, v0
	s_and_saveexec_b64 s[0:1], vcc
	s_cbranch_execnz .LBB19_7
	s_branch .LBB19_8
	.section	.rodata,"a",@progbits
	.p2align	6, 0x0
	.amdhsa_kernel _ZN2at6native29vectorized_elementwise_kernelILi2ENS0_11FillFunctorIiEESt5arrayIPcLm1EEEEviT0_T1_
		.amdhsa_group_segment_fixed_size 0
		.amdhsa_private_segment_fixed_size 0
		.amdhsa_kernarg_size 16
		.amdhsa_user_sgpr_count 6
		.amdhsa_user_sgpr_private_segment_buffer 1
		.amdhsa_user_sgpr_dispatch_ptr 0
		.amdhsa_user_sgpr_queue_ptr 0
		.amdhsa_user_sgpr_kernarg_segment_ptr 1
		.amdhsa_user_sgpr_dispatch_id 0
		.amdhsa_user_sgpr_flat_scratch_init 0
		.amdhsa_user_sgpr_private_segment_size 0
		.amdhsa_uses_dynamic_stack 0
		.amdhsa_system_sgpr_private_segment_wavefront_offset 0
		.amdhsa_system_sgpr_workgroup_id_x 1
		.amdhsa_system_sgpr_workgroup_id_y 0
		.amdhsa_system_sgpr_workgroup_id_z 0
		.amdhsa_system_sgpr_workgroup_info 0
		.amdhsa_system_vgpr_workitem_id 0
		.amdhsa_next_free_vgpr 8
		.amdhsa_next_free_sgpr 9
		.amdhsa_reserve_vcc 1
		.amdhsa_reserve_flat_scratch 0
		.amdhsa_float_round_mode_32 0
		.amdhsa_float_round_mode_16_64 0
		.amdhsa_float_denorm_mode_32 3
		.amdhsa_float_denorm_mode_16_64 3
		.amdhsa_dx10_clamp 1
		.amdhsa_ieee_mode 1
		.amdhsa_fp16_overflow 0
		.amdhsa_exception_fp_ieee_invalid_op 0
		.amdhsa_exception_fp_denorm_src 0
		.amdhsa_exception_fp_ieee_div_zero 0
		.amdhsa_exception_fp_ieee_overflow 0
		.amdhsa_exception_fp_ieee_underflow 0
		.amdhsa_exception_fp_ieee_inexact 0
		.amdhsa_exception_int_div_zero 0
	.end_amdhsa_kernel
	.section	.text._ZN2at6native29vectorized_elementwise_kernelILi2ENS0_11FillFunctorIiEESt5arrayIPcLm1EEEEviT0_T1_,"axG",@progbits,_ZN2at6native29vectorized_elementwise_kernelILi2ENS0_11FillFunctorIiEESt5arrayIPcLm1EEEEviT0_T1_,comdat
.Lfunc_end19:
	.size	_ZN2at6native29vectorized_elementwise_kernelILi2ENS0_11FillFunctorIiEESt5arrayIPcLm1EEEEviT0_T1_, .Lfunc_end19-_ZN2at6native29vectorized_elementwise_kernelILi2ENS0_11FillFunctorIiEESt5arrayIPcLm1EEEEviT0_T1_
                                        ; -- End function
	.set _ZN2at6native29vectorized_elementwise_kernelILi2ENS0_11FillFunctorIiEESt5arrayIPcLm1EEEEviT0_T1_.num_vgpr, 8
	.set _ZN2at6native29vectorized_elementwise_kernelILi2ENS0_11FillFunctorIiEESt5arrayIPcLm1EEEEviT0_T1_.num_agpr, 0
	.set _ZN2at6native29vectorized_elementwise_kernelILi2ENS0_11FillFunctorIiEESt5arrayIPcLm1EEEEviT0_T1_.numbered_sgpr, 9
	.set _ZN2at6native29vectorized_elementwise_kernelILi2ENS0_11FillFunctorIiEESt5arrayIPcLm1EEEEviT0_T1_.num_named_barrier, 0
	.set _ZN2at6native29vectorized_elementwise_kernelILi2ENS0_11FillFunctorIiEESt5arrayIPcLm1EEEEviT0_T1_.private_seg_size, 0
	.set _ZN2at6native29vectorized_elementwise_kernelILi2ENS0_11FillFunctorIiEESt5arrayIPcLm1EEEEviT0_T1_.uses_vcc, 1
	.set _ZN2at6native29vectorized_elementwise_kernelILi2ENS0_11FillFunctorIiEESt5arrayIPcLm1EEEEviT0_T1_.uses_flat_scratch, 0
	.set _ZN2at6native29vectorized_elementwise_kernelILi2ENS0_11FillFunctorIiEESt5arrayIPcLm1EEEEviT0_T1_.has_dyn_sized_stack, 0
	.set _ZN2at6native29vectorized_elementwise_kernelILi2ENS0_11FillFunctorIiEESt5arrayIPcLm1EEEEviT0_T1_.has_recursion, 0
	.set _ZN2at6native29vectorized_elementwise_kernelILi2ENS0_11FillFunctorIiEESt5arrayIPcLm1EEEEviT0_T1_.has_indirect_call, 0
	.section	.AMDGPU.csdata,"",@progbits
; Kernel info:
; codeLenInByte = 452
; TotalNumSgprs: 13
; NumVgprs: 8
; ScratchSize: 0
; MemoryBound: 0
; FloatMode: 240
; IeeeMode: 1
; LDSByteSize: 0 bytes/workgroup (compile time only)
; SGPRBlocks: 1
; VGPRBlocks: 1
; NumSGPRsForWavesPerEU: 13
; NumVGPRsForWavesPerEU: 8
; Occupancy: 10
; WaveLimiterHint : 1
; COMPUTE_PGM_RSRC2:SCRATCH_EN: 0
; COMPUTE_PGM_RSRC2:USER_SGPR: 6
; COMPUTE_PGM_RSRC2:TRAP_HANDLER: 0
; COMPUTE_PGM_RSRC2:TGID_X_EN: 1
; COMPUTE_PGM_RSRC2:TGID_Y_EN: 0
; COMPUTE_PGM_RSRC2:TGID_Z_EN: 0
; COMPUTE_PGM_RSRC2:TIDIG_COMP_CNT: 0
	.section	.text._ZN2at6native27unrolled_elementwise_kernelINS0_11FillFunctorIiEESt5arrayIPcLm1EELi4E23TrivialOffsetCalculatorILi0EjES7_ILi1EjENS0_6memory15LoadWithoutCastENSA_16StoreWithoutCastEEEviT_T0_T2_T3_T4_T5_,"axG",@progbits,_ZN2at6native27unrolled_elementwise_kernelINS0_11FillFunctorIiEESt5arrayIPcLm1EELi4E23TrivialOffsetCalculatorILi0EjES7_ILi1EjENS0_6memory15LoadWithoutCastENSA_16StoreWithoutCastEEEviT_T0_T2_T3_T4_T5_,comdat
	.protected	_ZN2at6native27unrolled_elementwise_kernelINS0_11FillFunctorIiEESt5arrayIPcLm1EELi4E23TrivialOffsetCalculatorILi0EjES7_ILi1EjENS0_6memory15LoadWithoutCastENSA_16StoreWithoutCastEEEviT_T0_T2_T3_T4_T5_ ; -- Begin function _ZN2at6native27unrolled_elementwise_kernelINS0_11FillFunctorIiEESt5arrayIPcLm1EELi4E23TrivialOffsetCalculatorILi0EjES7_ILi1EjENS0_6memory15LoadWithoutCastENSA_16StoreWithoutCastEEEviT_T0_T2_T3_T4_T5_
	.globl	_ZN2at6native27unrolled_elementwise_kernelINS0_11FillFunctorIiEESt5arrayIPcLm1EELi4E23TrivialOffsetCalculatorILi0EjES7_ILi1EjENS0_6memory15LoadWithoutCastENSA_16StoreWithoutCastEEEviT_T0_T2_T3_T4_T5_
	.p2align	8
	.type	_ZN2at6native27unrolled_elementwise_kernelINS0_11FillFunctorIiEESt5arrayIPcLm1EELi4E23TrivialOffsetCalculatorILi0EjES7_ILi1EjENS0_6memory15LoadWithoutCastENSA_16StoreWithoutCastEEEviT_T0_T2_T3_T4_T5_,@function
_ZN2at6native27unrolled_elementwise_kernelINS0_11FillFunctorIiEESt5arrayIPcLm1EELi4E23TrivialOffsetCalculatorILi0EjES7_ILi1EjENS0_6memory15LoadWithoutCastENSA_16StoreWithoutCastEEEviT_T0_T2_T3_T4_T5_: ; @_ZN2at6native27unrolled_elementwise_kernelINS0_11FillFunctorIiEESt5arrayIPcLm1EELi4E23TrivialOffsetCalculatorILi0EjES7_ILi1EjENS0_6memory15LoadWithoutCastENSA_16StoreWithoutCastEEEviT_T0_T2_T3_T4_T5_
; %bb.0:
	s_load_dwordx4 s[0:3], s[4:5], 0x0
	s_lshl_b32 s4, s6, 10
	v_or_b32_e32 v4, 0x100, v0
	v_or_b32_e32 v2, 0x200, v0
	;; [unrolled: 1-line block ×3, first 2 shown]
	s_waitcnt lgkmcnt(0)
	s_sub_i32 s5, s0, s4
	v_mov_b32_e32 v1, s1
	v_cmp_gt_i32_e64 s[0:1], s5, v4
	v_cndmask_b32_e64 v3, 0, v1, s[0:1]
	v_cmp_gt_i32_e64 s[0:1], s5, v2
	v_cmp_gt_i32_e32 vcc, s5, v0
	v_cndmask_b32_e64 v2, 0, v1, s[0:1]
	v_cmp_gt_i32_e64 s[0:1], s5, v6
	v_cndmask_b32_e32 v5, 0, v1, vcc
	v_cndmask_b32_e64 v1, 0, v1, s[0:1]
	s_and_saveexec_b64 s[0:1], vcc
	s_cbranch_execnz .LBB20_5
; %bb.1:
	s_or_b64 exec, exec, s[0:1]
	v_cmp_gt_i32_e32 vcc, s5, v0
	s_and_saveexec_b64 s[0:1], vcc
	s_cbranch_execnz .LBB20_6
.LBB20_2:
	s_or_b64 exec, exec, s[0:1]
	v_cmp_gt_i32_e32 vcc, s5, v0
	s_and_saveexec_b64 s[0:1], vcc
	s_cbranch_execnz .LBB20_7
.LBB20_3:
	s_or_b64 exec, exec, s[0:1]
	v_cmp_gt_i32_e32 vcc, s5, v0
	s_and_saveexec_b64 s[0:1], vcc
	s_cbranch_execnz .LBB20_8
.LBB20_4:
	s_endpgm
.LBB20_5:
	v_or_b32_e32 v6, s4, v0
	v_mov_b32_e32 v7, 0
	v_lshlrev_b64 v[6:7], 2, v[6:7]
	v_mov_b32_e32 v0, s3
	v_add_co_u32_e32 v6, vcc, s2, v6
	v_addc_co_u32_e32 v7, vcc, v0, v7, vcc
	v_mov_b32_e32 v0, v4
	global_store_dword v[6:7], v5, off
	s_or_b64 exec, exec, s[0:1]
	v_cmp_gt_i32_e32 vcc, s5, v0
	s_and_saveexec_b64 s[0:1], vcc
	s_cbranch_execz .LBB20_2
.LBB20_6:
	v_add_u32_e32 v4, s4, v0
	v_mov_b32_e32 v5, 0
	v_lshlrev_b64 v[4:5], 2, v[4:5]
	v_add_u32_e32 v6, 0x100, v0
	v_mov_b32_e32 v0, s3
	v_add_co_u32_e32 v4, vcc, s2, v4
	v_addc_co_u32_e32 v5, vcc, v0, v5, vcc
	v_mov_b32_e32 v0, v6
	global_store_dword v[4:5], v3, off
	s_or_b64 exec, exec, s[0:1]
	v_cmp_gt_i32_e32 vcc, s5, v0
	s_and_saveexec_b64 s[0:1], vcc
	s_cbranch_execz .LBB20_3
.LBB20_7:
	v_add_u32_e32 v3, s4, v0
	v_mov_b32_e32 v4, 0
	v_lshlrev_b64 v[3:4], 2, v[3:4]
	v_add_u32_e32 v5, 0x100, v0
	v_mov_b32_e32 v0, s3
	v_add_co_u32_e32 v3, vcc, s2, v3
	v_addc_co_u32_e32 v4, vcc, v0, v4, vcc
	v_mov_b32_e32 v0, v5
	global_store_dword v[3:4], v2, off
	s_or_b64 exec, exec, s[0:1]
	v_cmp_gt_i32_e32 vcc, s5, v0
	s_and_saveexec_b64 s[0:1], vcc
	s_cbranch_execz .LBB20_4
.LBB20_8:
	v_add_u32_e32 v2, s4, v0
	v_mov_b32_e32 v3, 0
	v_lshlrev_b64 v[2:3], 2, v[2:3]
	v_mov_b32_e32 v0, s3
	v_add_co_u32_e32 v2, vcc, s2, v2
	v_addc_co_u32_e32 v3, vcc, v0, v3, vcc
	global_store_dword v[2:3], v1, off
	s_endpgm
	.section	.rodata,"a",@progbits
	.p2align	6, 0x0
	.amdhsa_kernel _ZN2at6native27unrolled_elementwise_kernelINS0_11FillFunctorIiEESt5arrayIPcLm1EELi4E23TrivialOffsetCalculatorILi0EjES7_ILi1EjENS0_6memory15LoadWithoutCastENSA_16StoreWithoutCastEEEviT_T0_T2_T3_T4_T5_
		.amdhsa_group_segment_fixed_size 0
		.amdhsa_private_segment_fixed_size 0
		.amdhsa_kernarg_size 20
		.amdhsa_user_sgpr_count 6
		.amdhsa_user_sgpr_private_segment_buffer 1
		.amdhsa_user_sgpr_dispatch_ptr 0
		.amdhsa_user_sgpr_queue_ptr 0
		.amdhsa_user_sgpr_kernarg_segment_ptr 1
		.amdhsa_user_sgpr_dispatch_id 0
		.amdhsa_user_sgpr_flat_scratch_init 0
		.amdhsa_user_sgpr_private_segment_size 0
		.amdhsa_uses_dynamic_stack 0
		.amdhsa_system_sgpr_private_segment_wavefront_offset 0
		.amdhsa_system_sgpr_workgroup_id_x 1
		.amdhsa_system_sgpr_workgroup_id_y 0
		.amdhsa_system_sgpr_workgroup_id_z 0
		.amdhsa_system_sgpr_workgroup_info 0
		.amdhsa_system_vgpr_workitem_id 0
		.amdhsa_next_free_vgpr 8
		.amdhsa_next_free_sgpr 7
		.amdhsa_reserve_vcc 1
		.amdhsa_reserve_flat_scratch 0
		.amdhsa_float_round_mode_32 0
		.amdhsa_float_round_mode_16_64 0
		.amdhsa_float_denorm_mode_32 3
		.amdhsa_float_denorm_mode_16_64 3
		.amdhsa_dx10_clamp 1
		.amdhsa_ieee_mode 1
		.amdhsa_fp16_overflow 0
		.amdhsa_exception_fp_ieee_invalid_op 0
		.amdhsa_exception_fp_denorm_src 0
		.amdhsa_exception_fp_ieee_div_zero 0
		.amdhsa_exception_fp_ieee_overflow 0
		.amdhsa_exception_fp_ieee_underflow 0
		.amdhsa_exception_fp_ieee_inexact 0
		.amdhsa_exception_int_div_zero 0
	.end_amdhsa_kernel
	.section	.text._ZN2at6native27unrolled_elementwise_kernelINS0_11FillFunctorIiEESt5arrayIPcLm1EELi4E23TrivialOffsetCalculatorILi0EjES7_ILi1EjENS0_6memory15LoadWithoutCastENSA_16StoreWithoutCastEEEviT_T0_T2_T3_T4_T5_,"axG",@progbits,_ZN2at6native27unrolled_elementwise_kernelINS0_11FillFunctorIiEESt5arrayIPcLm1EELi4E23TrivialOffsetCalculatorILi0EjES7_ILi1EjENS0_6memory15LoadWithoutCastENSA_16StoreWithoutCastEEEviT_T0_T2_T3_T4_T5_,comdat
.Lfunc_end20:
	.size	_ZN2at6native27unrolled_elementwise_kernelINS0_11FillFunctorIiEESt5arrayIPcLm1EELi4E23TrivialOffsetCalculatorILi0EjES7_ILi1EjENS0_6memory15LoadWithoutCastENSA_16StoreWithoutCastEEEviT_T0_T2_T3_T4_T5_, .Lfunc_end20-_ZN2at6native27unrolled_elementwise_kernelINS0_11FillFunctorIiEESt5arrayIPcLm1EELi4E23TrivialOffsetCalculatorILi0EjES7_ILi1EjENS0_6memory15LoadWithoutCastENSA_16StoreWithoutCastEEEviT_T0_T2_T3_T4_T5_
                                        ; -- End function
	.set _ZN2at6native27unrolled_elementwise_kernelINS0_11FillFunctorIiEESt5arrayIPcLm1EELi4E23TrivialOffsetCalculatorILi0EjES7_ILi1EjENS0_6memory15LoadWithoutCastENSA_16StoreWithoutCastEEEviT_T0_T2_T3_T4_T5_.num_vgpr, 8
	.set _ZN2at6native27unrolled_elementwise_kernelINS0_11FillFunctorIiEESt5arrayIPcLm1EELi4E23TrivialOffsetCalculatorILi0EjES7_ILi1EjENS0_6memory15LoadWithoutCastENSA_16StoreWithoutCastEEEviT_T0_T2_T3_T4_T5_.num_agpr, 0
	.set _ZN2at6native27unrolled_elementwise_kernelINS0_11FillFunctorIiEESt5arrayIPcLm1EELi4E23TrivialOffsetCalculatorILi0EjES7_ILi1EjENS0_6memory15LoadWithoutCastENSA_16StoreWithoutCastEEEviT_T0_T2_T3_T4_T5_.numbered_sgpr, 7
	.set _ZN2at6native27unrolled_elementwise_kernelINS0_11FillFunctorIiEESt5arrayIPcLm1EELi4E23TrivialOffsetCalculatorILi0EjES7_ILi1EjENS0_6memory15LoadWithoutCastENSA_16StoreWithoutCastEEEviT_T0_T2_T3_T4_T5_.num_named_barrier, 0
	.set _ZN2at6native27unrolled_elementwise_kernelINS0_11FillFunctorIiEESt5arrayIPcLm1EELi4E23TrivialOffsetCalculatorILi0EjES7_ILi1EjENS0_6memory15LoadWithoutCastENSA_16StoreWithoutCastEEEviT_T0_T2_T3_T4_T5_.private_seg_size, 0
	.set _ZN2at6native27unrolled_elementwise_kernelINS0_11FillFunctorIiEESt5arrayIPcLm1EELi4E23TrivialOffsetCalculatorILi0EjES7_ILi1EjENS0_6memory15LoadWithoutCastENSA_16StoreWithoutCastEEEviT_T0_T2_T3_T4_T5_.uses_vcc, 1
	.set _ZN2at6native27unrolled_elementwise_kernelINS0_11FillFunctorIiEESt5arrayIPcLm1EELi4E23TrivialOffsetCalculatorILi0EjES7_ILi1EjENS0_6memory15LoadWithoutCastENSA_16StoreWithoutCastEEEviT_T0_T2_T3_T4_T5_.uses_flat_scratch, 0
	.set _ZN2at6native27unrolled_elementwise_kernelINS0_11FillFunctorIiEESt5arrayIPcLm1EELi4E23TrivialOffsetCalculatorILi0EjES7_ILi1EjENS0_6memory15LoadWithoutCastENSA_16StoreWithoutCastEEEviT_T0_T2_T3_T4_T5_.has_dyn_sized_stack, 0
	.set _ZN2at6native27unrolled_elementwise_kernelINS0_11FillFunctorIiEESt5arrayIPcLm1EELi4E23TrivialOffsetCalculatorILi0EjES7_ILi1EjENS0_6memory15LoadWithoutCastENSA_16StoreWithoutCastEEEviT_T0_T2_T3_T4_T5_.has_recursion, 0
	.set _ZN2at6native27unrolled_elementwise_kernelINS0_11FillFunctorIiEESt5arrayIPcLm1EELi4E23TrivialOffsetCalculatorILi0EjES7_ILi1EjENS0_6memory15LoadWithoutCastENSA_16StoreWithoutCastEEEviT_T0_T2_T3_T4_T5_.has_indirect_call, 0
	.section	.AMDGPU.csdata,"",@progbits
; Kernel info:
; codeLenInByte = 388
; TotalNumSgprs: 11
; NumVgprs: 8
; ScratchSize: 0
; MemoryBound: 0
; FloatMode: 240
; IeeeMode: 1
; LDSByteSize: 0 bytes/workgroup (compile time only)
; SGPRBlocks: 1
; VGPRBlocks: 1
; NumSGPRsForWavesPerEU: 11
; NumVGPRsForWavesPerEU: 8
; Occupancy: 10
; WaveLimiterHint : 0
; COMPUTE_PGM_RSRC2:SCRATCH_EN: 0
; COMPUTE_PGM_RSRC2:USER_SGPR: 6
; COMPUTE_PGM_RSRC2:TRAP_HANDLER: 0
; COMPUTE_PGM_RSRC2:TGID_X_EN: 1
; COMPUTE_PGM_RSRC2:TGID_Y_EN: 0
; COMPUTE_PGM_RSRC2:TGID_Z_EN: 0
; COMPUTE_PGM_RSRC2:TIDIG_COMP_CNT: 0
	.section	.text._ZN2at6native32elementwise_kernel_manual_unrollILi128ELi4EZNS0_22gpu_kernel_impl_nocastINS0_11FillFunctorIiEEEEvRNS_18TensorIteratorBaseERKT_EUlibE_EEviT1_,"axG",@progbits,_ZN2at6native32elementwise_kernel_manual_unrollILi128ELi4EZNS0_22gpu_kernel_impl_nocastINS0_11FillFunctorIiEEEEvRNS_18TensorIteratorBaseERKT_EUlibE_EEviT1_,comdat
	.protected	_ZN2at6native32elementwise_kernel_manual_unrollILi128ELi4EZNS0_22gpu_kernel_impl_nocastINS0_11FillFunctorIiEEEEvRNS_18TensorIteratorBaseERKT_EUlibE_EEviT1_ ; -- Begin function _ZN2at6native32elementwise_kernel_manual_unrollILi128ELi4EZNS0_22gpu_kernel_impl_nocastINS0_11FillFunctorIiEEEEvRNS_18TensorIteratorBaseERKT_EUlibE_EEviT1_
	.globl	_ZN2at6native32elementwise_kernel_manual_unrollILi128ELi4EZNS0_22gpu_kernel_impl_nocastINS0_11FillFunctorIiEEEEvRNS_18TensorIteratorBaseERKT_EUlibE_EEviT1_
	.p2align	8
	.type	_ZN2at6native32elementwise_kernel_manual_unrollILi128ELi4EZNS0_22gpu_kernel_impl_nocastINS0_11FillFunctorIiEEEEvRNS_18TensorIteratorBaseERKT_EUlibE_EEviT1_,@function
_ZN2at6native32elementwise_kernel_manual_unrollILi128ELi4EZNS0_22gpu_kernel_impl_nocastINS0_11FillFunctorIiEEEEvRNS_18TensorIteratorBaseERKT_EUlibE_EEviT1_: ; @_ZN2at6native32elementwise_kernel_manual_unrollILi128ELi4EZNS0_22gpu_kernel_impl_nocastINS0_11FillFunctorIiEEEEvRNS_18TensorIteratorBaseERKT_EUlibE_EEviT1_
; %bb.0:
	s_load_dword s48, s[4:5], 0x0
	s_load_dword s33, s[4:5], 0x8
	s_add_u32 s20, s4, 8
	s_addc_u32 s21, s5, 0
	v_lshl_or_b32 v3, s6, 9, v0
	v_or_b32_e32 v5, 0x180, v3
	s_waitcnt lgkmcnt(0)
	s_add_i32 s46, s33, -1
	s_cmp_gt_u32 s46, 1
	v_cmp_le_i32_e32 vcc, s48, v5
	s_cselect_b64 s[22:23], -1, 0
	s_and_saveexec_b64 s[0:1], vcc
	s_xor_b64 s[24:25], exec, s[0:1]
	s_cbranch_execz .LBB21_7
; %bb.1:
	s_load_dwordx4 s[8:11], s[20:21], 0x4
	s_load_dwordx2 s[30:31], s[20:21], 0x14
	s_load_dwordx2 s[28:29], s[20:21], 0xc4
	;; [unrolled: 1-line block ×3, first 2 shown]
	s_load_dword s47, s[20:21], 0x110
	s_cmp_lg_u32 s33, 0
	s_cselect_b64 s[38:39], -1, 0
	s_add_u32 s36, s20, 0xc4
	s_addc_u32 s37, s21, 0
	s_min_u32 s49, s46, 15
	s_cmp_gt_u32 s33, 1
	s_cselect_b64 s[34:35], -1, 0
	v_cmp_gt_i32_e32 vcc, s48, v3
	s_and_saveexec_b64 s[40:41], vcc
	s_cbranch_execz .LBB21_14
; %bb.2:
	s_andn2_b64 vcc, exec, s[22:23]
	s_cbranch_vccnz .LBB21_21
; %bb.3:
	s_andn2_b64 vcc, exec, s[38:39]
	s_cbranch_vccnz .LBB21_73
; %bb.4:
	s_add_i32 s51, s49, 1
	s_cmp_eq_u32 s46, 2
	s_cbranch_scc1 .LBB21_75
; %bb.5:
	s_and_b32 s50, s51, 28
	s_mov_b32 s52, 0
	v_mov_b32_e32 v0, 0
	s_mov_b64 s[42:43], s[20:21]
	s_mov_b64 s[44:45], s[36:37]
	v_mov_b32_e32 v1, v3
.LBB21_6:                               ; =>This Inner Loop Header: Depth=1
	s_load_dwordx8 s[0:7], s[42:43], 0x4
	s_load_dwordx4 s[12:15], s[42:43], 0x24
	s_load_dwordx4 s[16:19], s[44:45], 0x0
	s_add_u32 s42, s42, 48
	s_addc_u32 s43, s43, 0
	s_waitcnt lgkmcnt(0)
	v_mul_hi_u32 v2, s1, v1
	s_add_i32 s52, s52, 4
	s_add_u32 s44, s44, 16
	s_addc_u32 s45, s45, 0
	v_add_u32_e32 v2, v1, v2
	v_lshrrev_b32_e32 v2, s2, v2
	v_mul_lo_u32 v4, v2, s0
	v_mul_hi_u32 v5, s4, v2
	s_cmp_lg_u32 s50, s52
	v_sub_u32_e32 v1, v1, v4
	v_add_u32_e32 v4, v2, v5
	v_lshrrev_b32_e32 v4, s5, v4
	v_mul_lo_u32 v5, v1, s16
	v_mul_hi_u32 v1, s7, v4
	v_mul_lo_u32 v7, v4, s3
	v_add_u32_e32 v1, v4, v1
	v_lshrrev_b32_e32 v6, s12, v1
	v_mul_hi_u32 v1, s14, v6
	v_sub_u32_e32 v2, v2, v7
	v_mul_lo_u32 v7, v6, s6
	v_mul_lo_u32 v2, v2, s17
	v_add_u32_e32 v1, v6, v1
	v_lshrrev_b32_e32 v1, s15, v1
	v_mul_lo_u32 v8, v1, s13
	v_sub_u32_e32 v4, v4, v7
	v_mul_lo_u32 v4, v4, s18
	v_add3_u32 v0, v5, v0, v2
	v_sub_u32_e32 v6, v6, v8
	v_mul_lo_u32 v6, v6, s19
	v_add3_u32 v0, v4, v0, v6
	s_cbranch_scc1 .LBB21_6
	s_branch .LBB21_76
.LBB21_7:
	s_andn2_saveexec_b64 s[0:1], s[24:25]
	s_cbranch_execz .LBB21_101
.LBB21_8:
	v_cndmask_b32_e64 v0, 0, 1, s[22:23]
	v_cmp_ne_u32_e64 s[0:1], 1, v0
	s_andn2_b64 vcc, exec, s[22:23]
	s_cbranch_vccnz .LBB21_20
; %bb.9:
	s_cmp_lg_u32 s33, 0
	s_mov_b32 s24, 0
	s_cbranch_scc0 .LBB21_23
; %bb.10:
	s_min_u32 s25, s46, 15
	s_add_i32 s25, s25, 1
	s_cmp_eq_u32 s46, 2
	s_cbranch_scc1 .LBB21_24
; %bb.11:
	s_and_b32 s24, s25, 28
	s_add_u32 s2, s20, 0xc4
	s_addc_u32 s3, s21, 0
	s_waitcnt lgkmcnt(0)
	s_mov_b32 s26, 0
	v_mov_b32_e32 v0, 0
	s_mov_b64 s[22:23], s[20:21]
	v_mov_b32_e32 v1, v3
.LBB21_12:                              ; =>This Inner Loop Header: Depth=1
	s_load_dwordx8 s[4:11], s[22:23], 0x4
	s_load_dwordx4 s[12:15], s[22:23], 0x24
	s_load_dwordx4 s[16:19], s[2:3], 0x0
	s_add_u32 s22, s22, 48
	s_addc_u32 s23, s23, 0
	s_waitcnt lgkmcnt(0)
	v_mul_hi_u32 v2, s5, v1
	s_add_i32 s26, s26, 4
	s_add_u32 s2, s2, 16
	s_addc_u32 s3, s3, 0
	v_add_u32_e32 v2, v1, v2
	v_lshrrev_b32_e32 v2, s6, v2
	v_mul_lo_u32 v4, v2, s4
	v_mul_hi_u32 v6, s8, v2
	s_cmp_lg_u32 s24, s26
	v_sub_u32_e32 v1, v1, v4
	v_add_u32_e32 v4, v2, v6
	v_lshrrev_b32_e32 v4, s9, v4
	v_mul_lo_u32 v6, v1, s16
	v_mul_hi_u32 v1, s11, v4
	v_mul_lo_u32 v8, v4, s7
	v_add_u32_e32 v1, v4, v1
	v_lshrrev_b32_e32 v7, s12, v1
	v_mul_hi_u32 v1, s14, v7
	v_sub_u32_e32 v2, v2, v8
	v_mul_lo_u32 v8, v7, s10
	v_mul_lo_u32 v2, v2, s17
	v_add_u32_e32 v1, v7, v1
	v_lshrrev_b32_e32 v1, s15, v1
	v_mul_lo_u32 v9, v1, s13
	v_sub_u32_e32 v4, v4, v8
	v_mul_lo_u32 v4, v4, s18
	v_add3_u32 v0, v6, v0, v2
	v_sub_u32_e32 v7, v7, v9
	v_mul_lo_u32 v7, v7, s19
	v_add3_u32 v0, v4, v0, v7
	s_cbranch_scc1 .LBB21_12
; %bb.13:
	s_and_b32 s6, s25, 3
	s_cmp_eq_u32 s6, 0
	s_cbranch_scc0 .LBB21_25
	s_branch .LBB21_27
.LBB21_14:
	s_or_b64 exec, exec, s[40:41]
	v_cmp_gt_i32_e32 vcc, s48, v3
	s_and_saveexec_b64 s[40:41], vcc
	s_cbranch_execz .LBB21_83
.LBB21_15:
	s_andn2_b64 vcc, exec, s[22:23]
	s_cbranch_vccnz .LBB21_22
; %bb.16:
	s_andn2_b64 vcc, exec, s[38:39]
	s_cbranch_vccnz .LBB21_74
; %bb.17:
	s_add_i32 s51, s49, 1
	s_cmp_eq_u32 s46, 2
	s_cbranch_scc1 .LBB21_91
; %bb.18:
	s_and_b32 s50, s51, 28
	s_mov_b32 s52, 0
	v_mov_b32_e32 v0, 0
	s_mov_b64 s[42:43], s[20:21]
	s_mov_b64 s[44:45], s[36:37]
	v_mov_b32_e32 v1, v3
.LBB21_19:                              ; =>This Inner Loop Header: Depth=1
	s_load_dwordx8 s[0:7], s[42:43], 0x4
	s_load_dwordx4 s[12:15], s[42:43], 0x24
	s_load_dwordx4 s[16:19], s[44:45], 0x0
	s_add_u32 s42, s42, 48
	s_addc_u32 s43, s43, 0
	s_waitcnt lgkmcnt(0)
	v_mul_hi_u32 v2, s1, v1
	s_add_i32 s52, s52, 4
	s_add_u32 s44, s44, 16
	s_addc_u32 s45, s45, 0
	v_add_u32_e32 v2, v1, v2
	v_lshrrev_b32_e32 v2, s2, v2
	v_mul_lo_u32 v4, v2, s0
	v_mul_hi_u32 v5, s4, v2
	s_cmp_eq_u32 s50, s52
	v_sub_u32_e32 v1, v1, v4
	v_add_u32_e32 v4, v2, v5
	v_lshrrev_b32_e32 v4, s5, v4
	v_mul_lo_u32 v5, v1, s16
	v_mul_hi_u32 v1, s7, v4
	v_mul_lo_u32 v7, v4, s3
	v_add_u32_e32 v1, v4, v1
	v_lshrrev_b32_e32 v6, s12, v1
	v_mul_hi_u32 v1, s14, v6
	v_sub_u32_e32 v2, v2, v7
	v_mul_lo_u32 v7, v6, s6
	v_mul_lo_u32 v2, v2, s17
	v_add_u32_e32 v1, v6, v1
	v_lshrrev_b32_e32 v1, s15, v1
	v_mul_lo_u32 v8, v1, s13
	v_sub_u32_e32 v4, v4, v7
	v_mul_lo_u32 v4, v4, s18
	v_add3_u32 v0, v5, v0, v2
	v_sub_u32_e32 v6, v6, v8
	v_mul_lo_u32 v6, v6, s19
	v_add3_u32 v0, v4, v0, v6
	s_cbranch_scc0 .LBB21_19
	s_branch .LBB21_92
.LBB21_20:
                                        ; implicit-def: $vgpr0
	s_branch .LBB21_28
.LBB21_21:
                                        ; implicit-def: $vgpr0
	s_branch .LBB21_80
.LBB21_22:
                                        ; implicit-def: $vgpr0
	s_branch .LBB21_96
.LBB21_23:
	v_mov_b32_e32 v0, 0
	s_branch .LBB21_27
.LBB21_24:
	v_mov_b32_e32 v0, 0
	v_mov_b32_e32 v1, v3
	s_and_b32 s6, s25, 3
	s_cmp_eq_u32 s6, 0
	s_cbranch_scc1 .LBB21_27
.LBB21_25:
	s_lshl_b32 s2, s24, 2
	s_add_u32 s2, s20, s2
	s_addc_u32 s3, s21, 0
	s_add_u32 s2, s2, 0xc4
	s_addc_u32 s3, s3, 0
	s_mul_i32 s4, s24, 12
	s_add_u32 s4, s20, s4
	s_addc_u32 s5, s21, 0
.LBB21_26:                              ; =>This Inner Loop Header: Depth=1
	s_waitcnt lgkmcnt(0)
	s_load_dwordx2 s[8:9], s[4:5], 0x4
	s_load_dword s7, s[4:5], 0xc
	s_add_u32 s4, s4, 12
	s_addc_u32 s5, s5, 0
	s_waitcnt lgkmcnt(0)
	v_mul_hi_u32 v2, s9, v1
	s_load_dword s9, s[2:3], 0x0
	s_add_u32 s2, s2, 4
	s_addc_u32 s3, s3, 0
	v_add_u32_e32 v2, v1, v2
	v_lshrrev_b32_e32 v2, s7, v2
	v_mul_lo_u32 v4, v2, s8
	s_add_i32 s6, s6, -1
	s_cmp_lg_u32 s6, 0
	v_sub_u32_e32 v1, v1, v4
	s_waitcnt lgkmcnt(0)
	v_mad_u64_u32 v[0:1], s[8:9], v1, s9, v[0:1]
	v_mov_b32_e32 v1, v2
	s_cbranch_scc1 .LBB21_26
.LBB21_27:
	s_cbranch_execnz .LBB21_30
.LBB21_28:
	s_load_dwordx4 s[4:7], s[20:21], 0x4
	s_load_dword s2, s[20:21], 0xc4
	s_cmp_lt_u32 s33, 2
	s_waitcnt lgkmcnt(0)
	v_mul_hi_u32 v0, s5, v3
	v_add_u32_e32 v0, v3, v0
	v_lshrrev_b32_e32 v1, s6, v0
	v_mul_lo_u32 v0, v1, s4
	v_sub_u32_e32 v0, v3, v0
	v_mul_lo_u32 v0, v0, s2
	s_cbranch_scc1 .LBB21_30
; %bb.29:
	s_load_dwordx4 s[4:7], s[20:21], 0x10
	s_load_dword s2, s[20:21], 0xc8
	s_waitcnt lgkmcnt(0)
	v_mul_hi_u32 v2, s5, v1
	v_add_u32_e32 v2, v1, v2
	v_lshrrev_b32_e32 v2, s6, v2
	v_mul_lo_u32 v2, v2, s4
	v_sub_u32_e32 v1, v1, v2
	v_mad_u64_u32 v[0:1], s[2:3], v1, s2, v[0:1]
.LBB21_30:
	s_and_b64 vcc, exec, s[0:1]
	v_add_u32_e32 v4, 0x80, v3
	s_cbranch_vccnz .LBB21_36
; %bb.31:
	s_cmp_lg_u32 s33, 0
	s_mov_b32 s24, 0
	s_cbranch_scc0 .LBB21_37
; %bb.32:
	s_min_u32 s25, s46, 15
	s_add_i32 s25, s25, 1
	s_cmp_eq_u32 s46, 2
	s_cbranch_scc1 .LBB21_38
; %bb.33:
	s_and_b32 s24, s25, 28
	s_add_u32 s2, s20, 0xc4
	s_addc_u32 s3, s21, 0
	s_waitcnt lgkmcnt(0)
	s_mov_b32 s26, 0
	v_mov_b32_e32 v1, 0
	s_mov_b64 s[22:23], s[20:21]
	v_mov_b32_e32 v2, v4
.LBB21_34:                              ; =>This Inner Loop Header: Depth=1
	s_load_dwordx8 s[4:11], s[22:23], 0x4
	s_load_dwordx4 s[12:15], s[22:23], 0x24
	s_load_dwordx4 s[16:19], s[2:3], 0x0
	s_add_u32 s22, s22, 48
	s_addc_u32 s23, s23, 0
	s_waitcnt lgkmcnt(0)
	v_mul_hi_u32 v6, s5, v2
	s_add_i32 s26, s26, 4
	s_add_u32 s2, s2, 16
	s_addc_u32 s3, s3, 0
	v_add_u32_e32 v6, v2, v6
	v_lshrrev_b32_e32 v6, s6, v6
	v_mul_lo_u32 v7, v6, s4
	v_mul_hi_u32 v8, s8, v6
	s_cmp_lg_u32 s24, s26
	v_sub_u32_e32 v2, v2, v7
	v_add_u32_e32 v7, v6, v8
	v_lshrrev_b32_e32 v7, s9, v7
	v_mul_lo_u32 v8, v2, s16
	v_mul_hi_u32 v2, s11, v7
	v_mul_lo_u32 v10, v7, s7
	v_add_u32_e32 v2, v7, v2
	v_lshrrev_b32_e32 v9, s12, v2
	v_mul_hi_u32 v2, s14, v9
	v_sub_u32_e32 v6, v6, v10
	v_mul_lo_u32 v10, v9, s10
	v_mul_lo_u32 v6, v6, s17
	v_add_u32_e32 v2, v9, v2
	v_lshrrev_b32_e32 v2, s15, v2
	v_mul_lo_u32 v11, v2, s13
	v_sub_u32_e32 v7, v7, v10
	v_mul_lo_u32 v7, v7, s18
	v_add3_u32 v1, v8, v1, v6
	v_sub_u32_e32 v9, v9, v11
	v_mul_lo_u32 v9, v9, s19
	v_add3_u32 v1, v7, v1, v9
	s_cbranch_scc1 .LBB21_34
; %bb.35:
	s_and_b32 s6, s25, 3
	s_cmp_eq_u32 s6, 0
	s_cbranch_scc0 .LBB21_39
	s_branch .LBB21_41
.LBB21_36:
                                        ; implicit-def: $vgpr1
	s_branch .LBB21_42
.LBB21_37:
	v_mov_b32_e32 v1, 0
	s_branch .LBB21_41
.LBB21_38:
	v_mov_b32_e32 v1, 0
	v_mov_b32_e32 v2, v4
	s_and_b32 s6, s25, 3
	s_cmp_eq_u32 s6, 0
	s_cbranch_scc1 .LBB21_41
.LBB21_39:
	s_lshl_b32 s2, s24, 2
	s_add_u32 s2, s20, s2
	s_addc_u32 s3, s21, 0
	s_add_u32 s2, s2, 0xc4
	s_addc_u32 s3, s3, 0
	s_mul_i32 s4, s24, 12
	s_add_u32 s4, s20, s4
	s_addc_u32 s5, s21, 0
.LBB21_40:                              ; =>This Inner Loop Header: Depth=1
	s_waitcnt lgkmcnt(0)
	s_load_dwordx2 s[8:9], s[4:5], 0x4
	s_load_dword s7, s[4:5], 0xc
	s_add_u32 s4, s4, 12
	s_addc_u32 s5, s5, 0
	s_waitcnt lgkmcnt(0)
	v_mul_hi_u32 v6, s9, v2
	s_load_dword s9, s[2:3], 0x0
	s_add_u32 s2, s2, 4
	s_addc_u32 s3, s3, 0
	v_add_u32_e32 v6, v2, v6
	v_lshrrev_b32_e32 v6, s7, v6
	v_mul_lo_u32 v7, v6, s8
	s_add_i32 s6, s6, -1
	s_cmp_lg_u32 s6, 0
	v_sub_u32_e32 v2, v2, v7
	s_waitcnt lgkmcnt(0)
	v_mad_u64_u32 v[1:2], s[8:9], v2, s9, v[1:2]
	v_mov_b32_e32 v2, v6
	s_cbranch_scc1 .LBB21_40
.LBB21_41:
	s_cbranch_execnz .LBB21_44
.LBB21_42:
	s_load_dwordx4 s[4:7], s[20:21], 0x4
	s_load_dword s2, s[20:21], 0xc4
	s_cmp_lt_u32 s33, 2
	s_waitcnt lgkmcnt(0)
	v_mul_hi_u32 v1, s5, v4
	v_add_u32_e32 v1, v4, v1
	v_lshrrev_b32_e32 v2, s6, v1
	v_mul_lo_u32 v1, v2, s4
	v_sub_u32_e32 v1, v4, v1
	v_mul_lo_u32 v1, v1, s2
	s_cbranch_scc1 .LBB21_44
; %bb.43:
	s_load_dwordx4 s[4:7], s[20:21], 0x10
	s_load_dword s2, s[20:21], 0xc8
	s_waitcnt lgkmcnt(0)
	v_mul_hi_u32 v4, s5, v2
	v_add_u32_e32 v4, v2, v4
	v_lshrrev_b32_e32 v4, s6, v4
	v_mul_lo_u32 v4, v4, s4
	v_sub_u32_e32 v2, v2, v4
	v_mad_u64_u32 v[1:2], s[2:3], v2, s2, v[1:2]
.LBB21_44:
	s_and_b64 vcc, exec, s[0:1]
	v_add_u32_e32 v4, 0x100, v3
	s_cbranch_vccnz .LBB21_50
; %bb.45:
	s_cmp_lg_u32 s33, 0
	s_mov_b32 s24, 0
	s_cbranch_scc0 .LBB21_51
; %bb.46:
	s_min_u32 s25, s46, 15
	s_add_i32 s25, s25, 1
	s_cmp_eq_u32 s46, 2
	s_cbranch_scc1 .LBB21_52
; %bb.47:
	s_and_b32 s24, s25, 28
	s_add_u32 s2, s20, 0xc4
	s_addc_u32 s3, s21, 0
	s_waitcnt lgkmcnt(0)
	s_mov_b32 s26, 0
	v_mov_b32_e32 v2, 0
	s_mov_b64 s[22:23], s[20:21]
	v_mov_b32_e32 v3, v4
.LBB21_48:                              ; =>This Inner Loop Header: Depth=1
	s_load_dwordx8 s[4:11], s[22:23], 0x4
	s_load_dwordx4 s[12:15], s[22:23], 0x24
	s_load_dwordx4 s[16:19], s[2:3], 0x0
	s_add_u32 s22, s22, 48
	s_addc_u32 s23, s23, 0
	s_waitcnt lgkmcnt(0)
	v_mul_hi_u32 v6, s5, v3
	s_add_i32 s26, s26, 4
	s_add_u32 s2, s2, 16
	s_addc_u32 s3, s3, 0
	v_add_u32_e32 v6, v3, v6
	v_lshrrev_b32_e32 v6, s6, v6
	v_mul_lo_u32 v7, v6, s4
	v_mul_hi_u32 v8, s8, v6
	s_cmp_lg_u32 s24, s26
	v_sub_u32_e32 v3, v3, v7
	v_add_u32_e32 v7, v6, v8
	v_lshrrev_b32_e32 v7, s9, v7
	v_mul_lo_u32 v8, v3, s16
	v_mul_hi_u32 v3, s11, v7
	v_mul_lo_u32 v10, v7, s7
	v_add_u32_e32 v3, v7, v3
	v_lshrrev_b32_e32 v9, s12, v3
	v_mul_hi_u32 v3, s14, v9
	v_sub_u32_e32 v6, v6, v10
	v_mul_lo_u32 v10, v9, s10
	v_mul_lo_u32 v6, v6, s17
	v_add_u32_e32 v3, v9, v3
	v_lshrrev_b32_e32 v3, s15, v3
	v_mul_lo_u32 v11, v3, s13
	v_sub_u32_e32 v7, v7, v10
	v_mul_lo_u32 v7, v7, s18
	v_add3_u32 v2, v8, v2, v6
	v_sub_u32_e32 v9, v9, v11
	v_mul_lo_u32 v9, v9, s19
	v_add3_u32 v2, v7, v2, v9
	s_cbranch_scc1 .LBB21_48
; %bb.49:
	s_and_b32 s6, s25, 3
	s_cmp_eq_u32 s6, 0
	s_cbranch_scc0 .LBB21_53
	s_branch .LBB21_55
.LBB21_50:
                                        ; implicit-def: $vgpr2
	s_branch .LBB21_56
.LBB21_51:
	v_mov_b32_e32 v2, 0
	s_branch .LBB21_55
.LBB21_52:
	v_mov_b32_e32 v2, 0
	v_mov_b32_e32 v3, v4
	s_and_b32 s6, s25, 3
	s_cmp_eq_u32 s6, 0
	s_cbranch_scc1 .LBB21_55
.LBB21_53:
	s_lshl_b32 s2, s24, 2
	s_add_u32 s2, s20, s2
	s_addc_u32 s3, s21, 0
	s_add_u32 s2, s2, 0xc4
	s_addc_u32 s3, s3, 0
	s_mul_i32 s4, s24, 12
	s_add_u32 s4, s20, s4
	s_addc_u32 s5, s21, 0
.LBB21_54:                              ; =>This Inner Loop Header: Depth=1
	s_waitcnt lgkmcnt(0)
	s_load_dwordx2 s[8:9], s[4:5], 0x4
	s_load_dword s7, s[4:5], 0xc
	s_add_u32 s4, s4, 12
	s_addc_u32 s5, s5, 0
	s_waitcnt lgkmcnt(0)
	v_mul_hi_u32 v6, s9, v3
	s_load_dword s9, s[2:3], 0x0
	s_add_u32 s2, s2, 4
	s_addc_u32 s3, s3, 0
	v_add_u32_e32 v6, v3, v6
	v_lshrrev_b32_e32 v6, s7, v6
	v_mul_lo_u32 v7, v6, s8
	s_add_i32 s6, s6, -1
	s_cmp_lg_u32 s6, 0
	v_sub_u32_e32 v3, v3, v7
	s_waitcnt lgkmcnt(0)
	v_mad_u64_u32 v[2:3], s[8:9], v3, s9, v[2:3]
	v_mov_b32_e32 v3, v6
	s_cbranch_scc1 .LBB21_54
.LBB21_55:
	s_cbranch_execnz .LBB21_58
.LBB21_56:
	s_load_dwordx4 s[4:7], s[20:21], 0x4
	s_load_dword s2, s[20:21], 0xc4
	s_cmp_lt_u32 s33, 2
	s_waitcnt lgkmcnt(0)
	v_mul_hi_u32 v2, s5, v4
	v_add_u32_e32 v2, v4, v2
	v_lshrrev_b32_e32 v3, s6, v2
	v_mul_lo_u32 v2, v3, s4
	v_sub_u32_e32 v2, v4, v2
	v_mul_lo_u32 v2, v2, s2
	s_cbranch_scc1 .LBB21_58
; %bb.57:
	s_load_dwordx4 s[4:7], s[20:21], 0x10
	s_load_dword s2, s[20:21], 0xc8
	s_waitcnt lgkmcnt(0)
	v_mul_hi_u32 v4, s5, v3
	v_add_u32_e32 v4, v3, v4
	v_lshrrev_b32_e32 v4, s6, v4
	v_mul_lo_u32 v4, v4, s4
	v_sub_u32_e32 v3, v3, v4
	v_mad_u64_u32 v[2:3], s[2:3], v3, s2, v[2:3]
.LBB21_58:
	s_and_b64 vcc, exec, s[0:1]
	s_cbranch_vccnz .LBB21_64
; %bb.59:
	s_cmp_lg_u32 s33, 0
	s_mov_b32 s22, 0
	s_cbranch_scc0 .LBB21_65
; %bb.60:
	s_min_u32 s23, s46, 15
	s_add_i32 s23, s23, 1
	s_cmp_eq_u32 s46, 2
	s_cbranch_scc1 .LBB21_66
; %bb.61:
	s_and_b32 s22, s23, 28
	s_add_u32 s16, s20, 0xc4
	s_addc_u32 s17, s21, 0
	s_mov_b32 s24, 0
	v_mov_b32_e32 v3, 0
	s_mov_b64 s[18:19], s[20:21]
	v_mov_b32_e32 v4, v5
.LBB21_62:                              ; =>This Inner Loop Header: Depth=1
	s_load_dwordx8 s[0:7], s[18:19], 0x4
	s_waitcnt lgkmcnt(0)
	s_load_dwordx4 s[8:11], s[18:19], 0x24
	s_load_dwordx4 s[12:15], s[16:17], 0x0
	s_add_u32 s18, s18, 48
	s_addc_u32 s19, s19, 0
	v_mul_hi_u32 v6, s1, v4
	s_add_i32 s24, s24, 4
	s_add_u32 s16, s16, 16
	s_addc_u32 s17, s17, 0
	v_add_u32_e32 v6, v4, v6
	v_lshrrev_b32_e32 v6, s2, v6
	v_mul_lo_u32 v7, v6, s0
	v_mul_hi_u32 v8, s4, v6
	s_cmp_lg_u32 s22, s24
	v_sub_u32_e32 v4, v4, v7
	v_add_u32_e32 v7, v6, v8
	v_lshrrev_b32_e32 v7, s5, v7
	s_waitcnt lgkmcnt(0)
	v_mul_lo_u32 v8, v4, s12
	v_mul_hi_u32 v4, s7, v7
	v_mul_lo_u32 v10, v7, s3
	v_add_u32_e32 v4, v7, v4
	v_lshrrev_b32_e32 v9, s8, v4
	v_mul_hi_u32 v4, s10, v9
	v_sub_u32_e32 v6, v6, v10
	v_mul_lo_u32 v10, v9, s6
	v_mul_lo_u32 v6, v6, s13
	v_add_u32_e32 v4, v9, v4
	v_lshrrev_b32_e32 v4, s11, v4
	v_mul_lo_u32 v11, v4, s9
	v_sub_u32_e32 v7, v7, v10
	v_mul_lo_u32 v7, v7, s14
	v_add3_u32 v3, v8, v3, v6
	v_sub_u32_e32 v9, v9, v11
	v_mul_lo_u32 v9, v9, s15
	v_add3_u32 v3, v7, v3, v9
	s_cbranch_scc1 .LBB21_62
; %bb.63:
	s_and_b32 s4, s23, 3
	s_cmp_eq_u32 s4, 0
	s_cbranch_scc0 .LBB21_67
	s_branch .LBB21_69
.LBB21_64:
                                        ; implicit-def: $vgpr3
	s_branch .LBB21_70
.LBB21_65:
	v_mov_b32_e32 v3, 0
	s_branch .LBB21_69
.LBB21_66:
	v_mov_b32_e32 v3, 0
	v_mov_b32_e32 v4, v5
	s_and_b32 s4, s23, 3
	s_cmp_eq_u32 s4, 0
	s_cbranch_scc1 .LBB21_69
.LBB21_67:
	s_lshl_b32 s0, s22, 2
	s_add_u32 s0, s20, s0
	s_addc_u32 s1, s21, 0
	s_add_u32 s0, s0, 0xc4
	s_addc_u32 s1, s1, 0
	s_mul_i32 s2, s22, 12
	s_add_u32 s2, s20, s2
	s_addc_u32 s3, s21, 0
.LBB21_68:                              ; =>This Inner Loop Header: Depth=1
	s_load_dwordx2 s[6:7], s[2:3], 0x4
	s_load_dword s5, s[2:3], 0xc
	s_add_u32 s2, s2, 12
	s_addc_u32 s3, s3, 0
	s_waitcnt lgkmcnt(0)
	v_mul_hi_u32 v6, s7, v4
	s_load_dword s7, s[0:1], 0x0
	s_add_u32 s0, s0, 4
	s_addc_u32 s1, s1, 0
	v_add_u32_e32 v6, v4, v6
	v_lshrrev_b32_e32 v6, s5, v6
	v_mul_lo_u32 v7, v6, s6
	s_add_i32 s4, s4, -1
	s_cmp_lg_u32 s4, 0
	v_sub_u32_e32 v4, v4, v7
	s_waitcnt lgkmcnt(0)
	v_mad_u64_u32 v[3:4], s[6:7], v4, s7, v[3:4]
	v_mov_b32_e32 v4, v6
	s_cbranch_scc1 .LBB21_68
.LBB21_69:
	s_cbranch_execnz .LBB21_72
.LBB21_70:
	s_load_dwordx4 s[0:3], s[20:21], 0x4
	s_waitcnt lgkmcnt(0)
	s_load_dword s3, s[20:21], 0xc4
	s_cmp_lt_u32 s33, 2
	v_mul_hi_u32 v3, s1, v5
	v_add_u32_e32 v3, v5, v3
	v_lshrrev_b32_e32 v4, s2, v3
	v_mul_lo_u32 v3, v4, s0
	v_sub_u32_e32 v3, v5, v3
	s_waitcnt lgkmcnt(0)
	v_mul_lo_u32 v3, v3, s3
	s_cbranch_scc1 .LBB21_72
; %bb.71:
	s_load_dwordx4 s[0:3], s[20:21], 0x10
	s_waitcnt lgkmcnt(0)
	s_load_dword s3, s[20:21], 0xc8
	v_mul_hi_u32 v5, s1, v4
	v_add_u32_e32 v5, v4, v5
	v_lshrrev_b32_e32 v5, s2, v5
	v_mul_lo_u32 v5, v5, s0
	v_sub_u32_e32 v4, v4, v5
	s_waitcnt lgkmcnt(0)
	v_mad_u64_u32 v[3:4], s[0:1], v4, s3, v[3:4]
.LBB21_72:
	s_load_dword s2, s[20:21], 0x110
	s_load_dwordx2 s[0:1], s[20:21], 0x108
	s_waitcnt lgkmcnt(0)
	v_mov_b32_e32 v4, s2
	s_nop 0
	global_store_dword v0, v4, s[0:1]
	global_store_dword v1, v4, s[0:1]
	global_store_dword v2, v4, s[0:1]
	global_store_dword v3, v4, s[0:1]
	s_endpgm
.LBB21_73:
	v_mov_b32_e32 v0, 0
	s_branch .LBB21_79
.LBB21_74:
	v_mov_b32_e32 v0, 0
	s_branch .LBB21_95
.LBB21_75:
	v_mov_b32_e32 v0, 0
	s_mov_b32 s50, 0
	v_mov_b32_e32 v1, v3
.LBB21_76:
	s_and_b32 s4, s51, 3
	s_cmp_eq_u32 s4, 0
	s_cbranch_scc1 .LBB21_79
; %bb.77:
	s_lshl_b32 s0, s50, 2
	s_add_u32 s0, s20, s0
	s_addc_u32 s1, s21, 0
	s_add_u32 s0, s0, 0xc4
	s_addc_u32 s1, s1, 0
	s_mul_i32 s2, s50, 12
	s_add_u32 s2, s20, s2
	s_addc_u32 s3, s21, 0
.LBB21_78:                              ; =>This Inner Loop Header: Depth=1
	s_load_dwordx2 s[6:7], s[2:3], 0x4
	s_load_dword s5, s[2:3], 0xc
	s_add_u32 s2, s2, 12
	s_addc_u32 s3, s3, 0
	s_waitcnt lgkmcnt(0)
	v_mul_hi_u32 v2, s7, v1
	s_load_dword s7, s[0:1], 0x0
	s_add_u32 s0, s0, 4
	s_addc_u32 s1, s1, 0
	v_add_u32_e32 v2, v1, v2
	v_lshrrev_b32_e32 v2, s5, v2
	v_mul_lo_u32 v4, v2, s6
	s_add_i32 s4, s4, -1
	s_cmp_lg_u32 s4, 0
	v_sub_u32_e32 v1, v1, v4
	s_waitcnt lgkmcnt(0)
	v_mad_u64_u32 v[0:1], s[6:7], v1, s7, v[0:1]
	v_mov_b32_e32 v1, v2
	s_cbranch_scc1 .LBB21_78
.LBB21_79:
	s_cbranch_execnz .LBB21_82
.LBB21_80:
	s_waitcnt lgkmcnt(0)
	v_mul_hi_u32 v0, s9, v3
	s_andn2_b64 vcc, exec, s[34:35]
	v_add_u32_e32 v0, v3, v0
	v_lshrrev_b32_e32 v1, s10, v0
	v_mul_lo_u32 v0, v1, s8
	v_sub_u32_e32 v0, v3, v0
	v_mul_lo_u32 v0, v0, s28
	s_cbranch_vccnz .LBB21_82
; %bb.81:
	v_mul_hi_u32 v2, s30, v1
	v_add_u32_e32 v2, v1, v2
	v_lshrrev_b32_e32 v2, s31, v2
	v_mul_lo_u32 v2, v2, s11
	v_sub_u32_e32 v1, v1, v2
	v_mad_u64_u32 v[0:1], s[0:1], v1, s29, v[0:1]
.LBB21_82:
	s_waitcnt lgkmcnt(0)
	v_mov_b32_e32 v1, s47
	v_add_u32_e32 v3, 0x80, v3
	global_store_dword v0, v1, s[26:27]
	s_or_b64 exec, exec, s[40:41]
	v_cmp_gt_i32_e32 vcc, s48, v3
	s_and_saveexec_b64 s[40:41], vcc
	s_cbranch_execnz .LBB21_15
.LBB21_83:
	s_or_b64 exec, exec, s[40:41]
	v_cmp_gt_i32_e32 vcc, s48, v3
	s_and_saveexec_b64 s[40:41], vcc
	s_cbranch_execz .LBB21_99
.LBB21_84:
	s_andn2_b64 vcc, exec, s[22:23]
	s_cbranch_vccnz .LBB21_89
; %bb.85:
	s_andn2_b64 vcc, exec, s[38:39]
	s_cbranch_vccnz .LBB21_90
; %bb.86:
	s_add_i32 s51, s49, 1
	s_cmp_eq_u32 s46, 2
	s_cbranch_scc1 .LBB21_102
; %bb.87:
	s_and_b32 s50, s51, 28
	s_mov_b32 s52, 0
	v_mov_b32_e32 v0, 0
	s_mov_b64 s[42:43], s[20:21]
	s_mov_b64 s[44:45], s[36:37]
	v_mov_b32_e32 v1, v3
.LBB21_88:                              ; =>This Inner Loop Header: Depth=1
	s_load_dwordx8 s[0:7], s[42:43], 0x4
	s_load_dwordx4 s[12:15], s[42:43], 0x24
	s_load_dwordx4 s[16:19], s[44:45], 0x0
	s_add_u32 s42, s42, 48
	s_addc_u32 s43, s43, 0
	s_waitcnt lgkmcnt(0)
	v_mul_hi_u32 v2, s1, v1
	s_add_i32 s52, s52, 4
	s_add_u32 s44, s44, 16
	s_addc_u32 s45, s45, 0
	v_add_u32_e32 v2, v1, v2
	v_lshrrev_b32_e32 v2, s2, v2
	v_mul_lo_u32 v4, v2, s0
	v_mul_hi_u32 v5, s4, v2
	s_cmp_eq_u32 s50, s52
	v_sub_u32_e32 v1, v1, v4
	v_add_u32_e32 v4, v2, v5
	v_lshrrev_b32_e32 v4, s5, v4
	v_mul_lo_u32 v5, v1, s16
	v_mul_hi_u32 v1, s7, v4
	v_mul_lo_u32 v7, v4, s3
	v_add_u32_e32 v1, v4, v1
	v_lshrrev_b32_e32 v6, s12, v1
	v_mul_hi_u32 v1, s14, v6
	v_sub_u32_e32 v2, v2, v7
	v_mul_lo_u32 v7, v6, s6
	v_mul_lo_u32 v2, v2, s17
	v_add_u32_e32 v1, v6, v1
	v_lshrrev_b32_e32 v1, s15, v1
	v_mul_lo_u32 v8, v1, s13
	v_sub_u32_e32 v4, v4, v7
	v_mul_lo_u32 v4, v4, s18
	v_add3_u32 v0, v5, v0, v2
	v_sub_u32_e32 v6, v6, v8
	v_mul_lo_u32 v6, v6, s19
	v_add3_u32 v0, v4, v0, v6
	s_cbranch_scc0 .LBB21_88
	s_branch .LBB21_103
.LBB21_89:
                                        ; implicit-def: $vgpr0
	s_branch .LBB21_107
.LBB21_90:
	v_mov_b32_e32 v0, 0
	s_branch .LBB21_106
.LBB21_91:
	v_mov_b32_e32 v0, 0
	s_mov_b32 s50, 0
	v_mov_b32_e32 v1, v3
.LBB21_92:
	s_and_b32 s4, s51, 3
	s_cmp_eq_u32 s4, 0
	s_cbranch_scc1 .LBB21_95
; %bb.93:
	s_lshl_b32 s0, s50, 2
	s_add_u32 s0, s20, s0
	s_addc_u32 s1, s21, 0
	s_add_u32 s0, s0, 0xc4
	s_addc_u32 s1, s1, 0
	s_mul_i32 s2, s50, 12
	s_add_u32 s2, s20, s2
	s_addc_u32 s3, s21, 0
.LBB21_94:                              ; =>This Inner Loop Header: Depth=1
	s_load_dwordx2 s[6:7], s[2:3], 0x4
	s_load_dword s5, s[2:3], 0xc
	s_add_u32 s2, s2, 12
	s_addc_u32 s3, s3, 0
	s_waitcnt lgkmcnt(0)
	v_mul_hi_u32 v2, s7, v1
	s_load_dword s7, s[0:1], 0x0
	s_add_u32 s0, s0, 4
	s_addc_u32 s1, s1, 0
	v_add_u32_e32 v2, v1, v2
	v_lshrrev_b32_e32 v2, s5, v2
	v_mul_lo_u32 v4, v2, s6
	s_add_i32 s4, s4, -1
	s_cmp_lg_u32 s4, 0
	v_sub_u32_e32 v1, v1, v4
	s_waitcnt lgkmcnt(0)
	v_mad_u64_u32 v[0:1], s[6:7], v1, s7, v[0:1]
	v_mov_b32_e32 v1, v2
	s_cbranch_scc1 .LBB21_94
.LBB21_95:
	s_cbranch_execnz .LBB21_98
.LBB21_96:
	s_waitcnt lgkmcnt(0)
	v_mul_hi_u32 v0, s9, v3
	s_andn2_b64 vcc, exec, s[34:35]
	v_add_u32_e32 v0, v3, v0
	v_lshrrev_b32_e32 v1, s10, v0
	v_mul_lo_u32 v0, v1, s8
	v_sub_u32_e32 v0, v3, v0
	v_mul_lo_u32 v0, v0, s28
	s_cbranch_vccnz .LBB21_98
; %bb.97:
	v_mul_hi_u32 v2, s30, v1
	v_add_u32_e32 v2, v1, v2
	v_lshrrev_b32_e32 v2, s31, v2
	v_mul_lo_u32 v2, v2, s11
	v_sub_u32_e32 v1, v1, v2
	v_mad_u64_u32 v[0:1], s[0:1], v1, s29, v[0:1]
.LBB21_98:
	s_waitcnt lgkmcnt(0)
	v_mov_b32_e32 v1, s47
	v_add_u32_e32 v3, 0x80, v3
	global_store_dword v0, v1, s[26:27]
	s_or_b64 exec, exec, s[40:41]
	v_cmp_gt_i32_e32 vcc, s48, v3
	s_and_saveexec_b64 s[40:41], vcc
	s_cbranch_execnz .LBB21_84
.LBB21_99:
	s_or_b64 exec, exec, s[40:41]
	v_cmp_gt_i32_e32 vcc, s48, v3
	s_and_saveexec_b64 s[40:41], vcc
	s_cbranch_execnz .LBB21_110
.LBB21_100:
	s_or_b64 exec, exec, s[40:41]
                                        ; implicit-def: $vgpr5
                                        ; implicit-def: $vgpr3
	s_andn2_saveexec_b64 s[0:1], s[24:25]
	s_cbranch_execnz .LBB21_8
.LBB21_101:
	s_endpgm
.LBB21_102:
	v_mov_b32_e32 v0, 0
	s_mov_b32 s50, 0
	v_mov_b32_e32 v1, v3
.LBB21_103:
	s_and_b32 s4, s51, 3
	s_cmp_eq_u32 s4, 0
	s_cbranch_scc1 .LBB21_106
; %bb.104:
	s_lshl_b32 s0, s50, 2
	s_add_u32 s0, s20, s0
	s_addc_u32 s1, s21, 0
	s_add_u32 s0, s0, 0xc4
	s_addc_u32 s1, s1, 0
	s_mul_i32 s2, s50, 12
	s_add_u32 s2, s20, s2
	s_addc_u32 s3, s21, 0
.LBB21_105:                             ; =>This Inner Loop Header: Depth=1
	s_load_dwordx2 s[6:7], s[2:3], 0x4
	s_load_dword s5, s[2:3], 0xc
	s_add_u32 s2, s2, 12
	s_addc_u32 s3, s3, 0
	s_waitcnt lgkmcnt(0)
	v_mul_hi_u32 v2, s7, v1
	s_load_dword s7, s[0:1], 0x0
	s_add_u32 s0, s0, 4
	s_addc_u32 s1, s1, 0
	v_add_u32_e32 v2, v1, v2
	v_lshrrev_b32_e32 v2, s5, v2
	v_mul_lo_u32 v4, v2, s6
	s_add_i32 s4, s4, -1
	s_cmp_lg_u32 s4, 0
	v_sub_u32_e32 v1, v1, v4
	s_waitcnt lgkmcnt(0)
	v_mad_u64_u32 v[0:1], s[6:7], v1, s7, v[0:1]
	v_mov_b32_e32 v1, v2
	s_cbranch_scc1 .LBB21_105
.LBB21_106:
	s_cbranch_execnz .LBB21_109
.LBB21_107:
	s_waitcnt lgkmcnt(0)
	v_mul_hi_u32 v0, s9, v3
	s_andn2_b64 vcc, exec, s[34:35]
	v_add_u32_e32 v0, v3, v0
	v_lshrrev_b32_e32 v1, s10, v0
	v_mul_lo_u32 v0, v1, s8
	v_sub_u32_e32 v0, v3, v0
	v_mul_lo_u32 v0, v0, s28
	s_cbranch_vccnz .LBB21_109
; %bb.108:
	v_mul_hi_u32 v2, s30, v1
	v_add_u32_e32 v2, v1, v2
	v_lshrrev_b32_e32 v2, s31, v2
	v_mul_lo_u32 v2, v2, s11
	v_sub_u32_e32 v1, v1, v2
	v_mad_u64_u32 v[0:1], s[0:1], v1, s29, v[0:1]
.LBB21_109:
	s_waitcnt lgkmcnt(0)
	v_mov_b32_e32 v1, s47
	v_add_u32_e32 v3, 0x80, v3
	global_store_dword v0, v1, s[26:27]
	s_or_b64 exec, exec, s[40:41]
	v_cmp_gt_i32_e32 vcc, s48, v3
	s_and_saveexec_b64 s[40:41], vcc
	s_cbranch_execz .LBB21_100
.LBB21_110:
	s_andn2_b64 vcc, exec, s[22:23]
	s_cbranch_vccnz .LBB21_115
; %bb.111:
	s_andn2_b64 vcc, exec, s[38:39]
	s_cbranch_vccnz .LBB21_116
; %bb.112:
	s_add_i32 s49, s49, 1
	s_cmp_eq_u32 s46, 2
	s_cbranch_scc1 .LBB21_117
; %bb.113:
	s_and_b32 s42, s49, 28
	s_mov_b32 s43, 0
	v_mov_b32_e32 v0, 0
	s_mov_b64 s[38:39], s[20:21]
	v_mov_b32_e32 v1, v3
.LBB21_114:                             ; =>This Inner Loop Header: Depth=1
	s_load_dwordx8 s[0:7], s[38:39], 0x4
	s_load_dwordx4 s[12:15], s[38:39], 0x24
	s_load_dwordx4 s[16:19], s[36:37], 0x0
	s_add_u32 s38, s38, 48
	s_addc_u32 s39, s39, 0
	s_waitcnt lgkmcnt(0)
	v_mul_hi_u32 v2, s1, v1
	s_add_i32 s43, s43, 4
	s_add_u32 s36, s36, 16
	s_addc_u32 s37, s37, 0
	v_add_u32_e32 v2, v1, v2
	v_lshrrev_b32_e32 v2, s2, v2
	v_mul_lo_u32 v4, v2, s0
	v_mul_hi_u32 v5, s4, v2
	s_cmp_eq_u32 s42, s43
	v_sub_u32_e32 v1, v1, v4
	v_add_u32_e32 v4, v2, v5
	v_lshrrev_b32_e32 v4, s5, v4
	v_mul_lo_u32 v5, v1, s16
	v_mul_hi_u32 v1, s7, v4
	v_mul_lo_u32 v7, v4, s3
	v_add_u32_e32 v1, v4, v1
	v_lshrrev_b32_e32 v6, s12, v1
	v_mul_hi_u32 v1, s14, v6
	v_sub_u32_e32 v2, v2, v7
	v_mul_lo_u32 v7, v6, s6
	v_mul_lo_u32 v2, v2, s17
	v_add_u32_e32 v1, v6, v1
	v_lshrrev_b32_e32 v1, s15, v1
	v_mul_lo_u32 v8, v1, s13
	v_sub_u32_e32 v4, v4, v7
	v_mul_lo_u32 v4, v4, s18
	v_add3_u32 v0, v5, v0, v2
	v_sub_u32_e32 v6, v6, v8
	v_mul_lo_u32 v6, v6, s19
	v_add3_u32 v0, v4, v0, v6
	s_cbranch_scc0 .LBB21_114
	s_branch .LBB21_118
.LBB21_115:
                                        ; implicit-def: $vgpr0
	s_branch .LBB21_122
.LBB21_116:
	v_mov_b32_e32 v0, 0
	s_branch .LBB21_121
.LBB21_117:
	v_mov_b32_e32 v0, 0
	s_mov_b32 s42, 0
	v_mov_b32_e32 v1, v3
.LBB21_118:
	s_and_b32 s4, s49, 3
	s_cmp_eq_u32 s4, 0
	s_cbranch_scc1 .LBB21_121
; %bb.119:
	s_lshl_b32 s0, s42, 2
	s_add_u32 s0, s20, s0
	s_addc_u32 s1, s21, 0
	s_add_u32 s0, s0, 0xc4
	s_addc_u32 s1, s1, 0
	s_mul_i32 s2, s42, 12
	s_add_u32 s2, s20, s2
	s_addc_u32 s3, s21, 0
.LBB21_120:                             ; =>This Inner Loop Header: Depth=1
	s_load_dwordx2 s[6:7], s[2:3], 0x4
	s_load_dword s5, s[2:3], 0xc
	s_add_u32 s2, s2, 12
	s_addc_u32 s3, s3, 0
	s_waitcnt lgkmcnt(0)
	v_mul_hi_u32 v2, s7, v1
	s_load_dword s7, s[0:1], 0x0
	s_add_u32 s0, s0, 4
	s_addc_u32 s1, s1, 0
	v_add_u32_e32 v2, v1, v2
	v_lshrrev_b32_e32 v2, s5, v2
	v_mul_lo_u32 v4, v2, s6
	s_add_i32 s4, s4, -1
	s_cmp_lg_u32 s4, 0
	v_sub_u32_e32 v1, v1, v4
	s_waitcnt lgkmcnt(0)
	v_mad_u64_u32 v[0:1], s[6:7], v1, s7, v[0:1]
	v_mov_b32_e32 v1, v2
	s_cbranch_scc1 .LBB21_120
.LBB21_121:
	s_cbranch_execnz .LBB21_124
.LBB21_122:
	s_waitcnt lgkmcnt(0)
	v_mul_hi_u32 v0, s9, v3
	s_andn2_b64 vcc, exec, s[34:35]
	v_add_u32_e32 v0, v3, v0
	v_lshrrev_b32_e32 v1, s10, v0
	v_mul_lo_u32 v0, v1, s8
	v_sub_u32_e32 v0, v3, v0
	v_mul_lo_u32 v0, v0, s28
	s_cbranch_vccnz .LBB21_124
; %bb.123:
	v_mul_hi_u32 v2, s30, v1
	v_add_u32_e32 v2, v1, v2
	v_lshrrev_b32_e32 v2, s31, v2
	v_mul_lo_u32 v2, v2, s11
	v_sub_u32_e32 v1, v1, v2
	v_mad_u64_u32 v[0:1], s[0:1], v1, s29, v[0:1]
.LBB21_124:
	s_waitcnt lgkmcnt(0)
	v_mov_b32_e32 v1, s47
	global_store_dword v0, v1, s[26:27]
	s_or_b64 exec, exec, s[40:41]
                                        ; implicit-def: $vgpr5
                                        ; implicit-def: $vgpr3
	s_andn2_saveexec_b64 s[0:1], s[24:25]
	s_cbranch_execz .LBB21_101
	s_branch .LBB21_8
	.section	.rodata,"a",@progbits
	.p2align	6, 0x0
	.amdhsa_kernel _ZN2at6native32elementwise_kernel_manual_unrollILi128ELi4EZNS0_22gpu_kernel_impl_nocastINS0_11FillFunctorIiEEEEvRNS_18TensorIteratorBaseERKT_EUlibE_EEviT1_
		.amdhsa_group_segment_fixed_size 0
		.amdhsa_private_segment_fixed_size 0
		.amdhsa_kernarg_size 288
		.amdhsa_user_sgpr_count 6
		.amdhsa_user_sgpr_private_segment_buffer 1
		.amdhsa_user_sgpr_dispatch_ptr 0
		.amdhsa_user_sgpr_queue_ptr 0
		.amdhsa_user_sgpr_kernarg_segment_ptr 1
		.amdhsa_user_sgpr_dispatch_id 0
		.amdhsa_user_sgpr_flat_scratch_init 0
		.amdhsa_user_sgpr_private_segment_size 0
		.amdhsa_uses_dynamic_stack 0
		.amdhsa_system_sgpr_private_segment_wavefront_offset 0
		.amdhsa_system_sgpr_workgroup_id_x 1
		.amdhsa_system_sgpr_workgroup_id_y 0
		.amdhsa_system_sgpr_workgroup_id_z 0
		.amdhsa_system_sgpr_workgroup_info 0
		.amdhsa_system_vgpr_workitem_id 0
		.amdhsa_next_free_vgpr 12
		.amdhsa_next_free_sgpr 53
		.amdhsa_reserve_vcc 1
		.amdhsa_reserve_flat_scratch 0
		.amdhsa_float_round_mode_32 0
		.amdhsa_float_round_mode_16_64 0
		.amdhsa_float_denorm_mode_32 3
		.amdhsa_float_denorm_mode_16_64 3
		.amdhsa_dx10_clamp 1
		.amdhsa_ieee_mode 1
		.amdhsa_fp16_overflow 0
		.amdhsa_exception_fp_ieee_invalid_op 0
		.amdhsa_exception_fp_denorm_src 0
		.amdhsa_exception_fp_ieee_div_zero 0
		.amdhsa_exception_fp_ieee_overflow 0
		.amdhsa_exception_fp_ieee_underflow 0
		.amdhsa_exception_fp_ieee_inexact 0
		.amdhsa_exception_int_div_zero 0
	.end_amdhsa_kernel
	.section	.text._ZN2at6native32elementwise_kernel_manual_unrollILi128ELi4EZNS0_22gpu_kernel_impl_nocastINS0_11FillFunctorIiEEEEvRNS_18TensorIteratorBaseERKT_EUlibE_EEviT1_,"axG",@progbits,_ZN2at6native32elementwise_kernel_manual_unrollILi128ELi4EZNS0_22gpu_kernel_impl_nocastINS0_11FillFunctorIiEEEEvRNS_18TensorIteratorBaseERKT_EUlibE_EEviT1_,comdat
.Lfunc_end21:
	.size	_ZN2at6native32elementwise_kernel_manual_unrollILi128ELi4EZNS0_22gpu_kernel_impl_nocastINS0_11FillFunctorIiEEEEvRNS_18TensorIteratorBaseERKT_EUlibE_EEviT1_, .Lfunc_end21-_ZN2at6native32elementwise_kernel_manual_unrollILi128ELi4EZNS0_22gpu_kernel_impl_nocastINS0_11FillFunctorIiEEEEvRNS_18TensorIteratorBaseERKT_EUlibE_EEviT1_
                                        ; -- End function
	.set _ZN2at6native32elementwise_kernel_manual_unrollILi128ELi4EZNS0_22gpu_kernel_impl_nocastINS0_11FillFunctorIiEEEEvRNS_18TensorIteratorBaseERKT_EUlibE_EEviT1_.num_vgpr, 12
	.set _ZN2at6native32elementwise_kernel_manual_unrollILi128ELi4EZNS0_22gpu_kernel_impl_nocastINS0_11FillFunctorIiEEEEvRNS_18TensorIteratorBaseERKT_EUlibE_EEviT1_.num_agpr, 0
	.set _ZN2at6native32elementwise_kernel_manual_unrollILi128ELi4EZNS0_22gpu_kernel_impl_nocastINS0_11FillFunctorIiEEEEvRNS_18TensorIteratorBaseERKT_EUlibE_EEviT1_.numbered_sgpr, 53
	.set _ZN2at6native32elementwise_kernel_manual_unrollILi128ELi4EZNS0_22gpu_kernel_impl_nocastINS0_11FillFunctorIiEEEEvRNS_18TensorIteratorBaseERKT_EUlibE_EEviT1_.num_named_barrier, 0
	.set _ZN2at6native32elementwise_kernel_manual_unrollILi128ELi4EZNS0_22gpu_kernel_impl_nocastINS0_11FillFunctorIiEEEEvRNS_18TensorIteratorBaseERKT_EUlibE_EEviT1_.private_seg_size, 0
	.set _ZN2at6native32elementwise_kernel_manual_unrollILi128ELi4EZNS0_22gpu_kernel_impl_nocastINS0_11FillFunctorIiEEEEvRNS_18TensorIteratorBaseERKT_EUlibE_EEviT1_.uses_vcc, 1
	.set _ZN2at6native32elementwise_kernel_manual_unrollILi128ELi4EZNS0_22gpu_kernel_impl_nocastINS0_11FillFunctorIiEEEEvRNS_18TensorIteratorBaseERKT_EUlibE_EEviT1_.uses_flat_scratch, 0
	.set _ZN2at6native32elementwise_kernel_manual_unrollILi128ELi4EZNS0_22gpu_kernel_impl_nocastINS0_11FillFunctorIiEEEEvRNS_18TensorIteratorBaseERKT_EUlibE_EEviT1_.has_dyn_sized_stack, 0
	.set _ZN2at6native32elementwise_kernel_manual_unrollILi128ELi4EZNS0_22gpu_kernel_impl_nocastINS0_11FillFunctorIiEEEEvRNS_18TensorIteratorBaseERKT_EUlibE_EEviT1_.has_recursion, 0
	.set _ZN2at6native32elementwise_kernel_manual_unrollILi128ELi4EZNS0_22gpu_kernel_impl_nocastINS0_11FillFunctorIiEEEEvRNS_18TensorIteratorBaseERKT_EUlibE_EEviT1_.has_indirect_call, 0
	.section	.AMDGPU.csdata,"",@progbits
; Kernel info:
; codeLenInByte = 5004
; TotalNumSgprs: 57
; NumVgprs: 12
; ScratchSize: 0
; MemoryBound: 0
; FloatMode: 240
; IeeeMode: 1
; LDSByteSize: 0 bytes/workgroup (compile time only)
; SGPRBlocks: 7
; VGPRBlocks: 2
; NumSGPRsForWavesPerEU: 57
; NumVGPRsForWavesPerEU: 12
; Occupancy: 10
; WaveLimiterHint : 1
; COMPUTE_PGM_RSRC2:SCRATCH_EN: 0
; COMPUTE_PGM_RSRC2:USER_SGPR: 6
; COMPUTE_PGM_RSRC2:TRAP_HANDLER: 0
; COMPUTE_PGM_RSRC2:TGID_X_EN: 1
; COMPUTE_PGM_RSRC2:TGID_Y_EN: 0
; COMPUTE_PGM_RSRC2:TGID_Z_EN: 0
; COMPUTE_PGM_RSRC2:TIDIG_COMP_CNT: 0
	.section	.text._ZN2at6native32elementwise_kernel_manual_unrollILi128ELi4EZNS0_15gpu_kernel_implINS0_11FillFunctorIiEEEEvRNS_18TensorIteratorBaseERKT_EUlibE_EEviT1_,"axG",@progbits,_ZN2at6native32elementwise_kernel_manual_unrollILi128ELi4EZNS0_15gpu_kernel_implINS0_11FillFunctorIiEEEEvRNS_18TensorIteratorBaseERKT_EUlibE_EEviT1_,comdat
	.protected	_ZN2at6native32elementwise_kernel_manual_unrollILi128ELi4EZNS0_15gpu_kernel_implINS0_11FillFunctorIiEEEEvRNS_18TensorIteratorBaseERKT_EUlibE_EEviT1_ ; -- Begin function _ZN2at6native32elementwise_kernel_manual_unrollILi128ELi4EZNS0_15gpu_kernel_implINS0_11FillFunctorIiEEEEvRNS_18TensorIteratorBaseERKT_EUlibE_EEviT1_
	.globl	_ZN2at6native32elementwise_kernel_manual_unrollILi128ELi4EZNS0_15gpu_kernel_implINS0_11FillFunctorIiEEEEvRNS_18TensorIteratorBaseERKT_EUlibE_EEviT1_
	.p2align	8
	.type	_ZN2at6native32elementwise_kernel_manual_unrollILi128ELi4EZNS0_15gpu_kernel_implINS0_11FillFunctorIiEEEEvRNS_18TensorIteratorBaseERKT_EUlibE_EEviT1_,@function
_ZN2at6native32elementwise_kernel_manual_unrollILi128ELi4EZNS0_15gpu_kernel_implINS0_11FillFunctorIiEEEEvRNS_18TensorIteratorBaseERKT_EUlibE_EEviT1_: ; @_ZN2at6native32elementwise_kernel_manual_unrollILi128ELi4EZNS0_15gpu_kernel_implINS0_11FillFunctorIiEEEEvRNS_18TensorIteratorBaseERKT_EUlibE_EEviT1_
; %bb.0:
	s_load_dwordx4 s[8:11], s[4:5], 0x8
	s_load_dword s50, s[4:5], 0x0
	s_load_dword s33, s[4:5], 0x18
	v_lshl_or_b32 v15, s6, 9, v0
	v_or_b32_e32 v0, 0x180, v15
	s_mov_b64 s[6:7], 0
	s_waitcnt lgkmcnt(0)
	v_cmp_le_i32_e32 vcc, s50, v0
	s_mov_b64 s[0:1], 0
	s_and_saveexec_b64 s[2:3], vcc
	s_xor_b64 s[12:13], exec, s[2:3]
	s_cbranch_execz .LBB22_404
; %bb.1:
	v_cvt_f32_i32_e32 v4, s11
	s_movk_i32 s0, 0xff
	s_ashr_i32 s15, s11, 31
	s_mov_b32 s14, s11
	v_and_b32_e32 v2, 0x400000, v4
	v_bfe_u32 v1, v4, 23, 8
	v_cmp_ne_u32_e32 vcc, 0, v2
	v_and_b32_e32 v2, 0x3fffff, v4
	v_cmp_eq_u32_e64 s[4:5], s0, v1
	v_or_b32_e32 v1, v1, v2
	v_cmp_ne_u32_e64 s[0:1], 0, v1
	v_readfirstlane_b32 s18, v4
	s_and_b64 s[0:1], vcc, s[0:1]
	s_and_b32 s34, s18, 0x7fffffff
	s_cmp_lt_u32 s34, 0x43800000
	s_cselect_b64 s[28:29], -1, 0
	s_cmp_gt_u32 s34, 0x3bffffff
	v_cndmask_b32_e64 v1, 0, 1, s[0:1]
	s_cselect_b64 s[2:3], -1, 0
	s_bfe_u32 s0, s18, 0x10014
	s_add_i32 s19, s18, s0
	s_add_i32 s0, s19, 0x487ffff
	s_lshr_b32 s61, s0, 20
	s_mov_b32 s0, 0x46000000
	v_add_f32_e64 v13, |v4|, s0
	v_readfirstlane_b32 s0, v13
	s_and_b32 s0, s0, 0xff
	s_cmp_lg_u32 s0, 0
	s_cselect_b64 s[30:31], -1, 0
	s_cmp_gt_u32 s34, 0x477fffff
	s_cselect_b64 s[16:17], -1, 0
	s_cmp_lt_u32 s34, 0x47800000
	s_movk_i32 s0, 0x80
	s_cselect_b64 s[24:25], -1, 0
	s_cmp_gt_u32 s34, 0x37ffffff
	v_and_b32_sdwa v10, v4, s0 dst_sel:DWORD dst_unused:UNUSED_PAD src0_sel:BYTE_3 src1_sel:DWORD
	s_cselect_b64 s[0:1], -1, 0
	s_bfe_u32 s20, s18, 0x10015
	s_add_i32 s35, s18, s20
	s_add_i32 s18, s35, 0x88fffff
	s_lshr_b32 s59, s18, 21
	s_mov_b32 s18, 0x42800000
	v_add_f32_e64 v12, |v4|, s18
	v_readfirstlane_b32 s18, v12
	s_and_b32 s18, s18, 0xff
	s_cmp_lg_u32 s18, 0
	s_cselect_b64 s[26:27], -1, 0
	s_cmp_gt_u32 s34, 0x43efffff
	s_cselect_b64 s[20:21], -1, 0
	s_cmp_lt_u32 s34, 0x3c800000
	s_cselect_b64 s[22:23], -1, 0
	s_add_i32 s19, s19, 0x407ffff
	s_lshr_b32 s18, s19, 20
	s_and_b32 s19, s19, 0xff00000
	s_cmp_lg_u32 s19, 0x7f00000
	v_lshrrev_b32_e32 v0, 23, v4
	s_cselect_b32 s57, s18, 0x7e
	s_mov_b32 s18, 0x46800000
	s_cmp_lt_u32 s34, 0x38800000
	v_add_u32_e32 v14, v0, v1
	v_add_f32_e64 v0, |v4|, s18
	s_cselect_b64 s[18:19], -1, 0
	s_add_i32 s35, s35, 0x80fffff
	s_lshr_b32 s54, s35, 21
	s_cmp_gt_u32 s34, 0x7f800000
	s_movk_i32 s34, 0x7f
	s_cselect_b32 s60, s34, 0x7e
	s_mov_b32 s34, 0x43000000
	v_readfirstlane_b32 s58, v0
	v_add_f32_e64 v0, |v4|, s34
	v_readfirstlane_b32 s55, v0
	v_bfe_u32 v0, v4, 16, 1
	v_add_u32_e32 v0, v4, v0
	v_add_u32_e32 v0, 0x7fff, v0
	s_movk_i32 s34, 0x7c
	v_lshrrev_b32_e32 v11, 16, v0
	v_cvt_f64_i32_e32 v[0:1], s11
	v_cvt_f16_f32_e32 v8, v4
	s_cselect_b32 s56, 0x7f, s34
	s_cmp_lg_u32 s11, 0
	s_cselect_b64 s[34:35], -1, 0
	v_cndmask_b32_e64 v9, 0, 1, s[34:35]
	v_cmp_gt_i32_e32 vcc, s50, v15
	s_mov_b64 s[38:39], -1
	s_mov_b64 s[40:41], 0
	s_mov_b64 s[34:35], 0
	s_and_saveexec_b64 s[36:37], vcc
	s_cbranch_execz .LBB22_100
; %bb.2:
	v_mul_lo_u32 v2, v15, s10
	v_mov_b32_e32 v3, s9
	s_and_b32 s44, s33, 0xff
	s_cmp_lt_i32 s44, 11
	v_ashrrev_i32_e32 v5, 31, v2
	v_add_co_u32_e32 v6, vcc, s8, v2
	v_addc_co_u32_e32 v7, vcc, v3, v5, vcc
	s_cbranch_scc1 .LBB22_9
; %bb.3:
	s_and_b32 s45, 0xffff, s44
	s_cmp_gt_i32 s45, 25
	s_cbranch_scc0 .LBB22_12
; %bb.4:
	s_cmp_gt_i32 s45, 28
	s_cbranch_scc0 .LBB22_13
; %bb.5:
	;; [unrolled: 3-line block ×4, first 2 shown]
	s_mov_b64 s[42:43], 0
	s_mov_b64 s[34:35], -1
	s_cmp_eq_u32 s45, 46
	s_mov_b64 s[38:39], 0
	s_cbranch_scc0 .LBB22_16
; %bb.8:
	global_store_dword v[6:7], v11, off
	s_mov_b64 s[38:39], -1
	s_mov_b64 s[34:35], 0
	s_branch .LBB22_16
.LBB22_9:
	s_mov_b64 s[38:39], 0
	s_cbranch_execnz .LBB22_60
.LBB22_10:
	s_andn2_b64 vcc, exec, s[38:39]
	s_cbranch_vccnz .LBB22_98
.LBB22_11:
	v_add_u32_e32 v15, 0x80, v15
	s_mov_b64 s[38:39], -1
	s_branch .LBB22_99
.LBB22_12:
	s_mov_b64 s[38:39], 0
	s_cbranch_execnz .LBB22_38
	s_branch .LBB22_59
.LBB22_13:
	s_mov_b64 s[42:43], -1
	s_mov_b64 s[38:39], 0
	s_branch .LBB22_24
.LBB22_14:
	s_mov_b64 s[42:43], -1
	s_mov_b64 s[38:39], 0
	s_branch .LBB22_20
.LBB22_15:
	s_mov_b64 s[42:43], -1
	s_mov_b64 s[38:39], 0
.LBB22_16:
	s_and_b64 vcc, exec, s[42:43]
	s_cbranch_vccz .LBB22_19
; %bb.17:
	s_cmp_eq_u32 s45, 44
	s_mov_b64 s[34:35], -1
	s_cbranch_scc0 .LBB22_19
; %bb.18:
	v_mov_b32_e32 v2, 0xffff
	v_cndmask_b32_e64 v2, v14, v2, s[4:5]
	global_store_byte v[6:7], v2, off
	s_mov_b64 s[38:39], -1
	s_mov_b64 s[34:35], 0
.LBB22_19:
	s_mov_b64 s[42:43], 0
.LBB22_20:
	s_and_b64 vcc, exec, s[42:43]
	s_cbranch_vccz .LBB22_23
; %bb.21:
	s_cmp_eq_u32 s45, 29
	s_mov_b64 s[34:35], -1
	s_cbranch_scc0 .LBB22_23
; %bb.22:
	v_mov_b32_e32 v2, s14
	v_mov_b32_e32 v3, s15
	global_store_dwordx2 v[6:7], v[2:3], off
	s_mov_b64 s[38:39], -1
	s_mov_b64 s[34:35], 0
.LBB22_23:
	s_mov_b64 s[42:43], 0
.LBB22_24:
	s_and_b64 vcc, exec, s[42:43]
	s_cbranch_vccz .LBB22_37
; %bb.25:
	s_cmp_lt_i32 s45, 27
	s_mov_b64 s[38:39], -1
	s_cbranch_scc1 .LBB22_31
; %bb.26:
	s_cmp_gt_i32 s45, 27
	s_cbranch_scc0 .LBB22_28
; %bb.27:
	v_mov_b32_e32 v2, s11
	s_mov_b64 s[38:39], 0
	global_store_dword v[6:7], v2, off
.LBB22_28:
	s_andn2_b64 vcc, exec, s[38:39]
	s_cbranch_vccnz .LBB22_30
; %bb.29:
	v_mov_b32_e32 v2, s11
	global_store_short v[6:7], v2, off
.LBB22_30:
	s_mov_b64 s[38:39], 0
.LBB22_31:
	s_andn2_b64 vcc, exec, s[38:39]
	s_cbranch_vccnz .LBB22_36
; %bb.32:
	s_andn2_b64 vcc, exec, s[28:29]
	v_mov_b32_e32 v2, 0x80
	s_cbranch_vccnz .LBB22_35
; %bb.33:
	s_or_b64 s[38:39], s[2:3], s[30:31]
	s_andn2_b64 vcc, exec, s[38:39]
	v_mov_b32_e32 v2, 0
	s_cbranch_vccnz .LBB22_35
; %bb.34:
	v_mov_b32_e32 v2, s61
	v_cndmask_b32_e64 v2, v13, v2, s[2:3]
	v_or_b32_e32 v2, v2, v10
.LBB22_35:
	global_store_byte v[6:7], v2, off
.LBB22_36:
	s_mov_b64 s[38:39], -1
.LBB22_37:
	s_branch .LBB22_59
.LBB22_38:
	s_cmp_gt_i32 s45, 22
	s_mov_b64 s[42:43], -1
	s_cbranch_scc0 .LBB22_51
; %bb.39:
	s_cmp_lt_i32 s45, 24
	s_mov_b64 s[38:39], -1
	s_cbranch_scc1 .LBB22_48
; %bb.40:
	s_cmp_gt_i32 s45, 24
	s_cbranch_scc0 .LBB22_45
; %bb.41:
	s_andn2_b64 vcc, exec, s[24:25]
	v_mov_b32_e32 v2, 0x80
	s_cbranch_vccnz .LBB22_44
; %bb.42:
	s_or_b64 s[38:39], s[0:1], s[26:27]
	s_andn2_b64 vcc, exec, s[38:39]
	v_mov_b32_e32 v2, 0
	s_cbranch_vccnz .LBB22_44
; %bb.43:
	v_mov_b32_e32 v2, s59
	v_cndmask_b32_e64 v2, v12, v2, s[0:1]
	v_or_b32_e32 v2, v2, v10
.LBB22_44:
	s_mov_b64 s[38:39], 0
	global_store_byte v[6:7], v2, off
.LBB22_45:
	s_and_b64 vcc, exec, s[38:39]
	s_cbranch_vccz .LBB22_47
; %bb.46:
	s_and_b64 s[38:39], s[22:23], exec
	s_cselect_b32 s42, s58, s57
	s_and_b64 s[38:39], s[20:21], exec
	s_cselect_b32 s38, s60, s42
	v_or_b32_e32 v2, s38, v10
	global_store_byte v[6:7], v2, off
.LBB22_47:
	s_mov_b64 s[38:39], 0
.LBB22_48:
	s_andn2_b64 vcc, exec, s[38:39]
	s_cbranch_vccnz .LBB22_50
; %bb.49:
	s_and_b64 s[38:39], s[18:19], exec
	s_cselect_b32 s42, s55, s54
	s_and_b64 s[38:39], s[16:17], exec
	s_cselect_b32 s38, s56, s42
	v_or_b32_e32 v2, s38, v10
	global_store_byte v[6:7], v2, off
.LBB22_50:
	s_mov_b64 s[42:43], 0
	s_mov_b64 s[38:39], -1
.LBB22_51:
	s_andn2_b64 vcc, exec, s[42:43]
	s_cbranch_vccnz .LBB22_59
; %bb.52:
	s_cmp_gt_i32 s45, 14
	s_mov_b64 s[42:43], -1
	s_cbranch_scc0 .LBB22_56
; %bb.53:
	s_cmp_eq_u32 s45, 15
	s_mov_b64 s[34:35], -1
	s_cbranch_scc0 .LBB22_55
; %bb.54:
	global_store_short v[6:7], v11, off
	s_mov_b64 s[38:39], -1
	s_mov_b64 s[34:35], 0
.LBB22_55:
	s_mov_b64 s[42:43], 0
.LBB22_56:
	s_and_b64 vcc, exec, s[42:43]
	s_cbranch_vccz .LBB22_59
; %bb.57:
	s_cmp_eq_u32 s45, 11
	s_mov_b64 s[34:35], -1
	s_cbranch_scc0 .LBB22_59
; %bb.58:
	s_mov_b64 s[38:39], -1
	s_mov_b64 s[34:35], 0
	global_store_byte v[6:7], v9, off
.LBB22_59:
	s_branch .LBB22_10
.LBB22_60:
	s_and_b32 s42, 0xffff, s44
	s_cmp_lt_i32 s42, 5
	s_mov_b64 s[38:39], -1
	s_cbranch_scc1 .LBB22_81
; %bb.61:
	s_cmp_lt_i32 s42, 8
	s_cbranch_scc1 .LBB22_71
; %bb.62:
	s_cmp_lt_i32 s42, 9
	s_cbranch_scc1 .LBB22_68
; %bb.63:
	s_cmp_gt_i32 s42, 9
	s_cbranch_scc0 .LBB22_65
; %bb.64:
	v_mov_b32_e32 v2, 0
	v_mov_b32_e32 v3, v2
	global_store_dwordx4 v[6:7], v[0:3], off
	s_mov_b64 s[38:39], 0
.LBB22_65:
	s_andn2_b64 vcc, exec, s[38:39]
	s_cbranch_vccnz .LBB22_67
; %bb.66:
	v_mov_b32_e32 v5, 0
	global_store_dwordx2 v[6:7], v[4:5], off
.LBB22_67:
	s_mov_b64 s[38:39], 0
.LBB22_68:
	s_andn2_b64 vcc, exec, s[38:39]
	s_cbranch_vccnz .LBB22_70
; %bb.69:
	global_store_dword v[6:7], v8, off
.LBB22_70:
	s_mov_b64 s[38:39], 0
.LBB22_71:
	s_andn2_b64 vcc, exec, s[38:39]
	s_cbranch_vccnz .LBB22_80
; %bb.72:
	s_cmp_lt_i32 s42, 6
	s_mov_b64 s[38:39], -1
	s_cbranch_scc1 .LBB22_78
; %bb.73:
	s_cmp_gt_i32 s42, 6
	s_cbranch_scc0 .LBB22_75
; %bb.74:
	global_store_dwordx2 v[6:7], v[0:1], off
	s_mov_b64 s[38:39], 0
.LBB22_75:
	s_andn2_b64 vcc, exec, s[38:39]
	s_cbranch_vccnz .LBB22_77
; %bb.76:
	global_store_dword v[6:7], v4, off
.LBB22_77:
	s_mov_b64 s[38:39], 0
.LBB22_78:
	s_andn2_b64 vcc, exec, s[38:39]
	s_cbranch_vccnz .LBB22_80
; %bb.79:
	global_store_short v[6:7], v8, off
.LBB22_80:
	s_mov_b64 s[38:39], 0
.LBB22_81:
	s_andn2_b64 vcc, exec, s[38:39]
	s_cbranch_vccnz .LBB22_97
; %bb.82:
	s_cmp_lt_i32 s42, 2
	s_mov_b64 s[38:39], -1
	s_cbranch_scc1 .LBB22_92
; %bb.83:
	s_cmp_lt_i32 s42, 3
	s_cbranch_scc1 .LBB22_89
; %bb.84:
	s_cmp_gt_i32 s42, 3
	s_cbranch_scc0 .LBB22_86
; %bb.85:
	v_mov_b32_e32 v2, s14
	v_mov_b32_e32 v3, s15
	global_store_dwordx2 v[6:7], v[2:3], off
	s_mov_b64 s[38:39], 0
.LBB22_86:
	s_andn2_b64 vcc, exec, s[38:39]
	s_cbranch_vccnz .LBB22_88
; %bb.87:
	v_mov_b32_e32 v2, s11
	global_store_dword v[6:7], v2, off
.LBB22_88:
	s_mov_b64 s[38:39], 0
.LBB22_89:
	s_andn2_b64 vcc, exec, s[38:39]
	s_cbranch_vccnz .LBB22_91
; %bb.90:
	v_mov_b32_e32 v2, s11
	global_store_short v[6:7], v2, off
.LBB22_91:
	s_mov_b64 s[38:39], 0
.LBB22_92:
	s_andn2_b64 vcc, exec, s[38:39]
	s_cbranch_vccnz .LBB22_97
; %bb.93:
	s_cmp_gt_i32 s42, 0
	s_mov_b64 s[38:39], -1
	s_cbranch_scc0 .LBB22_95
; %bb.94:
	v_mov_b32_e32 v2, s11
	global_store_byte v[6:7], v2, off
	s_mov_b64 s[38:39], 0
.LBB22_95:
	s_andn2_b64 vcc, exec, s[38:39]
	s_cbranch_vccnz .LBB22_97
; %bb.96:
	v_mov_b32_e32 v2, s11
	global_store_byte v[6:7], v2, off
.LBB22_97:
	s_branch .LBB22_11
.LBB22_98:
	s_mov_b64 s[38:39], 0
                                        ; implicit-def: $vgpr15
.LBB22_99:
	s_and_b64 s[34:35], s[34:35], exec
	s_orn2_b64 s[38:39], s[38:39], exec
.LBB22_100:
	s_or_b64 exec, exec, s[36:37]
	s_mov_b64 s[42:43], 0
                                        ; implicit-def: $sgpr62
                                        ; implicit-def: $vgpr6_vgpr7
	s_and_saveexec_b64 s[36:37], s[38:39]
	s_cbranch_execz .LBB22_109
; %bb.101:
	v_cmp_gt_i32_e32 vcc, s50, v15
	s_mov_b64 s[44:45], -1
	s_mov_b64 s[38:39], s[34:35]
	s_and_saveexec_b64 s[40:41], vcc
	s_cbranch_execz .LBB22_204
; %bb.102:
	v_mul_lo_u32 v2, v15, s10
	v_mov_b32_e32 v3, s9
	s_and_b32 s46, s33, 0xff
	s_cmp_lt_i32 s46, 11
	v_ashrrev_i32_e32 v5, 31, v2
	v_add_co_u32_e32 v6, vcc, s8, v2
	v_addc_co_u32_e32 v7, vcc, v3, v5, vcc
	s_cbranch_scc1 .LBB22_112
; %bb.103:
	s_and_b32 s47, 0xffff, s46
	s_cmp_gt_i32 s47, 25
	s_cbranch_scc0 .LBB22_115
; %bb.104:
	s_cmp_gt_i32 s47, 28
	s_cbranch_scc0 .LBB22_116
; %bb.105:
	;; [unrolled: 3-line block ×4, first 2 shown]
	s_mov_b64 s[44:45], 0
	s_mov_b64 s[38:39], -1
	s_cmp_eq_u32 s47, 46
	s_cbranch_scc0 .LBB22_119
; %bb.108:
	global_store_dword v[6:7], v11, off
	s_mov_b64 s[42:43], -1
	s_mov_b64 s[38:39], 0
	s_branch .LBB22_119
.LBB22_109:
	s_or_b64 exec, exec, s[36:37]
	s_mov_b64 s[0:1], 0
	s_and_saveexec_b64 s[2:3], s[34:35]
	s_cbranch_execnz .LBB22_364
.LBB22_110:
	s_or_b64 exec, exec, s[2:3]
	s_and_saveexec_b64 s[2:3], s[40:41]
	s_xor_b64 s[2:3], exec, s[2:3]
	s_cbranch_execz .LBB22_365
.LBB22_111:
	global_store_byte v[6:7], v9, off
	s_or_b64 exec, exec, s[2:3]
	s_and_saveexec_b64 s[2:3], s[42:43]
	s_xor_b64 s[2:3], exec, s[2:3]
	s_cbranch_execz .LBB22_403
	s_branch .LBB22_366
.LBB22_112:
	s_mov_b64 s[38:39], s[34:35]
	s_and_b64 vcc, exec, s[44:45]
	s_cbranch_vccnz .LBB22_164
.LBB22_113:
	s_andn2_b64 vcc, exec, s[42:43]
	s_cbranch_vccnz .LBB22_202
.LBB22_114:
	v_add_u32_e32 v15, 0x80, v15
	s_mov_b64 s[42:43], -1
	s_branch .LBB22_203
.LBB22_115:
	s_mov_b64 s[38:39], s[34:35]
	s_branch .LBB22_141
.LBB22_116:
	s_mov_b64 s[38:39], s[34:35]
	s_branch .LBB22_127
.LBB22_117:
	s_mov_b64 s[38:39], s[34:35]
	s_branch .LBB22_123
.LBB22_118:
	s_mov_b64 s[38:39], s[34:35]
.LBB22_119:
	s_and_b64 vcc, exec, s[44:45]
	s_cbranch_vccz .LBB22_122
; %bb.120:
	s_cmp_eq_u32 s47, 44
	s_mov_b64 s[38:39], -1
	s_cbranch_scc0 .LBB22_122
; %bb.121:
	v_mov_b32_e32 v2, 0xffff
	v_cndmask_b32_e64 v2, v14, v2, s[4:5]
	s_mov_b64 s[42:43], -1
	s_mov_b64 s[38:39], 0
	global_store_byte v[6:7], v2, off
.LBB22_122:
	s_mov_b64 s[44:45], 0
.LBB22_123:
	s_and_b64 vcc, exec, s[44:45]
	s_cbranch_vccz .LBB22_126
; %bb.124:
	s_cmp_eq_u32 s47, 29
	s_mov_b64 s[38:39], -1
	s_cbranch_scc0 .LBB22_126
; %bb.125:
	v_mov_b32_e32 v2, s14
	v_mov_b32_e32 v3, s15
	global_store_dwordx2 v[6:7], v[2:3], off
	s_mov_b64 s[42:43], -1
	s_mov_b64 s[38:39], 0
.LBB22_126:
	s_mov_b64 s[44:45], 0
.LBB22_127:
	s_and_b64 vcc, exec, s[44:45]
	s_cbranch_vccz .LBB22_140
; %bb.128:
	s_cmp_lt_i32 s47, 27
	s_mov_b64 s[42:43], -1
	s_cbranch_scc1 .LBB22_134
; %bb.129:
	s_cmp_gt_i32 s47, 27
	s_cbranch_scc0 .LBB22_131
; %bb.130:
	v_mov_b32_e32 v2, s11
	s_mov_b64 s[42:43], 0
	global_store_dword v[6:7], v2, off
.LBB22_131:
	s_andn2_b64 vcc, exec, s[42:43]
	s_cbranch_vccnz .LBB22_133
; %bb.132:
	v_mov_b32_e32 v2, s11
	global_store_short v[6:7], v2, off
.LBB22_133:
	s_mov_b64 s[42:43], 0
.LBB22_134:
	s_andn2_b64 vcc, exec, s[42:43]
	s_cbranch_vccnz .LBB22_139
; %bb.135:
	s_andn2_b64 vcc, exec, s[28:29]
	v_mov_b32_e32 v2, 0x80
	s_cbranch_vccnz .LBB22_138
; %bb.136:
	s_or_b64 s[42:43], s[2:3], s[30:31]
	s_andn2_b64 vcc, exec, s[42:43]
	v_mov_b32_e32 v2, 0
	s_cbranch_vccnz .LBB22_138
; %bb.137:
	v_mov_b32_e32 v2, s61
	v_cndmask_b32_e64 v2, v13, v2, s[2:3]
	v_or_b32_e32 v2, v2, v10
.LBB22_138:
	global_store_byte v[6:7], v2, off
.LBB22_139:
	s_mov_b64 s[42:43], -1
.LBB22_140:
	s_mov_b64 s[44:45], 0
.LBB22_141:
	s_and_b64 vcc, exec, s[44:45]
	s_cbranch_vccz .LBB22_163
; %bb.142:
	s_cmp_gt_i32 s47, 22
	s_mov_b64 s[44:45], -1
	s_cbranch_scc0 .LBB22_155
; %bb.143:
	s_cmp_lt_i32 s47, 24
	s_mov_b64 s[42:43], -1
	s_cbranch_scc1 .LBB22_152
; %bb.144:
	s_cmp_gt_i32 s47, 24
	s_cbranch_scc0 .LBB22_149
; %bb.145:
	s_andn2_b64 vcc, exec, s[24:25]
	v_mov_b32_e32 v2, 0x80
	s_cbranch_vccnz .LBB22_148
; %bb.146:
	s_or_b64 s[42:43], s[0:1], s[26:27]
	s_andn2_b64 vcc, exec, s[42:43]
	v_mov_b32_e32 v2, 0
	s_cbranch_vccnz .LBB22_148
; %bb.147:
	v_mov_b32_e32 v2, s59
	v_cndmask_b32_e64 v2, v12, v2, s[0:1]
	v_or_b32_e32 v2, v2, v10
.LBB22_148:
	s_mov_b64 s[42:43], 0
	global_store_byte v[6:7], v2, off
.LBB22_149:
	s_and_b64 vcc, exec, s[42:43]
	s_cbranch_vccz .LBB22_151
; %bb.150:
	s_and_b64 s[42:43], s[22:23], exec
	s_cselect_b32 s44, s58, s57
	s_and_b64 s[42:43], s[20:21], exec
	s_cselect_b32 s42, s60, s44
	v_or_b32_e32 v2, s42, v10
	global_store_byte v[6:7], v2, off
.LBB22_151:
	s_mov_b64 s[42:43], 0
.LBB22_152:
	s_andn2_b64 vcc, exec, s[42:43]
	s_cbranch_vccnz .LBB22_154
; %bb.153:
	s_and_b64 s[42:43], s[18:19], exec
	s_cselect_b32 s44, s55, s54
	s_and_b64 s[42:43], s[16:17], exec
	s_cselect_b32 s42, s56, s44
	v_or_b32_e32 v2, s42, v10
	global_store_byte v[6:7], v2, off
.LBB22_154:
	s_mov_b64 s[44:45], 0
	s_mov_b64 s[42:43], -1
.LBB22_155:
	s_andn2_b64 vcc, exec, s[44:45]
	s_cbranch_vccnz .LBB22_163
; %bb.156:
	s_cmp_gt_i32 s47, 14
	s_mov_b64 s[44:45], -1
	s_cbranch_scc0 .LBB22_160
; %bb.157:
	s_cmp_eq_u32 s47, 15
	s_mov_b64 s[38:39], -1
	s_cbranch_scc0 .LBB22_159
; %bb.158:
	global_store_short v[6:7], v11, off
	s_mov_b64 s[42:43], -1
	s_mov_b64 s[38:39], 0
.LBB22_159:
	s_mov_b64 s[44:45], 0
.LBB22_160:
	s_and_b64 vcc, exec, s[44:45]
	s_cbranch_vccz .LBB22_163
; %bb.161:
	s_cmp_eq_u32 s47, 11
	s_mov_b64 s[38:39], -1
	s_cbranch_scc0 .LBB22_163
; %bb.162:
	s_mov_b64 s[42:43], -1
	s_mov_b64 s[38:39], 0
	global_store_byte v[6:7], v9, off
.LBB22_163:
	s_branch .LBB22_113
.LBB22_164:
	s_and_b32 s44, 0xffff, s46
	s_cmp_lt_i32 s44, 5
	s_mov_b64 s[42:43], -1
	s_cbranch_scc1 .LBB22_185
; %bb.165:
	s_cmp_lt_i32 s44, 8
	s_cbranch_scc1 .LBB22_175
; %bb.166:
	s_cmp_lt_i32 s44, 9
	s_cbranch_scc1 .LBB22_172
; %bb.167:
	s_cmp_gt_i32 s44, 9
	s_cbranch_scc0 .LBB22_169
; %bb.168:
	v_mov_b32_e32 v2, 0
	v_mov_b32_e32 v3, v2
	s_mov_b64 s[42:43], 0
	global_store_dwordx4 v[6:7], v[0:3], off
.LBB22_169:
	s_andn2_b64 vcc, exec, s[42:43]
	s_cbranch_vccnz .LBB22_171
; %bb.170:
	v_mov_b32_e32 v5, 0
	global_store_dwordx2 v[6:7], v[4:5], off
.LBB22_171:
	s_mov_b64 s[42:43], 0
.LBB22_172:
	s_andn2_b64 vcc, exec, s[42:43]
	s_cbranch_vccnz .LBB22_174
; %bb.173:
	global_store_dword v[6:7], v8, off
.LBB22_174:
	s_mov_b64 s[42:43], 0
.LBB22_175:
	s_andn2_b64 vcc, exec, s[42:43]
	s_cbranch_vccnz .LBB22_184
; %bb.176:
	s_cmp_lt_i32 s44, 6
	s_mov_b64 s[42:43], -1
	s_cbranch_scc1 .LBB22_182
; %bb.177:
	s_cmp_gt_i32 s44, 6
	s_cbranch_scc0 .LBB22_179
; %bb.178:
	s_mov_b64 s[42:43], 0
	global_store_dwordx2 v[6:7], v[0:1], off
.LBB22_179:
	s_andn2_b64 vcc, exec, s[42:43]
	s_cbranch_vccnz .LBB22_181
; %bb.180:
	global_store_dword v[6:7], v4, off
.LBB22_181:
	s_mov_b64 s[42:43], 0
.LBB22_182:
	s_andn2_b64 vcc, exec, s[42:43]
	s_cbranch_vccnz .LBB22_184
; %bb.183:
	global_store_short v[6:7], v8, off
.LBB22_184:
	s_mov_b64 s[42:43], 0
.LBB22_185:
	s_andn2_b64 vcc, exec, s[42:43]
	s_cbranch_vccnz .LBB22_201
; %bb.186:
	s_cmp_lt_i32 s44, 2
	s_mov_b64 s[42:43], -1
	s_cbranch_scc1 .LBB22_196
; %bb.187:
	s_cmp_lt_i32 s44, 3
	s_cbranch_scc1 .LBB22_193
; %bb.188:
	s_cmp_gt_i32 s44, 3
	s_cbranch_scc0 .LBB22_190
; %bb.189:
	v_mov_b32_e32 v2, s14
	v_mov_b32_e32 v3, s15
	s_mov_b64 s[42:43], 0
	global_store_dwordx2 v[6:7], v[2:3], off
.LBB22_190:
	s_andn2_b64 vcc, exec, s[42:43]
	s_cbranch_vccnz .LBB22_192
; %bb.191:
	v_mov_b32_e32 v2, s11
	global_store_dword v[6:7], v2, off
.LBB22_192:
	s_mov_b64 s[42:43], 0
.LBB22_193:
	s_andn2_b64 vcc, exec, s[42:43]
	s_cbranch_vccnz .LBB22_195
; %bb.194:
	v_mov_b32_e32 v2, s11
	global_store_short v[6:7], v2, off
.LBB22_195:
	s_mov_b64 s[42:43], 0
.LBB22_196:
	s_andn2_b64 vcc, exec, s[42:43]
	s_cbranch_vccnz .LBB22_201
; %bb.197:
	s_cmp_gt_i32 s44, 0
	s_mov_b64 s[42:43], -1
	s_cbranch_scc0 .LBB22_199
; %bb.198:
	v_mov_b32_e32 v2, s11
	s_mov_b64 s[42:43], 0
	global_store_byte v[6:7], v2, off
.LBB22_199:
	s_andn2_b64 vcc, exec, s[42:43]
	s_cbranch_vccnz .LBB22_201
; %bb.200:
	v_mov_b32_e32 v2, s11
	global_store_byte v[6:7], v2, off
.LBB22_201:
	s_branch .LBB22_114
.LBB22_202:
	s_mov_b64 s[42:43], 0
                                        ; implicit-def: $vgpr15
.LBB22_203:
	s_andn2_b64 s[44:45], s[34:35], exec
	s_and_b64 s[38:39], s[38:39], exec
	s_or_b64 s[38:39], s[44:45], s[38:39]
	s_orn2_b64 s[44:45], s[42:43], exec
.LBB22_204:
	s_or_b64 exec, exec, s[40:41]
	s_mov_b64 s[46:47], 0
	s_mov_b64 s[42:43], 0
                                        ; implicit-def: $sgpr62
                                        ; implicit-def: $vgpr6_vgpr7
	s_and_saveexec_b64 s[40:41], s[44:45]
	s_cbranch_execz .LBB22_363
; %bb.205:
	v_cmp_gt_i32_e32 vcc, s50, v15
	s_mov_b64 s[48:49], -1
	s_mov_b64 s[44:45], s[38:39]
	s_and_saveexec_b64 s[42:43], vcc
	s_cbranch_execz .LBB22_306
; %bb.206:
	v_mul_lo_u32 v2, v15, s10
	v_mov_b32_e32 v3, s9
	s_and_b32 s51, s33, 0xff
	s_cmp_lt_i32 s51, 11
	v_ashrrev_i32_e32 v5, 31, v2
	v_add_co_u32_e32 v6, vcc, s8, v2
	v_addc_co_u32_e32 v7, vcc, v3, v5, vcc
	s_cbranch_scc1 .LBB22_213
; %bb.207:
	s_and_b32 s52, 0xffff, s51
	s_cmp_gt_i32 s52, 25
	s_cbranch_scc0 .LBB22_214
; %bb.208:
	s_cmp_gt_i32 s52, 28
	s_cbranch_scc0 .LBB22_215
; %bb.209:
	;; [unrolled: 3-line block ×4, first 2 shown]
	s_mov_b64 s[48:49], 0
	s_mov_b64 s[44:45], -1
	s_cmp_eq_u32 s52, 46
	s_cbranch_scc0 .LBB22_218
; %bb.212:
	global_store_dword v[6:7], v11, off
	s_mov_b64 s[46:47], -1
	s_mov_b64 s[44:45], 0
	s_branch .LBB22_218
.LBB22_213:
	s_mov_b64 s[44:45], s[38:39]
	s_branch .LBB22_263
.LBB22_214:
	s_mov_b64 s[44:45], s[38:39]
	s_branch .LBB22_240
.LBB22_215:
	s_mov_b64 s[44:45], s[38:39]
	s_branch .LBB22_226
.LBB22_216:
	s_mov_b64 s[44:45], s[38:39]
	s_branch .LBB22_222
.LBB22_217:
	s_mov_b64 s[44:45], s[38:39]
.LBB22_218:
	s_and_b64 vcc, exec, s[48:49]
	s_cbranch_vccz .LBB22_221
; %bb.219:
	s_cmp_eq_u32 s52, 44
	s_mov_b64 s[44:45], -1
	s_cbranch_scc0 .LBB22_221
; %bb.220:
	v_mov_b32_e32 v2, 0xffff
	v_cndmask_b32_e64 v2, v14, v2, s[4:5]
	s_mov_b64 s[46:47], -1
	s_mov_b64 s[44:45], 0
	global_store_byte v[6:7], v2, off
.LBB22_221:
	s_mov_b64 s[48:49], 0
.LBB22_222:
	s_and_b64 vcc, exec, s[48:49]
	s_cbranch_vccz .LBB22_225
; %bb.223:
	s_cmp_eq_u32 s52, 29
	s_mov_b64 s[44:45], -1
	s_cbranch_scc0 .LBB22_225
; %bb.224:
	v_mov_b32_e32 v2, s14
	v_mov_b32_e32 v3, s15
	global_store_dwordx2 v[6:7], v[2:3], off
	s_mov_b64 s[46:47], -1
	s_mov_b64 s[44:45], 0
.LBB22_225:
	s_mov_b64 s[48:49], 0
.LBB22_226:
	s_and_b64 vcc, exec, s[48:49]
	s_cbranch_vccz .LBB22_239
; %bb.227:
	s_cmp_lt_i32 s52, 27
	s_mov_b64 s[46:47], -1
	s_cbranch_scc1 .LBB22_233
; %bb.228:
	s_cmp_gt_i32 s52, 27
	s_cbranch_scc0 .LBB22_230
; %bb.229:
	v_mov_b32_e32 v2, s11
	s_mov_b64 s[46:47], 0
	global_store_dword v[6:7], v2, off
.LBB22_230:
	s_andn2_b64 vcc, exec, s[46:47]
	s_cbranch_vccnz .LBB22_232
; %bb.231:
	v_mov_b32_e32 v2, s11
	global_store_short v[6:7], v2, off
.LBB22_232:
	s_mov_b64 s[46:47], 0
.LBB22_233:
	s_andn2_b64 vcc, exec, s[46:47]
	s_cbranch_vccnz .LBB22_238
; %bb.234:
	s_andn2_b64 vcc, exec, s[28:29]
	v_mov_b32_e32 v2, 0x80
	s_cbranch_vccnz .LBB22_237
; %bb.235:
	s_or_b64 s[46:47], s[2:3], s[30:31]
	s_andn2_b64 vcc, exec, s[46:47]
	v_mov_b32_e32 v2, 0
	s_cbranch_vccnz .LBB22_237
; %bb.236:
	v_mov_b32_e32 v2, s61
	v_cndmask_b32_e64 v2, v13, v2, s[2:3]
	v_or_b32_e32 v2, v2, v10
.LBB22_237:
	global_store_byte v[6:7], v2, off
.LBB22_238:
	s_mov_b64 s[46:47], -1
.LBB22_239:
	s_mov_b64 s[48:49], 0
.LBB22_240:
	s_and_b64 vcc, exec, s[48:49]
	s_cbranch_vccz .LBB22_262
; %bb.241:
	s_cmp_gt_i32 s52, 22
	s_mov_b64 s[48:49], -1
	s_cbranch_scc0 .LBB22_254
; %bb.242:
	s_cmp_lt_i32 s52, 24
	s_mov_b64 s[46:47], -1
	s_cbranch_scc1 .LBB22_251
; %bb.243:
	s_cmp_gt_i32 s52, 24
	s_cbranch_scc0 .LBB22_248
; %bb.244:
	s_andn2_b64 vcc, exec, s[24:25]
	v_mov_b32_e32 v2, 0x80
	s_cbranch_vccnz .LBB22_247
; %bb.245:
	s_or_b64 s[46:47], s[0:1], s[26:27]
	s_andn2_b64 vcc, exec, s[46:47]
	v_mov_b32_e32 v2, 0
	s_cbranch_vccnz .LBB22_247
; %bb.246:
	v_mov_b32_e32 v2, s59
	v_cndmask_b32_e64 v2, v12, v2, s[0:1]
	v_or_b32_e32 v2, v2, v10
.LBB22_247:
	s_mov_b64 s[46:47], 0
	global_store_byte v[6:7], v2, off
.LBB22_248:
	s_and_b64 vcc, exec, s[46:47]
	s_cbranch_vccz .LBB22_250
; %bb.249:
	s_and_b64 s[46:47], s[22:23], exec
	s_cselect_b32 s48, s58, s57
	s_and_b64 s[46:47], s[20:21], exec
	s_cselect_b32 s46, s60, s48
	v_or_b32_e32 v2, s46, v10
	global_store_byte v[6:7], v2, off
.LBB22_250:
	s_mov_b64 s[46:47], 0
.LBB22_251:
	s_andn2_b64 vcc, exec, s[46:47]
	s_cbranch_vccnz .LBB22_253
; %bb.252:
	s_and_b64 s[46:47], s[18:19], exec
	s_cselect_b32 s48, s55, s54
	s_and_b64 s[46:47], s[16:17], exec
	s_cselect_b32 s46, s56, s48
	v_or_b32_e32 v2, s46, v10
	global_store_byte v[6:7], v2, off
.LBB22_253:
	s_mov_b64 s[48:49], 0
	s_mov_b64 s[46:47], -1
.LBB22_254:
	s_andn2_b64 vcc, exec, s[48:49]
	s_cbranch_vccnz .LBB22_262
; %bb.255:
	s_cmp_gt_i32 s52, 14
	s_mov_b64 s[48:49], -1
	s_cbranch_scc0 .LBB22_259
; %bb.256:
	s_cmp_eq_u32 s52, 15
	s_mov_b64 s[44:45], -1
	s_cbranch_scc0 .LBB22_258
; %bb.257:
	global_store_short v[6:7], v11, off
	s_mov_b64 s[46:47], -1
	s_mov_b64 s[44:45], 0
.LBB22_258:
	s_mov_b64 s[48:49], 0
.LBB22_259:
	s_and_b64 vcc, exec, s[48:49]
	s_cbranch_vccz .LBB22_262
; %bb.260:
	s_cmp_eq_u32 s52, 11
	s_mov_b64 s[44:45], -1
	s_cbranch_scc0 .LBB22_262
; %bb.261:
	s_mov_b64 s[46:47], -1
	s_mov_b64 s[44:45], 0
	global_store_byte v[6:7], v9, off
.LBB22_262:
	s_mov_b64 s[48:49], 0
.LBB22_263:
	s_and_b64 vcc, exec, s[48:49]
	s_cbranch_vccz .LBB22_302
; %bb.264:
	s_and_b32 s48, 0xffff, s51
	s_cmp_lt_i32 s48, 5
	s_mov_b64 s[46:47], -1
	s_cbranch_scc1 .LBB22_285
; %bb.265:
	s_cmp_lt_i32 s48, 8
	s_cbranch_scc1 .LBB22_275
; %bb.266:
	s_cmp_lt_i32 s48, 9
	s_cbranch_scc1 .LBB22_272
; %bb.267:
	s_cmp_gt_i32 s48, 9
	s_cbranch_scc0 .LBB22_269
; %bb.268:
	v_mov_b32_e32 v2, 0
	v_mov_b32_e32 v3, v2
	s_mov_b64 s[46:47], 0
	global_store_dwordx4 v[6:7], v[0:3], off
.LBB22_269:
	s_andn2_b64 vcc, exec, s[46:47]
	s_cbranch_vccnz .LBB22_271
; %bb.270:
	v_mov_b32_e32 v5, 0
	global_store_dwordx2 v[6:7], v[4:5], off
.LBB22_271:
	s_mov_b64 s[46:47], 0
.LBB22_272:
	s_andn2_b64 vcc, exec, s[46:47]
	s_cbranch_vccnz .LBB22_274
; %bb.273:
	global_store_dword v[6:7], v8, off
.LBB22_274:
	s_mov_b64 s[46:47], 0
.LBB22_275:
	s_andn2_b64 vcc, exec, s[46:47]
	s_cbranch_vccnz .LBB22_284
; %bb.276:
	s_cmp_lt_i32 s48, 6
	s_mov_b64 s[46:47], -1
	s_cbranch_scc1 .LBB22_282
; %bb.277:
	s_cmp_gt_i32 s48, 6
	s_cbranch_scc0 .LBB22_279
; %bb.278:
	s_mov_b64 s[46:47], 0
	global_store_dwordx2 v[6:7], v[0:1], off
.LBB22_279:
	s_andn2_b64 vcc, exec, s[46:47]
	s_cbranch_vccnz .LBB22_281
; %bb.280:
	global_store_dword v[6:7], v4, off
.LBB22_281:
	s_mov_b64 s[46:47], 0
.LBB22_282:
	s_andn2_b64 vcc, exec, s[46:47]
	s_cbranch_vccnz .LBB22_284
; %bb.283:
	global_store_short v[6:7], v8, off
.LBB22_284:
	s_mov_b64 s[46:47], 0
.LBB22_285:
	s_andn2_b64 vcc, exec, s[46:47]
	s_cbranch_vccnz .LBB22_301
; %bb.286:
	s_cmp_lt_i32 s48, 2
	s_mov_b64 s[46:47], -1
	s_cbranch_scc1 .LBB22_296
; %bb.287:
	s_cmp_lt_i32 s48, 3
	s_cbranch_scc1 .LBB22_293
; %bb.288:
	s_cmp_gt_i32 s48, 3
	s_cbranch_scc0 .LBB22_290
; %bb.289:
	v_mov_b32_e32 v2, s14
	v_mov_b32_e32 v3, s15
	s_mov_b64 s[46:47], 0
	global_store_dwordx2 v[6:7], v[2:3], off
.LBB22_290:
	s_andn2_b64 vcc, exec, s[46:47]
	s_cbranch_vccnz .LBB22_292
; %bb.291:
	v_mov_b32_e32 v2, s11
	global_store_dword v[6:7], v2, off
.LBB22_292:
	s_mov_b64 s[46:47], 0
.LBB22_293:
	s_andn2_b64 vcc, exec, s[46:47]
	s_cbranch_vccnz .LBB22_295
; %bb.294:
	v_mov_b32_e32 v2, s11
	global_store_short v[6:7], v2, off
.LBB22_295:
	s_mov_b64 s[46:47], 0
.LBB22_296:
	s_andn2_b64 vcc, exec, s[46:47]
	s_cbranch_vccnz .LBB22_301
; %bb.297:
	s_cmp_gt_i32 s48, 0
	s_mov_b64 s[46:47], -1
	s_cbranch_scc0 .LBB22_299
; %bb.298:
	v_mov_b32_e32 v2, s11
	s_mov_b64 s[46:47], 0
	global_store_byte v[6:7], v2, off
.LBB22_299:
	s_andn2_b64 vcc, exec, s[46:47]
	s_cbranch_vccnz .LBB22_301
; %bb.300:
	v_mov_b32_e32 v2, s11
	global_store_byte v[6:7], v2, off
.LBB22_301:
	s_mov_b64 s[46:47], -1
.LBB22_302:
	s_andn2_b64 vcc, exec, s[46:47]
	s_cbranch_vccnz .LBB22_304
; %bb.303:
	v_add_u32_e32 v15, 0x80, v15
	s_mov_b64 s[46:47], -1
	s_branch .LBB22_305
.LBB22_304:
	s_mov_b64 s[46:47], 0
                                        ; implicit-def: $vgpr15
.LBB22_305:
	s_andn2_b64 s[48:49], s[38:39], exec
	s_and_b64 s[44:45], s[44:45], exec
	s_or_b64 s[44:45], s[48:49], s[44:45]
	s_orn2_b64 s[48:49], s[46:47], exec
.LBB22_306:
	s_or_b64 exec, exec, s[42:43]
	s_mov_b64 s[46:47], 0
	s_mov_b64 s[52:53], 0
                                        ; implicit-def: $sgpr62
                                        ; implicit-def: $vgpr6_vgpr7
	s_and_saveexec_b64 s[42:43], s[48:49]
	s_cbranch_execz .LBB22_362
; %bb.307:
	v_cmp_gt_i32_e32 vcc, s50, v15
	s_mov_b64 s[50:51], 0
	s_mov_b64 s[48:49], s[44:45]
                                        ; implicit-def: $sgpr62
                                        ; implicit-def: $vgpr6_vgpr7
	s_and_saveexec_b64 s[46:47], vcc
	s_cbranch_execz .LBB22_361
; %bb.308:
	v_mul_lo_u32 v2, v15, s10
	v_mov_b32_e32 v3, s9
	s_and_b32 s62, s33, 0xff
	s_cmp_lt_i32 s62, 11
	v_ashrrev_i32_e32 v5, 31, v2
	v_add_co_u32_e32 v6, vcc, s8, v2
	v_addc_co_u32_e32 v7, vcc, v3, v5, vcc
	s_cbranch_scc1 .LBB22_358
; %bb.309:
	s_and_b32 s52, 0xffff, s62
	s_mov_b64 s[50:51], -1
	s_cmp_gt_i32 s52, 25
	s_mov_b64 s[48:49], s[44:45]
	s_cbranch_scc0 .LBB22_337
; %bb.310:
	s_cmp_gt_i32 s52, 28
	s_mov_b64 s[48:49], s[44:45]
	s_cbranch_scc0 .LBB22_324
; %bb.311:
	;; [unrolled: 4-line block ×4, first 2 shown]
	s_cmp_eq_u32 s52, 46
	s_mov_b64 s[48:49], -1
	s_cbranch_scc0 .LBB22_315
; %bb.314:
	global_store_dword v[6:7], v11, off
	s_mov_b64 s[48:49], 0
.LBB22_315:
	s_mov_b64 s[50:51], 0
.LBB22_316:
	s_and_b64 vcc, exec, s[50:51]
	s_cbranch_vccz .LBB22_319
; %bb.317:
	s_cmp_eq_u32 s52, 44
	s_mov_b64 s[48:49], -1
	s_cbranch_scc0 .LBB22_319
; %bb.318:
	v_mov_b32_e32 v2, 0xffff
	v_cndmask_b32_e64 v2, v14, v2, s[4:5]
	global_store_byte v[6:7], v2, off
	s_mov_b64 s[48:49], 0
.LBB22_319:
	s_mov_b64 s[50:51], 0
.LBB22_320:
	s_and_b64 vcc, exec, s[50:51]
	s_cbranch_vccz .LBB22_323
; %bb.321:
	s_cmp_eq_u32 s52, 29
	s_mov_b64 s[48:49], -1
	s_cbranch_scc0 .LBB22_323
; %bb.322:
	v_mov_b32_e32 v2, s14
	v_mov_b32_e32 v3, s15
	global_store_dwordx2 v[6:7], v[2:3], off
	s_mov_b64 s[48:49], 0
.LBB22_323:
	s_mov_b64 s[50:51], 0
.LBB22_324:
	s_and_b64 vcc, exec, s[50:51]
	s_cbranch_vccz .LBB22_336
; %bb.325:
	s_cmp_lt_i32 s52, 27
	s_mov_b64 s[4:5], -1
	s_cbranch_scc1 .LBB22_331
; %bb.326:
	s_cmp_gt_i32 s52, 27
	s_cbranch_scc0 .LBB22_328
; %bb.327:
	v_mov_b32_e32 v2, s11
	s_mov_b64 s[4:5], 0
	global_store_dword v[6:7], v2, off
.LBB22_328:
	s_andn2_b64 vcc, exec, s[4:5]
	s_cbranch_vccnz .LBB22_330
; %bb.329:
	v_mov_b32_e32 v2, s11
	global_store_short v[6:7], v2, off
.LBB22_330:
	s_mov_b64 s[4:5], 0
.LBB22_331:
	s_andn2_b64 vcc, exec, s[4:5]
	s_cbranch_vccnz .LBB22_336
; %bb.332:
	s_andn2_b64 vcc, exec, s[28:29]
	v_mov_b32_e32 v2, 0x80
	s_cbranch_vccnz .LBB22_335
; %bb.333:
	s_or_b64 s[4:5], s[2:3], s[30:31]
	s_andn2_b64 vcc, exec, s[4:5]
	v_mov_b32_e32 v2, 0
	s_cbranch_vccnz .LBB22_335
; %bb.334:
	v_mov_b32_e32 v2, s61
	v_cndmask_b32_e64 v2, v13, v2, s[2:3]
	v_or_b32_e32 v2, v2, v10
.LBB22_335:
	global_store_byte v[6:7], v2, off
.LBB22_336:
	s_mov_b64 s[50:51], 0
.LBB22_337:
	s_mov_b64 s[2:3], 0
	s_and_b64 vcc, exec, s[50:51]
	s_cbranch_vccz .LBB22_359
; %bb.338:
	s_cmp_gt_i32 s52, 22
	s_mov_b64 s[4:5], -1
	s_cbranch_scc0 .LBB22_351
; %bb.339:
	s_cmp_lt_i32 s52, 24
	s_cbranch_scc1 .LBB22_348
; %bb.340:
	s_cmp_gt_i32 s52, 24
	s_cbranch_scc0 .LBB22_345
; %bb.341:
	s_andn2_b64 vcc, exec, s[24:25]
	v_mov_b32_e32 v2, 0x80
	s_cbranch_vccnz .LBB22_344
; %bb.342:
	s_or_b64 s[4:5], s[0:1], s[26:27]
	s_andn2_b64 vcc, exec, s[4:5]
	v_mov_b32_e32 v2, 0
	s_cbranch_vccnz .LBB22_344
; %bb.343:
	v_mov_b32_e32 v2, s59
	v_cndmask_b32_e64 v2, v12, v2, s[0:1]
	v_or_b32_e32 v2, v2, v10
.LBB22_344:
	s_mov_b64 s[4:5], 0
	global_store_byte v[6:7], v2, off
.LBB22_345:
	s_and_b64 vcc, exec, s[4:5]
	s_cbranch_vccz .LBB22_347
; %bb.346:
	s_and_b64 s[0:1], s[22:23], exec
	s_cselect_b32 s4, s58, s57
	s_and_b64 s[0:1], s[20:21], exec
	s_cselect_b32 s0, s60, s4
	v_or_b32_e32 v2, s0, v10
	global_store_byte v[6:7], v2, off
.LBB22_347:
	s_mov_b64 s[4:5], 0
.LBB22_348:
	s_andn2_b64 vcc, exec, s[4:5]
	s_cbranch_vccnz .LBB22_350
; %bb.349:
	s_and_b64 s[0:1], s[18:19], exec
	s_cselect_b32 s4, s55, s54
	s_and_b64 s[0:1], s[16:17], exec
	s_cselect_b32 s0, s56, s4
	v_or_b32_e32 v2, s0, v10
	global_store_byte v[6:7], v2, off
.LBB22_350:
	s_mov_b64 s[4:5], 0
.LBB22_351:
	s_andn2_b64 vcc, exec, s[4:5]
	s_mov_b64 s[0:1], 0
	s_cbranch_vccnz .LBB22_360
; %bb.352:
	s_cmp_gt_i32 s52, 14
	s_mov_b64 s[4:5], -1
	s_cbranch_scc0 .LBB22_356
; %bb.353:
	s_cmp_eq_u32 s52, 15
	s_mov_b64 s[48:49], -1
	s_cbranch_scc0 .LBB22_355
; %bb.354:
	global_store_short v[6:7], v11, off
	s_mov_b64 s[48:49], 0
.LBB22_355:
	s_mov_b64 s[4:5], 0
.LBB22_356:
	s_and_b64 vcc, exec, s[4:5]
	s_cbranch_vccz .LBB22_360
; %bb.357:
	s_cmp_lg_u32 s52, 11
	s_cselect_b64 s[4:5], -1, 0
	s_andn2_b64 s[16:17], s[48:49], exec
	s_and_b64 s[4:5], s[4:5], exec
	s_mov_b64 s[0:1], -1
	s_or_b64 s[48:49], s[16:17], s[4:5]
	s_branch .LBB22_360
.LBB22_358:
	s_mov_b64 s[0:1], 0
	s_mov_b64 s[2:3], -1
	s_mov_b64 s[48:49], s[44:45]
	s_branch .LBB22_360
.LBB22_359:
	s_mov_b64 s[0:1], 0
.LBB22_360:
	s_and_b64 s[52:53], s[2:3], exec
	s_and_b64 s[50:51], s[0:1], exec
	s_andn2_b64 s[0:1], s[44:45], exec
	s_and_b64 s[2:3], s[48:49], exec
	s_or_b64 s[48:49], s[0:1], s[2:3]
.LBB22_361:
	s_or_b64 exec, exec, s[46:47]
	s_andn2_b64 s[0:1], s[44:45], exec
	s_and_b64 s[2:3], s[48:49], exec
	s_and_b64 s[52:53], s[52:53], exec
	;; [unrolled: 1-line block ×3, first 2 shown]
	s_or_b64 s[44:45], s[0:1], s[2:3]
.LBB22_362:
	s_or_b64 exec, exec, s[42:43]
	s_andn2_b64 s[0:1], s[38:39], exec
	s_and_b64 s[2:3], s[44:45], exec
	s_and_b64 s[42:43], s[52:53], exec
	;; [unrolled: 1-line block ×3, first 2 shown]
	s_or_b64 s[38:39], s[0:1], s[2:3]
.LBB22_363:
	s_or_b64 exec, exec, s[40:41]
	s_andn2_b64 s[0:1], s[34:35], exec
	s_and_b64 s[2:3], s[38:39], exec
	s_and_b64 s[42:43], s[42:43], exec
	;; [unrolled: 1-line block ×3, first 2 shown]
	s_or_b64 s[34:35], s[0:1], s[2:3]
	s_or_b64 exec, exec, s[36:37]
	s_mov_b64 s[0:1], 0
	s_and_saveexec_b64 s[2:3], s[34:35]
	s_cbranch_execz .LBB22_110
.LBB22_364:
	s_mov_b64 s[0:1], exec
	s_andn2_b64 s[40:41], s[40:41], exec
	s_trap 2
	s_or_b64 exec, exec, s[2:3]
	s_and_saveexec_b64 s[2:3], s[40:41]
	s_xor_b64 s[2:3], exec, s[2:3]
	s_cbranch_execnz .LBB22_111
.LBB22_365:
	s_or_b64 exec, exec, s[2:3]
	s_and_saveexec_b64 s[2:3], s[42:43]
	s_xor_b64 s[2:3], exec, s[2:3]
	s_cbranch_execz .LBB22_403
.LBB22_366:
	s_sext_i32_i16 s16, s62
	s_cmp_lt_i32 s16, 5
	s_mov_b64 s[4:5], -1
	s_cbranch_scc1 .LBB22_387
; %bb.367:
	s_cmp_lt_i32 s16, 8
	s_cbranch_scc1 .LBB22_377
; %bb.368:
	s_cmp_lt_i32 s16, 9
	s_cbranch_scc1 .LBB22_374
; %bb.369:
	s_cmp_gt_i32 s16, 9
	s_cbranch_scc0 .LBB22_371
; %bb.370:
	v_mov_b32_e32 v2, 0
	v_mov_b32_e32 v3, v2
	s_mov_b64 s[4:5], 0
	global_store_dwordx4 v[6:7], v[0:3], off
.LBB22_371:
	s_andn2_b64 vcc, exec, s[4:5]
	s_cbranch_vccnz .LBB22_373
; %bb.372:
	v_mov_b32_e32 v5, 0
	global_store_dwordx2 v[6:7], v[4:5], off
.LBB22_373:
	s_mov_b64 s[4:5], 0
.LBB22_374:
	s_andn2_b64 vcc, exec, s[4:5]
	s_cbranch_vccnz .LBB22_376
; %bb.375:
	global_store_dword v[6:7], v8, off
.LBB22_376:
	s_mov_b64 s[4:5], 0
.LBB22_377:
	s_andn2_b64 vcc, exec, s[4:5]
	s_cbranch_vccnz .LBB22_386
; %bb.378:
	s_sext_i32_i16 s16, s62
	s_cmp_lt_i32 s16, 6
	s_mov_b64 s[4:5], -1
	s_cbranch_scc1 .LBB22_384
; %bb.379:
	s_cmp_gt_i32 s16, 6
	s_cbranch_scc0 .LBB22_381
; %bb.380:
	s_mov_b64 s[4:5], 0
	global_store_dwordx2 v[6:7], v[0:1], off
.LBB22_381:
	s_andn2_b64 vcc, exec, s[4:5]
	s_cbranch_vccnz .LBB22_383
; %bb.382:
	global_store_dword v[6:7], v4, off
.LBB22_383:
	s_mov_b64 s[4:5], 0
.LBB22_384:
	s_andn2_b64 vcc, exec, s[4:5]
	s_cbranch_vccnz .LBB22_386
; %bb.385:
	global_store_short v[6:7], v8, off
.LBB22_386:
	s_mov_b64 s[4:5], 0
.LBB22_387:
	s_andn2_b64 vcc, exec, s[4:5]
	s_cbranch_vccnz .LBB22_403
; %bb.388:
	s_sext_i32_i16 s16, s62
	s_cmp_lt_i32 s16, 2
	s_mov_b64 s[4:5], -1
	s_cbranch_scc1 .LBB22_398
; %bb.389:
	s_cmp_lt_i32 s16, 3
	s_cbranch_scc1 .LBB22_395
; %bb.390:
	s_cmp_gt_i32 s16, 3
	s_cbranch_scc0 .LBB22_392
; %bb.391:
	v_mov_b32_e32 v0, s14
	v_mov_b32_e32 v1, s15
	s_mov_b64 s[4:5], 0
	global_store_dwordx2 v[6:7], v[0:1], off
.LBB22_392:
	s_andn2_b64 vcc, exec, s[4:5]
	s_cbranch_vccnz .LBB22_394
; %bb.393:
	v_mov_b32_e32 v0, s11
	global_store_dword v[6:7], v0, off
.LBB22_394:
	s_mov_b64 s[4:5], 0
.LBB22_395:
	s_andn2_b64 vcc, exec, s[4:5]
	s_cbranch_vccnz .LBB22_397
; %bb.396:
	v_mov_b32_e32 v0, s11
	global_store_short v[6:7], v0, off
.LBB22_397:
	s_mov_b64 s[4:5], 0
.LBB22_398:
	s_andn2_b64 vcc, exec, s[4:5]
	s_cbranch_vccnz .LBB22_403
; %bb.399:
	s_sext_i32_i16 s4, s62
	s_cmp_gt_i32 s4, 0
	s_mov_b64 s[4:5], -1
	s_cbranch_scc0 .LBB22_401
; %bb.400:
	v_mov_b32_e32 v0, s11
	s_mov_b64 s[4:5], 0
	global_store_byte v[6:7], v0, off
.LBB22_401:
	s_andn2_b64 vcc, exec, s[4:5]
	s_cbranch_vccnz .LBB22_403
; %bb.402:
	v_mov_b32_e32 v0, s11
	global_store_byte v[6:7], v0, off
.LBB22_403:
	s_or_b64 exec, exec, s[2:3]
	s_and_b64 s[0:1], s[0:1], exec
                                        ; implicit-def: $vgpr15
.LBB22_404:
	s_or_saveexec_b64 s[2:3], s[12:13]
	s_mov_b64 s[12:13], 0
                                        ; implicit-def: $sgpr18
                                        ; implicit-def: $vgpr0_vgpr1
	s_xor_b64 exec, exec, s[2:3]
	s_cbranch_execz .LBB22_433
; %bb.405:
	v_mul_lo_u32 v2, s10, v15
	v_mov_b32_e32 v1, s9
	s_and_b32 s18, s33, 0xff
	s_cmp_lt_i32 s18, 11
	v_ashrrev_i32_e32 v3, 31, v2
	v_add_co_u32_e32 v0, vcc, s8, v2
	v_addc_co_u32_e32 v1, vcc, v1, v3, vcc
	s_cbranch_scc1 .LBB22_436
; %bb.406:
	s_and_b32 s16, 0xffff, s18
	s_mov_b64 s[14:15], -1
	s_cmp_gt_i32 s16, 25
	s_mov_b64 s[4:5], 0
	s_cbranch_scc0 .LBB22_446
; %bb.407:
	s_cmp_gt_i32 s16, 28
	s_cbranch_scc0 .LBB22_422
; %bb.408:
	s_cmp_gt_i32 s16, 43
	;; [unrolled: 3-line block ×3, first 2 shown]
	s_cbranch_scc0 .LBB22_412
; %bb.410:
	s_mov_b64 s[4:5], -1
	s_mov_b64 s[14:15], 0
	s_cmp_eq_u32 s16, 46
	s_cbranch_scc0 .LBB22_412
; %bb.411:
	v_cvt_f32_i32_e32 v3, s11
	s_mov_b64 s[4:5], 0
	s_mov_b64 s[12:13], -1
	v_bfe_u32 v4, v3, 16, 1
	v_add_u32_e32 v3, v3, v4
	v_add_u32_e32 v3, 0x7fff, v3
	v_lshrrev_b32_e32 v3, 16, v3
	global_store_dword v[0:1], v3, off
.LBB22_412:
	s_and_b64 vcc, exec, s[14:15]
	s_cbranch_vccz .LBB22_417
; %bb.413:
	s_cmp_eq_u32 s16, 44
	s_mov_b64 s[4:5], -1
	s_cbranch_scc0 .LBB22_417
; %bb.414:
	v_cvt_f32_i32_e32 v3, s11
	v_mov_b32_e32 v4, 0xff
	v_readfirstlane_b32 s4, v3
	s_bfe_u32 s5, s4, 0x80017
	s_cmpk_eq_i32 s5, 0xff
	s_cbranch_scc1 .LBB22_416
; %bb.415:
	s_bitcmp1_b32 s4, 22
	s_cselect_b64 s[12:13], -1, 0
	s_and_b32 s4, s4, 0x3fffff
	s_or_b32 s4, s5, s4
	s_cmp_lg_u32 s4, 0
	s_cselect_b64 s[4:5], -1, 0
	s_and_b64 s[4:5], s[12:13], s[4:5]
	v_lshrrev_b32_e32 v3, 23, v3
	v_cndmask_b32_e64 v4, 0, 1, s[4:5]
	v_add_u32_e32 v4, v3, v4
.LBB22_416:
	s_mov_b64 s[4:5], 0
	s_mov_b64 s[12:13], -1
	global_store_byte v[0:1], v4, off
.LBB22_417:
	s_mov_b64 s[14:15], 0
.LBB22_418:
	s_and_b64 vcc, exec, s[14:15]
	s_cbranch_vccz .LBB22_421
; %bb.419:
	s_cmp_eq_u32 s16, 29
	s_mov_b64 s[4:5], -1
	s_cbranch_scc0 .LBB22_421
; %bb.420:
	s_ashr_i32 s4, s11, 31
	v_mov_b32_e32 v3, s11
	v_mov_b32_e32 v4, s4
	global_store_dwordx2 v[0:1], v[3:4], off
	s_mov_b64 s[4:5], 0
	s_mov_b64 s[12:13], -1
.LBB22_421:
	s_mov_b64 s[14:15], 0
.LBB22_422:
	s_and_b64 vcc, exec, s[14:15]
	s_cbranch_vccz .LBB22_445
; %bb.423:
	s_cmp_lt_i32 s16, 27
	s_mov_b64 s[12:13], -1
	s_cbranch_scc1 .LBB22_429
; %bb.424:
	s_cmp_gt_i32 s16, 27
	s_cbranch_scc0 .LBB22_426
; %bb.425:
	v_mov_b32_e32 v3, s11
	s_mov_b64 s[12:13], 0
	global_store_dword v[0:1], v3, off
.LBB22_426:
	s_andn2_b64 vcc, exec, s[12:13]
	s_cbranch_vccnz .LBB22_428
; %bb.427:
	v_mov_b32_e32 v3, s11
	global_store_short v[0:1], v3, off
.LBB22_428:
	s_mov_b64 s[12:13], 0
.LBB22_429:
	s_andn2_b64 vcc, exec, s[12:13]
	s_cbranch_vccnz .LBB22_444
; %bb.430:
	v_cvt_f32_i32_e32 v3, s11
	v_mov_b32_e32 v4, 0x80
	v_readfirstlane_b32 s17, v3
	s_and_b32 s12, s17, 0x7fffffff
	s_cmp_gt_u32 s12, 0x437fffff
	s_cbranch_scc1 .LBB22_443
; %bb.431:
	s_cmp_gt_u32 s12, 0x3bffffff
	s_cbranch_scc0 .LBB22_438
; %bb.432:
	s_bfe_u32 s12, s17, 0x10014
	s_add_i32 s12, s17, s12
	s_add_i32 s12, s12, 0x487ffff
	s_lshr_b32 s19, s12, 20
	s_mov_b64 s[14:15], 0
	s_mov_b64 s[12:13], -1
	s_branch .LBB22_439
.LBB22_433:
	s_or_b64 exec, exec, s[2:3]
	s_and_saveexec_b64 s[2:3], s[0:1]
	s_cbranch_execz .LBB22_834
.LBB22_434:
	; divergent unreachable
	s_or_b64 exec, exec, s[2:3]
	s_and_saveexec_b64 s[0:1], s[6:7]
	s_xor_b64 s[0:1], exec, s[0:1]
	s_cbranch_execnz .LBB22_835
.LBB22_435:
	s_or_b64 exec, exec, s[0:1]
	s_and_saveexec_b64 s[0:1], s[12:13]
	s_cbranch_execnz .LBB22_836
	s_branch .LBB22_873
.LBB22_436:
	s_mov_b64 s[4:5], s[0:1]
	s_cbranch_execnz .LBB22_496
.LBB22_437:
	s_andn2_b64 vcc, exec, s[12:13]
	s_cbranch_vccz .LBB22_534
	s_branch .LBB22_832
.LBB22_438:
	s_mov_b64 s[14:15], -1
	s_mov_b64 s[12:13], 0
                                        ; implicit-def: $sgpr19
.LBB22_439:
	s_andn2_b64 vcc, exec, s[14:15]
	v_mov_b32_e32 v3, s19
	s_cbranch_vccnz .LBB22_441
; %bb.440:
	v_mov_b32_e32 v3, 0x46000000
	v_add_f32_e64 v3, |s17|, v3
	v_and_b32_e32 v3, 0xff, v3
	v_cmp_ne_u32_e64 s[12:13], 0, v3
.LBB22_441:
	s_andn2_b64 vcc, exec, s[12:13]
	v_mov_b32_e32 v4, 0
	s_cbranch_vccnz .LBB22_443
; %bb.442:
	s_lshr_b32 s12, s17, 24
	s_and_b32 s12, s12, 0x80
	v_or_b32_e32 v4, s12, v3
.LBB22_443:
	global_store_byte v[0:1], v4, off
.LBB22_444:
	s_mov_b64 s[12:13], -1
.LBB22_445:
	s_mov_b64 s[14:15], 0
.LBB22_446:
	s_and_b64 vcc, exec, s[14:15]
	s_cbranch_vccz .LBB22_492
; %bb.447:
	s_cmp_gt_i32 s16, 22
	s_mov_b64 s[6:7], -1
	s_cbranch_scc0 .LBB22_485
; %bb.448:
	s_cmp_lt_i32 s16, 24
	s_cbranch_scc1 .LBB22_472
; %bb.449:
	s_cmp_gt_i32 s16, 24
	s_cbranch_scc0 .LBB22_459
; %bb.450:
	v_cvt_f32_i32_e32 v3, s11
	v_mov_b32_e32 v4, 0x80
	v_readfirstlane_b32 s14, v3
	s_and_b32 s6, s14, 0x7fffffff
	s_cmp_gt_u32 s6, 0x477fffff
	s_cbranch_scc1 .LBB22_458
; %bb.451:
	s_cmp_gt_u32 s6, 0x37ffffff
	s_cbranch_scc0 .LBB22_453
; %bb.452:
	s_bfe_u32 s6, s14, 0x10015
	s_add_i32 s6, s14, s6
	s_add_i32 s6, s6, 0x88fffff
	s_lshr_b32 s15, s6, 21
	s_mov_b64 s[12:13], 0
	s_mov_b64 s[6:7], -1
	s_branch .LBB22_454
.LBB22_453:
	s_mov_b64 s[12:13], -1
	s_mov_b64 s[6:7], 0
                                        ; implicit-def: $sgpr15
.LBB22_454:
	s_andn2_b64 vcc, exec, s[12:13]
	v_mov_b32_e32 v3, s15
	s_cbranch_vccnz .LBB22_456
; %bb.455:
	v_mov_b32_e32 v3, 0x42800000
	v_add_f32_e64 v3, |s14|, v3
	v_and_b32_e32 v3, 0xff, v3
	v_cmp_ne_u32_e64 s[6:7], 0, v3
.LBB22_456:
	s_andn2_b64 vcc, exec, s[6:7]
	v_mov_b32_e32 v4, 0
	s_cbranch_vccnz .LBB22_458
; %bb.457:
	s_lshr_b32 s6, s14, 24
	s_and_b32 s6, s6, 0x80
	v_or_b32_e32 v4, s6, v3
.LBB22_458:
	s_mov_b64 s[6:7], 0
	global_store_byte v[0:1], v4, off
.LBB22_459:
	s_and_b64 vcc, exec, s[6:7]
	s_cbranch_vccz .LBB22_471
; %bb.460:
	v_cvt_f32_i32_e32 v3, s11
	v_readfirstlane_b32 s12, v3
	s_and_b32 s13, s12, 0x7fffffff
	s_cmp_lt_u32 s13, 0x43f00000
	s_cbranch_scc0 .LBB22_463
; %bb.461:
	s_cmp_gt_u32 s13, 0x3c7fffff
	s_cbranch_scc0 .LBB22_464
; %bb.462:
	s_bfe_u32 s6, s12, 0x10014
	s_add_i32 s6, s12, s6
	s_add_i32 s6, s6, 0x407ffff
	s_lshr_b32 s7, s6, 20
	s_and_b32 s6, s6, 0xff00000
	s_cmp_lg_u32 s6, 0x7f00000
	s_cselect_b32 s14, s7, 0x7e
	s_mov_b64 s[6:7], 0
	s_branch .LBB22_465
.LBB22_463:
	s_mov_b64 s[6:7], -1
                                        ; implicit-def: $vgpr4
	s_branch .LBB22_468
.LBB22_464:
	s_mov_b64 s[6:7], -1
                                        ; implicit-def: $sgpr14
.LBB22_465:
	s_andn2_b64 vcc, exec, s[6:7]
	v_mov_b32_e32 v4, s14
	s_cbranch_vccnz .LBB22_467
; %bb.466:
	s_mov_b32 s6, 0x46800000
	v_add_f32_e64 v4, |v3|, s6
.LBB22_467:
	s_mov_b64 s[6:7], 0
.LBB22_468:
	s_andn2_b64 vcc, exec, s[6:7]
	s_cbranch_vccnz .LBB22_470
; %bb.469:
	s_cmp_gt_u32 s13, 0x7f800000
	s_movk_i32 s6, 0x7f
	s_cselect_b32 s6, s6, 0x7e
	v_mov_b32_e32 v4, s6
.LBB22_470:
	s_lshr_b32 s6, s12, 24
	s_and_b32 s6, s6, 0x80
	v_or_b32_e32 v3, s6, v4
	global_store_byte v[0:1], v3, off
.LBB22_471:
	s_mov_b64 s[6:7], 0
.LBB22_472:
	s_andn2_b64 vcc, exec, s[6:7]
	s_cbranch_vccnz .LBB22_484
; %bb.473:
	v_cvt_f32_i32_e32 v3, s11
	v_readfirstlane_b32 s12, v3
	s_and_b32 s13, s12, 0x7fffffff
	s_cmp_lt_u32 s13, 0x47800000
	s_cbranch_scc0 .LBB22_476
; %bb.474:
	s_cmp_gt_u32 s13, 0x387fffff
	s_cbranch_scc0 .LBB22_477
; %bb.475:
	s_bfe_u32 s6, s12, 0x10015
	s_add_i32 s6, s12, s6
	s_add_i32 s6, s6, 0x80fffff
	s_lshr_b32 s14, s6, 21
	s_mov_b64 s[6:7], 0
	s_branch .LBB22_478
.LBB22_476:
	s_mov_b64 s[6:7], -1
                                        ; implicit-def: $vgpr4
	s_branch .LBB22_481
.LBB22_477:
	s_mov_b64 s[6:7], -1
                                        ; implicit-def: $sgpr14
.LBB22_478:
	s_andn2_b64 vcc, exec, s[6:7]
	v_mov_b32_e32 v4, s14
	s_cbranch_vccnz .LBB22_480
; %bb.479:
	s_mov_b32 s6, 0x43000000
	v_add_f32_e64 v4, |v3|, s6
.LBB22_480:
	s_mov_b64 s[6:7], 0
.LBB22_481:
	s_andn2_b64 vcc, exec, s[6:7]
	s_cbranch_vccnz .LBB22_483
; %bb.482:
	s_cmp_gt_u32 s13, 0x7f800000
	s_movk_i32 s6, 0x7f
	s_cselect_b32 s6, s6, 0x7c
	v_mov_b32_e32 v4, s6
.LBB22_483:
	s_lshr_b32 s6, s12, 24
	s_and_b32 s6, s6, 0x80
	v_or_b32_e32 v3, s6, v4
	global_store_byte v[0:1], v3, off
.LBB22_484:
	s_mov_b64 s[6:7], 0
	s_mov_b64 s[12:13], -1
.LBB22_485:
	s_andn2_b64 vcc, exec, s[6:7]
	s_mov_b64 s[6:7], 0
	s_cbranch_vccnz .LBB22_492
; %bb.486:
	s_cmp_gt_i32 s16, 14
	s_mov_b64 s[14:15], -1
	s_cbranch_scc0 .LBB22_490
; %bb.487:
	s_cmp_eq_u32 s16, 15
	s_mov_b64 s[4:5], -1
	s_cbranch_scc0 .LBB22_489
; %bb.488:
	v_cvt_f32_i32_e32 v3, s11
	s_mov_b64 s[4:5], 0
	s_mov_b64 s[12:13], -1
	v_bfe_u32 v4, v3, 16, 1
	v_add_u32_e32 v3, v3, v4
	v_add_u32_e32 v3, 0x7fff, v3
	global_store_short_d16_hi v[0:1], v3, off
.LBB22_489:
	s_mov_b64 s[14:15], 0
.LBB22_490:
	s_and_b64 vcc, exec, s[14:15]
	s_cbranch_vccz .LBB22_492
; %bb.491:
	s_cmp_lg_u32 s16, 11
	s_mov_b64 s[6:7], -1
	s_cselect_b64 s[4:5], -1, 0
.LBB22_492:
	s_and_b64 vcc, exec, s[4:5]
	s_mov_b64 s[4:5], s[0:1]
	s_cbranch_vccnz .LBB22_564
; %bb.493:
	s_andn2_b64 vcc, exec, s[6:7]
	s_cbranch_vccnz .LBB22_495
.LBB22_494:
	s_cmp_lg_u32 s11, 0
	s_cselect_b64 s[6:7], -1, 0
	v_cndmask_b32_e64 v3, 0, 1, s[6:7]
	s_mov_b64 s[12:13], -1
	global_store_byte v[0:1], v3, off
.LBB22_495:
	s_branch .LBB22_437
.LBB22_496:
	s_and_b32 s12, 0xffff, s18
	s_cmp_lt_i32 s12, 5
	s_mov_b64 s[6:7], -1
	s_cbranch_scc1 .LBB22_517
; %bb.497:
	s_cmp_lt_i32 s12, 8
	s_cbranch_scc1 .LBB22_507
; %bb.498:
	s_cmp_lt_i32 s12, 9
	s_cbranch_scc1 .LBB22_504
; %bb.499:
	s_cmp_gt_i32 s12, 9
	s_cbranch_scc0 .LBB22_501
; %bb.500:
	v_cvt_f64_i32_e32 v[3:4], s11
	v_mov_b32_e32 v5, 0
	v_mov_b32_e32 v6, v5
	s_mov_b64 s[6:7], 0
	global_store_dwordx4 v[0:1], v[3:6], off
.LBB22_501:
	s_andn2_b64 vcc, exec, s[6:7]
	s_cbranch_vccnz .LBB22_503
; %bb.502:
	v_cvt_f32_i32_e32 v3, s11
	v_mov_b32_e32 v4, 0
	global_store_dwordx2 v[0:1], v[3:4], off
.LBB22_503:
	s_mov_b64 s[6:7], 0
.LBB22_504:
	s_andn2_b64 vcc, exec, s[6:7]
	s_cbranch_vccnz .LBB22_506
; %bb.505:
	v_cvt_f32_i32_e32 v3, s11
	v_cvt_f16_f32_e32 v3, v3
	global_store_dword v[0:1], v3, off
.LBB22_506:
	s_mov_b64 s[6:7], 0
.LBB22_507:
	s_andn2_b64 vcc, exec, s[6:7]
	s_cbranch_vccnz .LBB22_516
; %bb.508:
	s_cmp_lt_i32 s12, 6
	s_mov_b64 s[6:7], -1
	s_cbranch_scc1 .LBB22_514
; %bb.509:
	s_cmp_gt_i32 s12, 6
	s_cbranch_scc0 .LBB22_511
; %bb.510:
	v_cvt_f64_i32_e32 v[3:4], s11
	s_mov_b64 s[6:7], 0
	global_store_dwordx2 v[0:1], v[3:4], off
.LBB22_511:
	s_andn2_b64 vcc, exec, s[6:7]
	s_cbranch_vccnz .LBB22_513
; %bb.512:
	v_cvt_f32_i32_e32 v3, s11
	global_store_dword v[0:1], v3, off
.LBB22_513:
	s_mov_b64 s[6:7], 0
.LBB22_514:
	s_andn2_b64 vcc, exec, s[6:7]
	s_cbranch_vccnz .LBB22_516
; %bb.515:
	v_cvt_f32_i32_e32 v3, s11
	v_cvt_f16_f32_e32 v3, v3
	global_store_short v[0:1], v3, off
.LBB22_516:
	s_mov_b64 s[6:7], 0
.LBB22_517:
	s_andn2_b64 vcc, exec, s[6:7]
	s_cbranch_vccnz .LBB22_533
; %bb.518:
	s_cmp_lt_i32 s12, 2
	s_mov_b64 s[6:7], -1
	s_cbranch_scc1 .LBB22_528
; %bb.519:
	s_cmp_lt_i32 s12, 3
	s_cbranch_scc1 .LBB22_525
; %bb.520:
	s_cmp_gt_i32 s12, 3
	s_cbranch_scc0 .LBB22_522
; %bb.521:
	s_ashr_i32 s6, s11, 31
	v_mov_b32_e32 v3, s11
	v_mov_b32_e32 v4, s6
	global_store_dwordx2 v[0:1], v[3:4], off
	s_mov_b64 s[6:7], 0
.LBB22_522:
	s_andn2_b64 vcc, exec, s[6:7]
	s_cbranch_vccnz .LBB22_524
; %bb.523:
	v_mov_b32_e32 v3, s11
	global_store_dword v[0:1], v3, off
.LBB22_524:
	s_mov_b64 s[6:7], 0
.LBB22_525:
	s_andn2_b64 vcc, exec, s[6:7]
	s_cbranch_vccnz .LBB22_527
; %bb.526:
	v_mov_b32_e32 v3, s11
	global_store_short v[0:1], v3, off
.LBB22_527:
	s_mov_b64 s[6:7], 0
.LBB22_528:
	s_andn2_b64 vcc, exec, s[6:7]
	s_cbranch_vccnz .LBB22_533
; %bb.529:
	s_cmp_gt_i32 s12, 0
	s_mov_b64 s[6:7], -1
	s_cbranch_scc0 .LBB22_531
; %bb.530:
	v_mov_b32_e32 v3, s11
	global_store_byte v[0:1], v3, off
	s_mov_b64 s[6:7], 0
.LBB22_531:
	s_andn2_b64 vcc, exec, s[6:7]
	s_cbranch_vccnz .LBB22_533
; %bb.532:
	v_mov_b32_e32 v3, s11
	global_store_byte v[0:1], v3, off
.LBB22_533:
.LBB22_534:
	s_lshl_b32 s10, s10, 7
	v_add_u32_e32 v2, s10, v2
	v_ashrrev_i32_e32 v1, 31, v2
	v_mov_b32_e32 v3, s9
	v_add_co_u32_e32 v0, vcc, s8, v2
	s_cmp_lt_i32 s18, 11
	v_addc_co_u32_e32 v1, vcc, v3, v1, vcc
	s_cbranch_scc1 .LBB22_562
; %bb.535:
	s_and_b32 s19, 0xffff, s18
	s_mov_b64 s[16:17], -1
	s_mov_b64 s[12:13], 0
	s_cmp_gt_i32 s19, 25
	s_mov_b64 s[14:15], 0
	s_mov_b64 s[6:7], 0
	s_cbranch_scc0 .LBB22_573
; %bb.536:
	s_cmp_gt_i32 s19, 28
	s_cbranch_scc0 .LBB22_551
; %bb.537:
	s_cmp_gt_i32 s19, 43
	;; [unrolled: 3-line block ×3, first 2 shown]
	s_cbranch_scc0 .LBB22_541
; %bb.539:
	s_mov_b64 s[6:7], -1
	s_mov_b64 s[16:17], 0
	s_cmp_eq_u32 s19, 46
	s_cbranch_scc0 .LBB22_541
; %bb.540:
	v_cvt_f32_i32_e32 v3, s11
	s_mov_b64 s[6:7], 0
	s_mov_b64 s[14:15], -1
	v_bfe_u32 v4, v3, 16, 1
	v_add_u32_e32 v3, v3, v4
	v_add_u32_e32 v3, 0x7fff, v3
	v_lshrrev_b32_e32 v3, 16, v3
	global_store_dword v[0:1], v3, off
.LBB22_541:
	s_and_b64 vcc, exec, s[16:17]
	s_cbranch_vccz .LBB22_546
; %bb.542:
	s_cmp_eq_u32 s19, 44
	s_mov_b64 s[6:7], -1
	s_cbranch_scc0 .LBB22_546
; %bb.543:
	v_cvt_f32_i32_e32 v3, s11
	v_mov_b32_e32 v4, 0xff
	v_readfirstlane_b32 s6, v3
	s_bfe_u32 s7, s6, 0x80017
	s_cmpk_eq_i32 s7, 0xff
	s_cbranch_scc1 .LBB22_545
; %bb.544:
	s_bitcmp1_b32 s6, 22
	s_cselect_b64 s[14:15], -1, 0
	s_and_b32 s6, s6, 0x3fffff
	s_or_b32 s6, s7, s6
	s_cmp_lg_u32 s6, 0
	s_cselect_b64 s[6:7], -1, 0
	s_and_b64 s[6:7], s[14:15], s[6:7]
	v_lshrrev_b32_e32 v3, 23, v3
	v_cndmask_b32_e64 v4, 0, 1, s[6:7]
	v_add_u32_e32 v4, v3, v4
.LBB22_545:
	s_mov_b64 s[6:7], 0
	s_mov_b64 s[14:15], -1
	global_store_byte v[0:1], v4, off
.LBB22_546:
	s_mov_b64 s[16:17], 0
.LBB22_547:
	s_and_b64 vcc, exec, s[16:17]
	s_cbranch_vccz .LBB22_550
; %bb.548:
	s_cmp_eq_u32 s19, 29
	s_mov_b64 s[6:7], -1
	s_cbranch_scc0 .LBB22_550
; %bb.549:
	s_ashr_i32 s6, s11, 31
	v_mov_b32_e32 v3, s11
	v_mov_b32_e32 v4, s6
	global_store_dwordx2 v[0:1], v[3:4], off
	s_mov_b64 s[6:7], 0
	s_mov_b64 s[14:15], -1
.LBB22_550:
	s_mov_b64 s[16:17], 0
.LBB22_551:
	s_and_b64 vcc, exec, s[16:17]
	s_cbranch_vccz .LBB22_572
; %bb.552:
	s_cmp_lt_i32 s19, 27
	s_mov_b64 s[14:15], -1
	s_cbranch_scc1 .LBB22_558
; %bb.553:
	s_cmp_gt_i32 s19, 27
	s_cbranch_scc0 .LBB22_555
; %bb.554:
	v_mov_b32_e32 v3, s11
	s_mov_b64 s[14:15], 0
	global_store_dword v[0:1], v3, off
.LBB22_555:
	s_andn2_b64 vcc, exec, s[14:15]
	s_cbranch_vccnz .LBB22_557
; %bb.556:
	v_mov_b32_e32 v3, s11
	global_store_short v[0:1], v3, off
.LBB22_557:
	s_mov_b64 s[14:15], 0
.LBB22_558:
	s_andn2_b64 vcc, exec, s[14:15]
	s_cbranch_vccnz .LBB22_571
; %bb.559:
	v_cvt_f32_i32_e32 v3, s11
	v_mov_b32_e32 v4, 0x80
	v_readfirstlane_b32 s20, v3
	s_and_b32 s14, s20, 0x7fffffff
	s_cmp_gt_u32 s14, 0x437fffff
	s_cbranch_scc1 .LBB22_570
; %bb.560:
	s_cmp_gt_u32 s14, 0x3bffffff
	s_cbranch_scc0 .LBB22_565
; %bb.561:
	s_bfe_u32 s14, s20, 0x10014
	s_add_i32 s14, s20, s14
	s_add_i32 s14, s14, 0x487ffff
	s_lshr_b32 s21, s14, 20
	s_mov_b64 s[16:17], 0
	s_mov_b64 s[14:15], -1
	s_branch .LBB22_566
.LBB22_562:
	s_mov_b64 s[14:15], 0
	s_cbranch_execnz .LBB22_623
.LBB22_563:
	s_andn2_b64 vcc, exec, s[14:15]
	s_cbranch_vccz .LBB22_661
	s_branch .LBB22_832
.LBB22_564:
	s_or_b64 s[4:5], s[0:1], exec
	s_trap 2
	s_cbranch_execz .LBB22_494
	s_branch .LBB22_495
.LBB22_565:
	s_mov_b64 s[16:17], -1
	s_mov_b64 s[14:15], 0
                                        ; implicit-def: $sgpr21
.LBB22_566:
	s_andn2_b64 vcc, exec, s[16:17]
	v_mov_b32_e32 v3, s21
	s_cbranch_vccnz .LBB22_568
; %bb.567:
	v_mov_b32_e32 v3, 0x46000000
	v_add_f32_e64 v3, |s20|, v3
	v_and_b32_e32 v3, 0xff, v3
	v_cmp_ne_u32_e64 s[14:15], 0, v3
.LBB22_568:
	s_andn2_b64 vcc, exec, s[14:15]
	v_mov_b32_e32 v4, 0
	s_cbranch_vccnz .LBB22_570
; %bb.569:
	s_lshr_b32 s14, s20, 24
	s_and_b32 s14, s14, 0x80
	v_or_b32_e32 v4, s14, v3
.LBB22_570:
	global_store_byte v[0:1], v4, off
.LBB22_571:
	s_mov_b64 s[14:15], -1
.LBB22_572:
	s_mov_b64 s[16:17], 0
.LBB22_573:
	s_and_b64 vcc, exec, s[16:17]
	s_cbranch_vccz .LBB22_619
; %bb.574:
	s_cmp_gt_i32 s19, 22
	s_mov_b64 s[12:13], -1
	s_cbranch_scc0 .LBB22_612
; %bb.575:
	s_cmp_lt_i32 s19, 24
	s_cbranch_scc1 .LBB22_599
; %bb.576:
	s_cmp_gt_i32 s19, 24
	s_cbranch_scc0 .LBB22_586
; %bb.577:
	v_cvt_f32_i32_e32 v3, s11
	v_mov_b32_e32 v4, 0x80
	v_readfirstlane_b32 s16, v3
	s_and_b32 s12, s16, 0x7fffffff
	s_cmp_gt_u32 s12, 0x477fffff
	s_cbranch_scc1 .LBB22_585
; %bb.578:
	s_cmp_gt_u32 s12, 0x37ffffff
	s_cbranch_scc0 .LBB22_580
; %bb.579:
	s_bfe_u32 s12, s16, 0x10015
	s_add_i32 s12, s16, s12
	s_add_i32 s12, s12, 0x88fffff
	s_lshr_b32 s17, s12, 21
	s_mov_b64 s[14:15], 0
	s_mov_b64 s[12:13], -1
	s_branch .LBB22_581
.LBB22_580:
	s_mov_b64 s[14:15], -1
	s_mov_b64 s[12:13], 0
                                        ; implicit-def: $sgpr17
.LBB22_581:
	s_andn2_b64 vcc, exec, s[14:15]
	v_mov_b32_e32 v3, s17
	s_cbranch_vccnz .LBB22_583
; %bb.582:
	v_mov_b32_e32 v3, 0x42800000
	v_add_f32_e64 v3, |s16|, v3
	v_and_b32_e32 v3, 0xff, v3
	v_cmp_ne_u32_e64 s[12:13], 0, v3
.LBB22_583:
	s_andn2_b64 vcc, exec, s[12:13]
	v_mov_b32_e32 v4, 0
	s_cbranch_vccnz .LBB22_585
; %bb.584:
	s_lshr_b32 s12, s16, 24
	s_and_b32 s12, s12, 0x80
	v_or_b32_e32 v4, s12, v3
.LBB22_585:
	s_mov_b64 s[12:13], 0
	global_store_byte v[0:1], v4, off
.LBB22_586:
	s_and_b64 vcc, exec, s[12:13]
	s_cbranch_vccz .LBB22_598
; %bb.587:
	v_cvt_f32_i32_e32 v3, s11
	v_readfirstlane_b32 s14, v3
	s_and_b32 s15, s14, 0x7fffffff
	s_cmp_lt_u32 s15, 0x43f00000
	s_cbranch_scc0 .LBB22_590
; %bb.588:
	s_cmp_gt_u32 s15, 0x3c7fffff
	s_cbranch_scc0 .LBB22_591
; %bb.589:
	s_bfe_u32 s12, s14, 0x10014
	s_add_i32 s12, s14, s12
	s_add_i32 s12, s12, 0x407ffff
	s_lshr_b32 s13, s12, 20
	s_and_b32 s12, s12, 0xff00000
	s_cmp_lg_u32 s12, 0x7f00000
	s_cselect_b32 s16, s13, 0x7e
	s_mov_b64 s[12:13], 0
	s_branch .LBB22_592
.LBB22_590:
	s_mov_b64 s[12:13], -1
                                        ; implicit-def: $vgpr4
	s_branch .LBB22_595
.LBB22_591:
	s_mov_b64 s[12:13], -1
                                        ; implicit-def: $sgpr16
.LBB22_592:
	s_andn2_b64 vcc, exec, s[12:13]
	v_mov_b32_e32 v4, s16
	s_cbranch_vccnz .LBB22_594
; %bb.593:
	s_mov_b32 s12, 0x46800000
	v_add_f32_e64 v4, |v3|, s12
.LBB22_594:
	s_mov_b64 s[12:13], 0
.LBB22_595:
	s_andn2_b64 vcc, exec, s[12:13]
	s_cbranch_vccnz .LBB22_597
; %bb.596:
	s_cmp_gt_u32 s15, 0x7f800000
	s_movk_i32 s12, 0x7f
	s_cselect_b32 s12, s12, 0x7e
	v_mov_b32_e32 v4, s12
.LBB22_597:
	s_lshr_b32 s12, s14, 24
	s_and_b32 s12, s12, 0x80
	v_or_b32_e32 v3, s12, v4
	global_store_byte v[0:1], v3, off
.LBB22_598:
	s_mov_b64 s[12:13], 0
.LBB22_599:
	s_andn2_b64 vcc, exec, s[12:13]
	s_cbranch_vccnz .LBB22_611
; %bb.600:
	v_cvt_f32_i32_e32 v3, s11
	v_readfirstlane_b32 s14, v3
	s_and_b32 s15, s14, 0x7fffffff
	s_cmp_lt_u32 s15, 0x47800000
	s_cbranch_scc0 .LBB22_603
; %bb.601:
	s_cmp_gt_u32 s15, 0x387fffff
	s_cbranch_scc0 .LBB22_604
; %bb.602:
	s_bfe_u32 s12, s14, 0x10015
	s_add_i32 s12, s14, s12
	s_add_i32 s12, s12, 0x80fffff
	s_lshr_b32 s16, s12, 21
	s_mov_b64 s[12:13], 0
	s_branch .LBB22_605
.LBB22_603:
	s_mov_b64 s[12:13], -1
                                        ; implicit-def: $vgpr4
	s_branch .LBB22_608
.LBB22_604:
	s_mov_b64 s[12:13], -1
                                        ; implicit-def: $sgpr16
.LBB22_605:
	s_andn2_b64 vcc, exec, s[12:13]
	v_mov_b32_e32 v4, s16
	s_cbranch_vccnz .LBB22_607
; %bb.606:
	s_mov_b32 s12, 0x43000000
	v_add_f32_e64 v4, |v3|, s12
.LBB22_607:
	s_mov_b64 s[12:13], 0
.LBB22_608:
	s_andn2_b64 vcc, exec, s[12:13]
	s_cbranch_vccnz .LBB22_610
; %bb.609:
	s_cmp_gt_u32 s15, 0x7f800000
	s_movk_i32 s12, 0x7f
	s_cselect_b32 s12, s12, 0x7c
	v_mov_b32_e32 v4, s12
.LBB22_610:
	s_lshr_b32 s12, s14, 24
	s_and_b32 s12, s12, 0x80
	v_or_b32_e32 v3, s12, v4
	global_store_byte v[0:1], v3, off
.LBB22_611:
	s_mov_b64 s[12:13], 0
	s_mov_b64 s[14:15], -1
.LBB22_612:
	s_andn2_b64 vcc, exec, s[12:13]
	s_mov_b64 s[12:13], 0
	s_cbranch_vccnz .LBB22_619
; %bb.613:
	s_cmp_gt_i32 s19, 14
	s_mov_b64 s[16:17], -1
	s_cbranch_scc0 .LBB22_617
; %bb.614:
	s_cmp_eq_u32 s19, 15
	s_mov_b64 s[6:7], -1
	s_cbranch_scc0 .LBB22_616
; %bb.615:
	v_cvt_f32_i32_e32 v3, s11
	s_mov_b64 s[6:7], 0
	s_mov_b64 s[14:15], -1
	v_bfe_u32 v4, v3, 16, 1
	v_add_u32_e32 v3, v3, v4
	v_add_u32_e32 v3, 0x7fff, v3
	global_store_short_d16_hi v[0:1], v3, off
.LBB22_616:
	s_mov_b64 s[16:17], 0
.LBB22_617:
	s_and_b64 vcc, exec, s[16:17]
	s_cbranch_vccz .LBB22_619
; %bb.618:
	s_cmp_lg_u32 s19, 11
	s_mov_b64 s[12:13], -1
	s_cselect_b64 s[6:7], -1, 0
.LBB22_619:
	s_and_b64 vcc, exec, s[6:7]
	s_cbranch_vccnz .LBB22_721
; %bb.620:
	s_andn2_b64 vcc, exec, s[12:13]
	s_cbranch_vccnz .LBB22_622
.LBB22_621:
	s_cmp_lg_u32 s11, 0
	s_cselect_b64 s[6:7], -1, 0
	v_cndmask_b32_e64 v3, 0, 1, s[6:7]
	s_mov_b64 s[14:15], -1
	global_store_byte v[0:1], v3, off
.LBB22_622:
	s_branch .LBB22_563
.LBB22_623:
	s_and_b32 s12, 0xffff, s18
	s_cmp_lt_i32 s12, 5
	s_mov_b64 s[6:7], -1
	s_cbranch_scc1 .LBB22_644
; %bb.624:
	s_cmp_lt_i32 s12, 8
	s_cbranch_scc1 .LBB22_634
; %bb.625:
	s_cmp_lt_i32 s12, 9
	s_cbranch_scc1 .LBB22_631
; %bb.626:
	s_cmp_gt_i32 s12, 9
	s_cbranch_scc0 .LBB22_628
; %bb.627:
	v_cvt_f64_i32_e32 v[3:4], s11
	v_mov_b32_e32 v5, 0
	v_mov_b32_e32 v6, v5
	s_mov_b64 s[6:7], 0
	global_store_dwordx4 v[0:1], v[3:6], off
.LBB22_628:
	s_andn2_b64 vcc, exec, s[6:7]
	s_cbranch_vccnz .LBB22_630
; %bb.629:
	v_cvt_f32_i32_e32 v3, s11
	v_mov_b32_e32 v4, 0
	global_store_dwordx2 v[0:1], v[3:4], off
.LBB22_630:
	s_mov_b64 s[6:7], 0
.LBB22_631:
	s_andn2_b64 vcc, exec, s[6:7]
	s_cbranch_vccnz .LBB22_633
; %bb.632:
	v_cvt_f32_i32_e32 v3, s11
	v_cvt_f16_f32_e32 v3, v3
	global_store_dword v[0:1], v3, off
.LBB22_633:
	s_mov_b64 s[6:7], 0
.LBB22_634:
	s_andn2_b64 vcc, exec, s[6:7]
	s_cbranch_vccnz .LBB22_643
; %bb.635:
	s_cmp_lt_i32 s12, 6
	s_mov_b64 s[6:7], -1
	s_cbranch_scc1 .LBB22_641
; %bb.636:
	s_cmp_gt_i32 s12, 6
	s_cbranch_scc0 .LBB22_638
; %bb.637:
	v_cvt_f64_i32_e32 v[3:4], s11
	s_mov_b64 s[6:7], 0
	global_store_dwordx2 v[0:1], v[3:4], off
.LBB22_638:
	s_andn2_b64 vcc, exec, s[6:7]
	s_cbranch_vccnz .LBB22_640
; %bb.639:
	v_cvt_f32_i32_e32 v3, s11
	global_store_dword v[0:1], v3, off
.LBB22_640:
	s_mov_b64 s[6:7], 0
.LBB22_641:
	s_andn2_b64 vcc, exec, s[6:7]
	s_cbranch_vccnz .LBB22_643
; %bb.642:
	v_cvt_f32_i32_e32 v3, s11
	v_cvt_f16_f32_e32 v3, v3
	global_store_short v[0:1], v3, off
.LBB22_643:
	s_mov_b64 s[6:7], 0
.LBB22_644:
	s_andn2_b64 vcc, exec, s[6:7]
	s_cbranch_vccnz .LBB22_660
; %bb.645:
	s_cmp_lt_i32 s12, 2
	s_mov_b64 s[6:7], -1
	s_cbranch_scc1 .LBB22_655
; %bb.646:
	s_cmp_lt_i32 s12, 3
	s_cbranch_scc1 .LBB22_652
; %bb.647:
	s_cmp_gt_i32 s12, 3
	s_cbranch_scc0 .LBB22_649
; %bb.648:
	s_ashr_i32 s6, s11, 31
	v_mov_b32_e32 v3, s11
	v_mov_b32_e32 v4, s6
	global_store_dwordx2 v[0:1], v[3:4], off
	s_mov_b64 s[6:7], 0
.LBB22_649:
	s_andn2_b64 vcc, exec, s[6:7]
	s_cbranch_vccnz .LBB22_651
; %bb.650:
	v_mov_b32_e32 v3, s11
	global_store_dword v[0:1], v3, off
.LBB22_651:
	s_mov_b64 s[6:7], 0
.LBB22_652:
	s_andn2_b64 vcc, exec, s[6:7]
	s_cbranch_vccnz .LBB22_654
; %bb.653:
	v_mov_b32_e32 v3, s11
	global_store_short v[0:1], v3, off
.LBB22_654:
	s_mov_b64 s[6:7], 0
.LBB22_655:
	s_andn2_b64 vcc, exec, s[6:7]
	s_cbranch_vccnz .LBB22_660
; %bb.656:
	s_cmp_gt_i32 s12, 0
	s_mov_b64 s[6:7], -1
	s_cbranch_scc0 .LBB22_658
; %bb.657:
	v_mov_b32_e32 v3, s11
	global_store_byte v[0:1], v3, off
	s_mov_b64 s[6:7], 0
.LBB22_658:
	s_andn2_b64 vcc, exec, s[6:7]
	s_cbranch_vccnz .LBB22_660
; %bb.659:
	v_mov_b32_e32 v3, s11
	global_store_byte v[0:1], v3, off
.LBB22_660:
.LBB22_661:
	v_add_u32_e32 v2, s10, v2
	v_ashrrev_i32_e32 v1, 31, v2
	v_mov_b32_e32 v3, s9
	v_add_co_u32_e32 v0, vcc, s8, v2
	s_cmp_lt_i32 s18, 11
	v_addc_co_u32_e32 v1, vcc, v3, v1, vcc
	s_cbranch_scc1 .LBB22_689
; %bb.662:
	s_and_b32 s19, 0xffff, s18
	s_mov_b64 s[16:17], -1
	s_mov_b64 s[12:13], 0
	s_cmp_gt_i32 s19, 25
	s_mov_b64 s[14:15], 0
	s_mov_b64 s[6:7], 0
	s_cbranch_scc0 .LBB22_730
; %bb.663:
	s_cmp_gt_i32 s19, 28
	s_cbranch_scc0 .LBB22_678
; %bb.664:
	s_cmp_gt_i32 s19, 43
	;; [unrolled: 3-line block ×3, first 2 shown]
	s_cbranch_scc0 .LBB22_668
; %bb.666:
	s_mov_b64 s[6:7], -1
	s_mov_b64 s[16:17], 0
	s_cmp_eq_u32 s19, 46
	s_cbranch_scc0 .LBB22_668
; %bb.667:
	v_cvt_f32_i32_e32 v3, s11
	s_mov_b64 s[6:7], 0
	s_mov_b64 s[14:15], -1
	v_bfe_u32 v4, v3, 16, 1
	v_add_u32_e32 v3, v3, v4
	v_add_u32_e32 v3, 0x7fff, v3
	v_lshrrev_b32_e32 v3, 16, v3
	global_store_dword v[0:1], v3, off
.LBB22_668:
	s_and_b64 vcc, exec, s[16:17]
	s_cbranch_vccz .LBB22_673
; %bb.669:
	s_cmp_eq_u32 s19, 44
	s_mov_b64 s[6:7], -1
	s_cbranch_scc0 .LBB22_673
; %bb.670:
	v_cvt_f32_i32_e32 v3, s11
	v_mov_b32_e32 v4, 0xff
	v_readfirstlane_b32 s6, v3
	s_bfe_u32 s7, s6, 0x80017
	s_cmpk_eq_i32 s7, 0xff
	s_cbranch_scc1 .LBB22_672
; %bb.671:
	s_bitcmp1_b32 s6, 22
	s_cselect_b64 s[14:15], -1, 0
	s_and_b32 s6, s6, 0x3fffff
	s_or_b32 s6, s7, s6
	s_cmp_lg_u32 s6, 0
	s_cselect_b64 s[6:7], -1, 0
	s_and_b64 s[6:7], s[14:15], s[6:7]
	v_lshrrev_b32_e32 v3, 23, v3
	v_cndmask_b32_e64 v4, 0, 1, s[6:7]
	v_add_u32_e32 v4, v3, v4
.LBB22_672:
	s_mov_b64 s[6:7], 0
	s_mov_b64 s[14:15], -1
	global_store_byte v[0:1], v4, off
.LBB22_673:
	s_mov_b64 s[16:17], 0
.LBB22_674:
	s_and_b64 vcc, exec, s[16:17]
	s_cbranch_vccz .LBB22_677
; %bb.675:
	s_cmp_eq_u32 s19, 29
	s_mov_b64 s[6:7], -1
	s_cbranch_scc0 .LBB22_677
; %bb.676:
	s_ashr_i32 s6, s11, 31
	v_mov_b32_e32 v3, s11
	v_mov_b32_e32 v4, s6
	global_store_dwordx2 v[0:1], v[3:4], off
	s_mov_b64 s[6:7], 0
	s_mov_b64 s[14:15], -1
.LBB22_677:
	s_mov_b64 s[16:17], 0
.LBB22_678:
	s_and_b64 vcc, exec, s[16:17]
	s_cbranch_vccz .LBB22_729
; %bb.679:
	s_cmp_lt_i32 s19, 27
	s_mov_b64 s[14:15], -1
	s_cbranch_scc1 .LBB22_685
; %bb.680:
	s_cmp_gt_i32 s19, 27
	s_cbranch_scc0 .LBB22_682
; %bb.681:
	v_mov_b32_e32 v3, s11
	s_mov_b64 s[14:15], 0
	global_store_dword v[0:1], v3, off
.LBB22_682:
	s_andn2_b64 vcc, exec, s[14:15]
	s_cbranch_vccnz .LBB22_684
; %bb.683:
	v_mov_b32_e32 v3, s11
	global_store_short v[0:1], v3, off
.LBB22_684:
	s_mov_b64 s[14:15], 0
.LBB22_685:
	s_andn2_b64 vcc, exec, s[14:15]
	s_cbranch_vccnz .LBB22_728
; %bb.686:
	v_cvt_f32_i32_e32 v3, s11
	v_mov_b32_e32 v4, 0x80
	v_readfirstlane_b32 s20, v3
	s_and_b32 s14, s20, 0x7fffffff
	s_cmp_gt_u32 s14, 0x437fffff
	s_cbranch_scc1 .LBB22_727
; %bb.687:
	s_cmp_gt_u32 s14, 0x3bffffff
	s_cbranch_scc0 .LBB22_722
; %bb.688:
	s_bfe_u32 s14, s20, 0x10014
	s_add_i32 s14, s20, s14
	s_add_i32 s14, s14, 0x487ffff
	s_lshr_b32 s21, s14, 20
	s_mov_b64 s[16:17], 0
	s_mov_b64 s[14:15], -1
	s_branch .LBB22_723
.LBB22_689:
	s_mov_b64 s[14:15], 0
	s_cbranch_execnz .LBB22_794
.LBB22_690:
	s_andn2_b64 vcc, exec, s[14:15]
	s_cbranch_vccnz .LBB22_832
.LBB22_691:
	v_add_u32_e32 v0, s10, v2
	v_ashrrev_i32_e32 v1, 31, v0
	v_mov_b32_e32 v2, s9
	v_add_co_u32_e32 v0, vcc, s8, v0
	s_cmp_lt_i32 s18, 11
	v_addc_co_u32_e32 v1, vcc, v2, v1, vcc
	s_cbranch_scc1 .LBB22_720
; %bb.692:
	s_and_b32 s10, 0xffff, s18
	s_mov_b64 s[12:13], -1
	s_mov_b64 s[8:9], 0
	s_cmp_gt_i32 s10, 25
	s_mov_b64 s[6:7], 0
	s_cbranch_scc0 .LBB22_744
; %bb.693:
	s_cmp_gt_i32 s10, 28
	s_cbranch_scc0 .LBB22_709
; %bb.694:
	s_cmp_gt_i32 s10, 43
	;; [unrolled: 3-line block ×3, first 2 shown]
	s_cbranch_scc0 .LBB22_699
; %bb.696:
	s_cmp_eq_u32 s10, 46
	s_mov_b64 s[6:7], -1
	s_cbranch_scc0 .LBB22_698
; %bb.697:
	v_cvt_f32_i32_e32 v2, s11
	s_mov_b64 s[6:7], 0
	v_bfe_u32 v3, v2, 16, 1
	v_add_u32_e32 v2, v2, v3
	v_add_u32_e32 v2, 0x7fff, v2
	v_lshrrev_b32_e32 v2, 16, v2
	global_store_dword v[0:1], v2, off
.LBB22_698:
	s_mov_b64 s[12:13], 0
.LBB22_699:
	s_and_b64 vcc, exec, s[12:13]
	s_cbranch_vccz .LBB22_704
; %bb.700:
	s_cmp_eq_u32 s10, 44
	s_mov_b64 s[6:7], -1
	s_cbranch_scc0 .LBB22_704
; %bb.701:
	v_cvt_f32_i32_e32 v2, s11
	v_mov_b32_e32 v3, 0xff
	v_readfirstlane_b32 s6, v2
	s_bfe_u32 s7, s6, 0x80017
	s_cmpk_eq_i32 s7, 0xff
	s_cbranch_scc1 .LBB22_703
; %bb.702:
	s_bitcmp1_b32 s6, 22
	s_cselect_b64 s[12:13], -1, 0
	s_and_b32 s6, s6, 0x3fffff
	s_or_b32 s6, s7, s6
	s_cmp_lg_u32 s6, 0
	s_cselect_b64 s[6:7], -1, 0
	s_and_b64 s[6:7], s[12:13], s[6:7]
	v_lshrrev_b32_e32 v2, 23, v2
	v_cndmask_b32_e64 v3, 0, 1, s[6:7]
	v_add_u32_e32 v3, v2, v3
.LBB22_703:
	s_mov_b64 s[6:7], 0
	global_store_byte v[0:1], v3, off
.LBB22_704:
	s_mov_b64 s[12:13], 0
.LBB22_705:
	s_and_b64 vcc, exec, s[12:13]
	s_cbranch_vccz .LBB22_708
; %bb.706:
	s_cmp_eq_u32 s10, 29
	s_mov_b64 s[6:7], -1
	s_cbranch_scc0 .LBB22_708
; %bb.707:
	s_ashr_i32 s6, s11, 31
	v_mov_b32_e32 v2, s11
	v_mov_b32_e32 v3, s6
	global_store_dwordx2 v[0:1], v[2:3], off
	s_mov_b64 s[6:7], 0
.LBB22_708:
	s_mov_b64 s[12:13], 0
.LBB22_709:
	s_and_b64 vcc, exec, s[12:13]
	s_cbranch_vccz .LBB22_743
; %bb.710:
	s_cmp_lt_i32 s10, 27
	s_mov_b64 s[12:13], -1
	s_cbranch_scc1 .LBB22_716
; %bb.711:
	s_cmp_gt_i32 s10, 27
	s_cbranch_scc0 .LBB22_713
; %bb.712:
	v_mov_b32_e32 v2, s11
	global_store_dword v[0:1], v2, off
	s_mov_b64 s[12:13], 0
.LBB22_713:
	s_andn2_b64 vcc, exec, s[12:13]
	s_cbranch_vccnz .LBB22_715
; %bb.714:
	v_mov_b32_e32 v2, s11
	global_store_short v[0:1], v2, off
.LBB22_715:
	s_mov_b64 s[12:13], 0
.LBB22_716:
	s_andn2_b64 vcc, exec, s[12:13]
	s_cbranch_vccnz .LBB22_743
; %bb.717:
	v_cvt_f32_i32_e32 v2, s11
	v_mov_b32_e32 v3, 0x80
	v_readfirstlane_b32 s16, v2
	s_and_b32 s12, s16, 0x7fffffff
	s_cmp_gt_u32 s12, 0x437fffff
	s_cbranch_scc1 .LBB22_742
; %bb.718:
	s_cmp_gt_u32 s12, 0x3bffffff
	s_cbranch_scc0 .LBB22_737
; %bb.719:
	s_bfe_u32 s12, s16, 0x10014
	s_add_i32 s12, s16, s12
	s_add_i32 s12, s12, 0x487ffff
	s_lshr_b32 s17, s12, 20
	s_mov_b64 s[14:15], 0
	s_mov_b64 s[12:13], -1
	s_branch .LBB22_738
.LBB22_720:
	s_mov_b64 s[8:9], 0
	s_mov_b64 s[6:7], -1
	s_branch .LBB22_833
.LBB22_721:
	s_trap 2
	s_or_b64 s[4:5], s[4:5], exec
	s_cbranch_execz .LBB22_621
	s_branch .LBB22_622
.LBB22_722:
	s_mov_b64 s[16:17], -1
	s_mov_b64 s[14:15], 0
                                        ; implicit-def: $sgpr21
.LBB22_723:
	s_andn2_b64 vcc, exec, s[16:17]
	v_mov_b32_e32 v3, s21
	s_cbranch_vccnz .LBB22_725
; %bb.724:
	v_mov_b32_e32 v3, 0x46000000
	v_add_f32_e64 v3, |s20|, v3
	v_and_b32_e32 v3, 0xff, v3
	v_cmp_ne_u32_e64 s[14:15], 0, v3
.LBB22_725:
	s_andn2_b64 vcc, exec, s[14:15]
	v_mov_b32_e32 v4, 0
	s_cbranch_vccnz .LBB22_727
; %bb.726:
	s_lshr_b32 s14, s20, 24
	s_and_b32 s14, s14, 0x80
	v_or_b32_e32 v4, s14, v3
.LBB22_727:
	global_store_byte v[0:1], v4, off
.LBB22_728:
	s_mov_b64 s[14:15], -1
.LBB22_729:
	s_mov_b64 s[16:17], 0
.LBB22_730:
	s_and_b64 vcc, exec, s[16:17]
	s_cbranch_vccz .LBB22_790
; %bb.731:
	s_cmp_gt_i32 s19, 22
	s_mov_b64 s[12:13], -1
	s_cbranch_scc0 .LBB22_783
; %bb.732:
	s_cmp_lt_i32 s19, 24
	s_cbranch_scc1 .LBB22_770
; %bb.733:
	s_cmp_gt_i32 s19, 24
	s_cbranch_scc0 .LBB22_757
; %bb.734:
	v_cvt_f32_i32_e32 v3, s11
	v_mov_b32_e32 v4, 0x80
	v_readfirstlane_b32 s16, v3
	s_and_b32 s12, s16, 0x7fffffff
	s_cmp_gt_u32 s12, 0x477fffff
	s_cbranch_scc1 .LBB22_756
; %bb.735:
	s_cmp_gt_u32 s12, 0x37ffffff
	s_cbranch_scc0 .LBB22_751
; %bb.736:
	s_bfe_u32 s12, s16, 0x10015
	s_add_i32 s12, s16, s12
	s_add_i32 s12, s12, 0x88fffff
	s_lshr_b32 s17, s12, 21
	s_mov_b64 s[14:15], 0
	s_mov_b64 s[12:13], -1
	s_branch .LBB22_752
.LBB22_737:
	s_mov_b64 s[14:15], -1
	s_mov_b64 s[12:13], 0
                                        ; implicit-def: $sgpr17
.LBB22_738:
	s_andn2_b64 vcc, exec, s[14:15]
	v_mov_b32_e32 v2, s17
	s_cbranch_vccnz .LBB22_740
; %bb.739:
	v_mov_b32_e32 v2, 0x46000000
	v_add_f32_e64 v2, |s16|, v2
	v_and_b32_e32 v2, 0xff, v2
	v_cmp_ne_u32_e64 s[12:13], 0, v2
.LBB22_740:
	s_andn2_b64 vcc, exec, s[12:13]
	v_mov_b32_e32 v3, 0
	s_cbranch_vccnz .LBB22_742
; %bb.741:
	s_lshr_b32 s12, s16, 24
	s_and_b32 s12, s12, 0x80
	v_or_b32_e32 v3, s12, v2
.LBB22_742:
	global_store_byte v[0:1], v3, off
.LBB22_743:
	s_mov_b64 s[12:13], 0
.LBB22_744:
	s_and_b64 vcc, exec, s[12:13]
	s_cbranch_vccz .LBB22_914
; %bb.745:
	s_cmp_gt_i32 s10, 22
	s_mov_b64 s[8:9], -1
	s_cbranch_scc0 .LBB22_907
; %bb.746:
	s_cmp_lt_i32 s10, 24
	s_cbranch_scc1 .LBB22_894
; %bb.747:
	s_cmp_gt_i32 s10, 24
	s_cbranch_scc0 .LBB22_881
; %bb.748:
	v_cvt_f32_i32_e32 v2, s11
	v_mov_b32_e32 v3, 0x80
	v_readfirstlane_b32 s14, v2
	s_and_b32 s8, s14, 0x7fffffff
	s_cmp_gt_u32 s8, 0x477fffff
	s_cbranch_scc1 .LBB22_880
; %bb.749:
	s_cmp_gt_u32 s8, 0x37ffffff
	s_cbranch_scc0 .LBB22_875
; %bb.750:
	s_bfe_u32 s8, s14, 0x10015
	s_add_i32 s8, s14, s8
	s_add_i32 s8, s8, 0x88fffff
	s_lshr_b32 s15, s8, 21
	s_mov_b64 s[12:13], 0
	s_mov_b64 s[8:9], -1
	s_branch .LBB22_876
.LBB22_751:
	s_mov_b64 s[14:15], -1
	s_mov_b64 s[12:13], 0
                                        ; implicit-def: $sgpr17
.LBB22_752:
	s_andn2_b64 vcc, exec, s[14:15]
	v_mov_b32_e32 v3, s17
	s_cbranch_vccnz .LBB22_754
; %bb.753:
	v_mov_b32_e32 v3, 0x42800000
	v_add_f32_e64 v3, |s16|, v3
	v_and_b32_e32 v3, 0xff, v3
	v_cmp_ne_u32_e64 s[12:13], 0, v3
.LBB22_754:
	s_andn2_b64 vcc, exec, s[12:13]
	v_mov_b32_e32 v4, 0
	s_cbranch_vccnz .LBB22_756
; %bb.755:
	s_lshr_b32 s12, s16, 24
	s_and_b32 s12, s12, 0x80
	v_or_b32_e32 v4, s12, v3
.LBB22_756:
	s_mov_b64 s[12:13], 0
	global_store_byte v[0:1], v4, off
.LBB22_757:
	s_and_b64 vcc, exec, s[12:13]
	s_cbranch_vccz .LBB22_769
; %bb.758:
	v_cvt_f32_i32_e32 v3, s11
	v_readfirstlane_b32 s14, v3
	s_and_b32 s15, s14, 0x7fffffff
	s_cmp_lt_u32 s15, 0x43f00000
	s_cbranch_scc0 .LBB22_761
; %bb.759:
	s_cmp_gt_u32 s15, 0x3c7fffff
	s_cbranch_scc0 .LBB22_762
; %bb.760:
	s_bfe_u32 s12, s14, 0x10014
	s_add_i32 s12, s14, s12
	s_add_i32 s12, s12, 0x407ffff
	s_lshr_b32 s13, s12, 20
	s_and_b32 s12, s12, 0xff00000
	s_cmp_lg_u32 s12, 0x7f00000
	s_cselect_b32 s16, s13, 0x7e
	s_mov_b64 s[12:13], 0
	s_branch .LBB22_763
.LBB22_761:
	s_mov_b64 s[12:13], -1
                                        ; implicit-def: $vgpr4
	s_branch .LBB22_766
.LBB22_762:
	s_mov_b64 s[12:13], -1
                                        ; implicit-def: $sgpr16
.LBB22_763:
	s_andn2_b64 vcc, exec, s[12:13]
	v_mov_b32_e32 v4, s16
	s_cbranch_vccnz .LBB22_765
; %bb.764:
	s_mov_b32 s12, 0x46800000
	v_add_f32_e64 v4, |v3|, s12
.LBB22_765:
	s_mov_b64 s[12:13], 0
.LBB22_766:
	s_andn2_b64 vcc, exec, s[12:13]
	s_cbranch_vccnz .LBB22_768
; %bb.767:
	s_cmp_gt_u32 s15, 0x7f800000
	s_movk_i32 s12, 0x7f
	s_cselect_b32 s12, s12, 0x7e
	v_mov_b32_e32 v4, s12
.LBB22_768:
	s_lshr_b32 s12, s14, 24
	s_and_b32 s12, s12, 0x80
	v_or_b32_e32 v3, s12, v4
	global_store_byte v[0:1], v3, off
.LBB22_769:
	s_mov_b64 s[12:13], 0
.LBB22_770:
	s_andn2_b64 vcc, exec, s[12:13]
	s_cbranch_vccnz .LBB22_782
; %bb.771:
	v_cvt_f32_i32_e32 v3, s11
	v_readfirstlane_b32 s14, v3
	s_and_b32 s15, s14, 0x7fffffff
	s_cmp_lt_u32 s15, 0x47800000
	s_cbranch_scc0 .LBB22_774
; %bb.772:
	s_cmp_gt_u32 s15, 0x387fffff
	s_cbranch_scc0 .LBB22_775
; %bb.773:
	s_bfe_u32 s12, s14, 0x10015
	s_add_i32 s12, s14, s12
	s_add_i32 s12, s12, 0x80fffff
	s_lshr_b32 s16, s12, 21
	s_mov_b64 s[12:13], 0
	s_branch .LBB22_776
.LBB22_774:
	s_mov_b64 s[12:13], -1
                                        ; implicit-def: $vgpr4
	s_branch .LBB22_779
.LBB22_775:
	s_mov_b64 s[12:13], -1
                                        ; implicit-def: $sgpr16
.LBB22_776:
	s_andn2_b64 vcc, exec, s[12:13]
	v_mov_b32_e32 v4, s16
	s_cbranch_vccnz .LBB22_778
; %bb.777:
	s_mov_b32 s12, 0x43000000
	v_add_f32_e64 v4, |v3|, s12
.LBB22_778:
	s_mov_b64 s[12:13], 0
.LBB22_779:
	s_andn2_b64 vcc, exec, s[12:13]
	s_cbranch_vccnz .LBB22_781
; %bb.780:
	s_cmp_gt_u32 s15, 0x7f800000
	s_movk_i32 s12, 0x7f
	s_cselect_b32 s12, s12, 0x7c
	v_mov_b32_e32 v4, s12
.LBB22_781:
	s_lshr_b32 s12, s14, 24
	s_and_b32 s12, s12, 0x80
	v_or_b32_e32 v3, s12, v4
	global_store_byte v[0:1], v3, off
.LBB22_782:
	s_mov_b64 s[12:13], 0
	s_mov_b64 s[14:15], -1
.LBB22_783:
	s_andn2_b64 vcc, exec, s[12:13]
	s_mov_b64 s[12:13], 0
	s_cbranch_vccnz .LBB22_790
; %bb.784:
	s_cmp_gt_i32 s19, 14
	s_mov_b64 s[16:17], -1
	s_cbranch_scc0 .LBB22_788
; %bb.785:
	s_cmp_eq_u32 s19, 15
	s_mov_b64 s[6:7], -1
	s_cbranch_scc0 .LBB22_787
; %bb.786:
	v_cvt_f32_i32_e32 v3, s11
	s_mov_b64 s[6:7], 0
	s_mov_b64 s[14:15], -1
	v_bfe_u32 v4, v3, 16, 1
	v_add_u32_e32 v3, v3, v4
	v_add_u32_e32 v3, 0x7fff, v3
	global_store_short_d16_hi v[0:1], v3, off
.LBB22_787:
	s_mov_b64 s[16:17], 0
.LBB22_788:
	s_and_b64 vcc, exec, s[16:17]
	s_cbranch_vccz .LBB22_790
; %bb.789:
	s_cmp_lg_u32 s19, 11
	s_mov_b64 s[12:13], -1
	s_cselect_b64 s[6:7], -1, 0
.LBB22_790:
	s_and_b64 vcc, exec, s[6:7]
	s_cbranch_vccnz .LBB22_874
; %bb.791:
	s_andn2_b64 vcc, exec, s[12:13]
	s_cbranch_vccnz .LBB22_793
.LBB22_792:
	s_cmp_lg_u32 s11, 0
	s_cselect_b64 s[6:7], -1, 0
	v_cndmask_b32_e64 v3, 0, 1, s[6:7]
	s_mov_b64 s[14:15], -1
	global_store_byte v[0:1], v3, off
.LBB22_793:
	s_branch .LBB22_690
.LBB22_794:
	s_and_b32 s12, 0xffff, s18
	s_cmp_lt_i32 s12, 5
	s_mov_b64 s[6:7], -1
	s_cbranch_scc1 .LBB22_815
; %bb.795:
	s_cmp_lt_i32 s12, 8
	s_cbranch_scc1 .LBB22_805
; %bb.796:
	s_cmp_lt_i32 s12, 9
	s_cbranch_scc1 .LBB22_802
; %bb.797:
	s_cmp_gt_i32 s12, 9
	s_cbranch_scc0 .LBB22_799
; %bb.798:
	v_cvt_f64_i32_e32 v[3:4], s11
	v_mov_b32_e32 v5, 0
	v_mov_b32_e32 v6, v5
	s_mov_b64 s[6:7], 0
	global_store_dwordx4 v[0:1], v[3:6], off
.LBB22_799:
	s_andn2_b64 vcc, exec, s[6:7]
	s_cbranch_vccnz .LBB22_801
; %bb.800:
	v_cvt_f32_i32_e32 v3, s11
	v_mov_b32_e32 v4, 0
	global_store_dwordx2 v[0:1], v[3:4], off
.LBB22_801:
	s_mov_b64 s[6:7], 0
.LBB22_802:
	s_andn2_b64 vcc, exec, s[6:7]
	s_cbranch_vccnz .LBB22_804
; %bb.803:
	v_cvt_f32_i32_e32 v3, s11
	v_cvt_f16_f32_e32 v3, v3
	global_store_dword v[0:1], v3, off
.LBB22_804:
	s_mov_b64 s[6:7], 0
.LBB22_805:
	s_andn2_b64 vcc, exec, s[6:7]
	s_cbranch_vccnz .LBB22_814
; %bb.806:
	s_cmp_lt_i32 s12, 6
	s_mov_b64 s[6:7], -1
	s_cbranch_scc1 .LBB22_812
; %bb.807:
	s_cmp_gt_i32 s12, 6
	s_cbranch_scc0 .LBB22_809
; %bb.808:
	v_cvt_f64_i32_e32 v[3:4], s11
	s_mov_b64 s[6:7], 0
	global_store_dwordx2 v[0:1], v[3:4], off
.LBB22_809:
	s_andn2_b64 vcc, exec, s[6:7]
	s_cbranch_vccnz .LBB22_811
; %bb.810:
	v_cvt_f32_i32_e32 v3, s11
	global_store_dword v[0:1], v3, off
.LBB22_811:
	s_mov_b64 s[6:7], 0
.LBB22_812:
	s_andn2_b64 vcc, exec, s[6:7]
	s_cbranch_vccnz .LBB22_814
; %bb.813:
	v_cvt_f32_i32_e32 v3, s11
	v_cvt_f16_f32_e32 v3, v3
	global_store_short v[0:1], v3, off
.LBB22_814:
	s_mov_b64 s[6:7], 0
.LBB22_815:
	s_andn2_b64 vcc, exec, s[6:7]
	s_cbranch_vccnz .LBB22_831
; %bb.816:
	s_cmp_lt_i32 s12, 2
	s_mov_b64 s[6:7], -1
	s_cbranch_scc1 .LBB22_826
; %bb.817:
	s_cmp_lt_i32 s12, 3
	s_cbranch_scc1 .LBB22_823
; %bb.818:
	s_cmp_gt_i32 s12, 3
	s_cbranch_scc0 .LBB22_820
; %bb.819:
	s_ashr_i32 s6, s11, 31
	v_mov_b32_e32 v3, s11
	v_mov_b32_e32 v4, s6
	global_store_dwordx2 v[0:1], v[3:4], off
	s_mov_b64 s[6:7], 0
.LBB22_820:
	s_andn2_b64 vcc, exec, s[6:7]
	s_cbranch_vccnz .LBB22_822
; %bb.821:
	v_mov_b32_e32 v3, s11
	global_store_dword v[0:1], v3, off
.LBB22_822:
	s_mov_b64 s[6:7], 0
.LBB22_823:
	s_andn2_b64 vcc, exec, s[6:7]
	s_cbranch_vccnz .LBB22_825
; %bb.824:
	v_mov_b32_e32 v3, s11
	global_store_short v[0:1], v3, off
.LBB22_825:
	s_mov_b64 s[6:7], 0
.LBB22_826:
	s_andn2_b64 vcc, exec, s[6:7]
	s_cbranch_vccnz .LBB22_831
; %bb.827:
	s_cmp_gt_i32 s12, 0
	s_mov_b64 s[6:7], -1
	s_cbranch_scc0 .LBB22_829
; %bb.828:
	v_mov_b32_e32 v3, s11
	global_store_byte v[0:1], v3, off
	s_mov_b64 s[6:7], 0
.LBB22_829:
	s_andn2_b64 vcc, exec, s[6:7]
	s_cbranch_vccnz .LBB22_831
; %bb.830:
	v_mov_b32_e32 v3, s11
	global_store_byte v[0:1], v3, off
.LBB22_831:
	s_branch .LBB22_691
.LBB22_832:
	s_mov_b64 s[6:7], 0
	s_mov_b64 s[8:9], 0
                                        ; implicit-def: $sgpr18
                                        ; implicit-def: $vgpr0_vgpr1
.LBB22_833:
	s_andn2_b64 s[0:1], s[0:1], exec
	s_and_b64 s[4:5], s[4:5], exec
	s_and_b64 s[12:13], s[6:7], exec
	;; [unrolled: 1-line block ×3, first 2 shown]
	s_or_b64 s[0:1], s[0:1], s[4:5]
	s_or_b64 exec, exec, s[2:3]
	s_and_saveexec_b64 s[2:3], s[0:1]
	s_cbranch_execnz .LBB22_434
.LBB22_834:
	s_or_b64 exec, exec, s[2:3]
	s_and_saveexec_b64 s[0:1], s[6:7]
	s_xor_b64 s[0:1], exec, s[0:1]
	s_cbranch_execz .LBB22_435
.LBB22_835:
	s_cmp_lg_u32 s11, 0
	s_cselect_b64 s[2:3], -1, 0
	v_cndmask_b32_e64 v2, 0, 1, s[2:3]
	global_store_byte v[0:1], v2, off
	s_or_b64 exec, exec, s[0:1]
	s_and_saveexec_b64 s[0:1], s[12:13]
	s_cbranch_execz .LBB22_873
.LBB22_836:
	s_sext_i32_i16 s2, s18
	s_cmp_lt_i32 s2, 5
	s_mov_b64 s[0:1], -1
	s_cbranch_scc1 .LBB22_857
; %bb.837:
	s_cmp_lt_i32 s2, 8
	s_cbranch_scc1 .LBB22_847
; %bb.838:
	s_cmp_lt_i32 s2, 9
	s_cbranch_scc1 .LBB22_844
; %bb.839:
	s_cmp_gt_i32 s2, 9
	s_cbranch_scc0 .LBB22_841
; %bb.840:
	v_cvt_f64_i32_e32 v[2:3], s11
	v_mov_b32_e32 v4, 0
	v_mov_b32_e32 v5, v4
	s_mov_b64 s[0:1], 0
	global_store_dwordx4 v[0:1], v[2:5], off
.LBB22_841:
	s_andn2_b64 vcc, exec, s[0:1]
	s_cbranch_vccnz .LBB22_843
; %bb.842:
	v_cvt_f32_i32_e32 v2, s11
	v_mov_b32_e32 v3, 0
	global_store_dwordx2 v[0:1], v[2:3], off
.LBB22_843:
	s_mov_b64 s[0:1], 0
.LBB22_844:
	s_andn2_b64 vcc, exec, s[0:1]
	s_cbranch_vccnz .LBB22_846
; %bb.845:
	v_cvt_f32_i32_e32 v2, s11
	v_cvt_f16_f32_e32 v2, v2
	global_store_dword v[0:1], v2, off
.LBB22_846:
	s_mov_b64 s[0:1], 0
.LBB22_847:
	s_andn2_b64 vcc, exec, s[0:1]
	s_cbranch_vccnz .LBB22_856
; %bb.848:
	s_sext_i32_i16 s2, s18
	s_cmp_lt_i32 s2, 6
	s_mov_b64 s[0:1], -1
	s_cbranch_scc1 .LBB22_854
; %bb.849:
	s_cmp_gt_i32 s2, 6
	s_cbranch_scc0 .LBB22_851
; %bb.850:
	v_cvt_f64_i32_e32 v[2:3], s11
	s_mov_b64 s[0:1], 0
	global_store_dwordx2 v[0:1], v[2:3], off
.LBB22_851:
	s_andn2_b64 vcc, exec, s[0:1]
	s_cbranch_vccnz .LBB22_853
; %bb.852:
	v_cvt_f32_i32_e32 v2, s11
	global_store_dword v[0:1], v2, off
.LBB22_853:
	s_mov_b64 s[0:1], 0
.LBB22_854:
	s_andn2_b64 vcc, exec, s[0:1]
	s_cbranch_vccnz .LBB22_856
; %bb.855:
	v_cvt_f32_i32_e32 v2, s11
	v_cvt_f16_f32_e32 v2, v2
	global_store_short v[0:1], v2, off
.LBB22_856:
	s_mov_b64 s[0:1], 0
.LBB22_857:
	s_andn2_b64 vcc, exec, s[0:1]
	s_cbranch_vccnz .LBB22_873
; %bb.858:
	s_sext_i32_i16 s2, s18
	s_cmp_lt_i32 s2, 2
	s_mov_b64 s[0:1], -1
	s_cbranch_scc1 .LBB22_868
; %bb.859:
	s_cmp_lt_i32 s2, 3
	s_cbranch_scc1 .LBB22_865
; %bb.860:
	s_cmp_gt_i32 s2, 3
	s_cbranch_scc0 .LBB22_862
; %bb.861:
	s_ashr_i32 s0, s11, 31
	v_mov_b32_e32 v2, s11
	v_mov_b32_e32 v3, s0
	global_store_dwordx2 v[0:1], v[2:3], off
	s_mov_b64 s[0:1], 0
.LBB22_862:
	s_andn2_b64 vcc, exec, s[0:1]
	s_cbranch_vccnz .LBB22_864
; %bb.863:
	v_mov_b32_e32 v2, s11
	global_store_dword v[0:1], v2, off
.LBB22_864:
	s_mov_b64 s[0:1], 0
.LBB22_865:
	s_andn2_b64 vcc, exec, s[0:1]
	s_cbranch_vccnz .LBB22_867
; %bb.866:
	v_mov_b32_e32 v2, s11
	global_store_short v[0:1], v2, off
.LBB22_867:
	s_mov_b64 s[0:1], 0
.LBB22_868:
	s_andn2_b64 vcc, exec, s[0:1]
	s_cbranch_vccnz .LBB22_873
; %bb.869:
	s_sext_i32_i16 s0, s18
	s_cmp_gt_i32 s0, 0
	s_mov_b64 s[0:1], -1
	s_cbranch_scc0 .LBB22_871
; %bb.870:
	v_mov_b32_e32 v2, s11
	global_store_byte v[0:1], v2, off
	s_mov_b64 s[0:1], 0
.LBB22_871:
	s_andn2_b64 vcc, exec, s[0:1]
	s_cbranch_vccnz .LBB22_873
; %bb.872:
	v_mov_b32_e32 v2, s11
	global_store_byte v[0:1], v2, off
	s_endpgm
.LBB22_873:
	s_endpgm
.LBB22_874:
	s_trap 2
	s_or_b64 s[4:5], s[4:5], exec
	s_cbranch_execz .LBB22_792
	s_branch .LBB22_793
.LBB22_875:
	s_mov_b64 s[12:13], -1
	s_mov_b64 s[8:9], 0
                                        ; implicit-def: $sgpr15
.LBB22_876:
	s_andn2_b64 vcc, exec, s[12:13]
	v_mov_b32_e32 v2, s15
	s_cbranch_vccnz .LBB22_878
; %bb.877:
	v_mov_b32_e32 v2, 0x42800000
	v_add_f32_e64 v2, |s14|, v2
	v_and_b32_e32 v2, 0xff, v2
	v_cmp_ne_u32_e64 s[8:9], 0, v2
.LBB22_878:
	s_andn2_b64 vcc, exec, s[8:9]
	v_mov_b32_e32 v3, 0
	s_cbranch_vccnz .LBB22_880
; %bb.879:
	s_lshr_b32 s8, s14, 24
	s_and_b32 s8, s8, 0x80
	v_or_b32_e32 v3, s8, v2
.LBB22_880:
	s_mov_b64 s[8:9], 0
	global_store_byte v[0:1], v3, off
.LBB22_881:
	s_and_b64 vcc, exec, s[8:9]
	s_cbranch_vccz .LBB22_893
; %bb.882:
	v_cvt_f32_i32_e32 v2, s11
	v_readfirstlane_b32 s12, v2
	s_and_b32 s13, s12, 0x7fffffff
	s_cmp_lt_u32 s13, 0x43f00000
	s_cbranch_scc0 .LBB22_885
; %bb.883:
	s_cmp_gt_u32 s13, 0x3c7fffff
	s_cbranch_scc0 .LBB22_886
; %bb.884:
	s_bfe_u32 s8, s12, 0x10014
	s_add_i32 s8, s12, s8
	s_add_i32 s8, s8, 0x407ffff
	s_lshr_b32 s9, s8, 20
	s_and_b32 s8, s8, 0xff00000
	s_cmp_lg_u32 s8, 0x7f00000
	s_cselect_b32 s14, s9, 0x7e
	s_mov_b64 s[8:9], 0
	s_branch .LBB22_887
.LBB22_885:
	s_mov_b64 s[8:9], -1
                                        ; implicit-def: $vgpr3
	s_branch .LBB22_890
.LBB22_886:
	s_mov_b64 s[8:9], -1
                                        ; implicit-def: $sgpr14
.LBB22_887:
	s_andn2_b64 vcc, exec, s[8:9]
	v_mov_b32_e32 v3, s14
	s_cbranch_vccnz .LBB22_889
; %bb.888:
	s_mov_b32 s8, 0x46800000
	v_add_f32_e64 v3, |v2|, s8
.LBB22_889:
	s_mov_b64 s[8:9], 0
.LBB22_890:
	s_andn2_b64 vcc, exec, s[8:9]
	s_cbranch_vccnz .LBB22_892
; %bb.891:
	s_cmp_gt_u32 s13, 0x7f800000
	s_movk_i32 s8, 0x7f
	s_cselect_b32 s8, s8, 0x7e
	v_mov_b32_e32 v3, s8
.LBB22_892:
	s_lshr_b32 s8, s12, 24
	s_and_b32 s8, s8, 0x80
	v_or_b32_e32 v2, s8, v3
	global_store_byte v[0:1], v2, off
.LBB22_893:
	s_mov_b64 s[8:9], 0
.LBB22_894:
	s_andn2_b64 vcc, exec, s[8:9]
	s_cbranch_vccnz .LBB22_906
; %bb.895:
	v_cvt_f32_i32_e32 v2, s11
	v_readfirstlane_b32 s12, v2
	s_and_b32 s13, s12, 0x7fffffff
	s_cmp_lt_u32 s13, 0x47800000
	s_cbranch_scc0 .LBB22_898
; %bb.896:
	s_cmp_gt_u32 s13, 0x387fffff
	s_cbranch_scc0 .LBB22_899
; %bb.897:
	s_bfe_u32 s8, s12, 0x10015
	s_add_i32 s8, s12, s8
	s_add_i32 s8, s8, 0x80fffff
	s_lshr_b32 s14, s8, 21
	s_mov_b64 s[8:9], 0
	s_branch .LBB22_900
.LBB22_898:
	s_mov_b64 s[8:9], -1
                                        ; implicit-def: $vgpr3
	s_branch .LBB22_903
.LBB22_899:
	s_mov_b64 s[8:9], -1
                                        ; implicit-def: $sgpr14
.LBB22_900:
	s_andn2_b64 vcc, exec, s[8:9]
	v_mov_b32_e32 v3, s14
	s_cbranch_vccnz .LBB22_902
; %bb.901:
	s_mov_b32 s8, 0x43000000
	v_add_f32_e64 v3, |v2|, s8
.LBB22_902:
	s_mov_b64 s[8:9], 0
.LBB22_903:
	s_andn2_b64 vcc, exec, s[8:9]
	s_cbranch_vccnz .LBB22_905
; %bb.904:
	s_cmp_gt_u32 s13, 0x7f800000
	s_movk_i32 s8, 0x7f
	s_cselect_b32 s8, s8, 0x7c
	v_mov_b32_e32 v3, s8
.LBB22_905:
	s_lshr_b32 s8, s12, 24
	s_and_b32 s8, s8, 0x80
	v_or_b32_e32 v2, s8, v3
	global_store_byte v[0:1], v2, off
.LBB22_906:
	s_mov_b64 s[8:9], 0
.LBB22_907:
	s_andn2_b64 vcc, exec, s[8:9]
	s_mov_b64 s[8:9], 0
	s_cbranch_vccnz .LBB22_914
; %bb.908:
	s_cmp_gt_i32 s10, 14
	s_mov_b64 s[12:13], -1
	s_cbranch_scc0 .LBB22_912
; %bb.909:
	s_cmp_eq_u32 s10, 15
	s_mov_b64 s[6:7], -1
	s_cbranch_scc0 .LBB22_911
; %bb.910:
	v_cvt_f32_i32_e32 v2, s11
	s_mov_b64 s[6:7], 0
	v_bfe_u32 v3, v2, 16, 1
	v_add_u32_e32 v2, v2, v3
	v_add_u32_e32 v2, 0x7fff, v2
	global_store_short_d16_hi v[0:1], v2, off
.LBB22_911:
	s_mov_b64 s[12:13], 0
.LBB22_912:
	s_and_b64 vcc, exec, s[12:13]
	s_cbranch_vccz .LBB22_914
; %bb.913:
	s_cmp_lg_u32 s10, 11
	s_mov_b64 s[8:9], -1
	s_cselect_b64 s[6:7], -1, 0
.LBB22_914:
	s_and_b64 vcc, exec, s[6:7]
	s_cbranch_vccnz .LBB22_916
.LBB22_915:
	s_mov_b64 s[6:7], 0
	s_branch .LBB22_833
.LBB22_916:
	s_mov_b64 s[8:9], 0
	s_or_b64 s[4:5], s[4:5], exec
	s_trap 2
	s_branch .LBB22_915
	.section	.rodata,"a",@progbits
	.p2align	6, 0x0
	.amdhsa_kernel _ZN2at6native32elementwise_kernel_manual_unrollILi128ELi4EZNS0_15gpu_kernel_implINS0_11FillFunctorIiEEEEvRNS_18TensorIteratorBaseERKT_EUlibE_EEviT1_
		.amdhsa_group_segment_fixed_size 0
		.amdhsa_private_segment_fixed_size 0
		.amdhsa_kernarg_size 32
		.amdhsa_user_sgpr_count 6
		.amdhsa_user_sgpr_private_segment_buffer 1
		.amdhsa_user_sgpr_dispatch_ptr 0
		.amdhsa_user_sgpr_queue_ptr 0
		.amdhsa_user_sgpr_kernarg_segment_ptr 1
		.amdhsa_user_sgpr_dispatch_id 0
		.amdhsa_user_sgpr_flat_scratch_init 0
		.amdhsa_user_sgpr_private_segment_size 0
		.amdhsa_uses_dynamic_stack 0
		.amdhsa_system_sgpr_private_segment_wavefront_offset 0
		.amdhsa_system_sgpr_workgroup_id_x 1
		.amdhsa_system_sgpr_workgroup_id_y 0
		.amdhsa_system_sgpr_workgroup_id_z 0
		.amdhsa_system_sgpr_workgroup_info 0
		.amdhsa_system_vgpr_workitem_id 0
		.amdhsa_next_free_vgpr 16
		.amdhsa_next_free_sgpr 63
		.amdhsa_reserve_vcc 1
		.amdhsa_reserve_flat_scratch 0
		.amdhsa_float_round_mode_32 0
		.amdhsa_float_round_mode_16_64 0
		.amdhsa_float_denorm_mode_32 3
		.amdhsa_float_denorm_mode_16_64 3
		.amdhsa_dx10_clamp 1
		.amdhsa_ieee_mode 1
		.amdhsa_fp16_overflow 0
		.amdhsa_exception_fp_ieee_invalid_op 0
		.amdhsa_exception_fp_denorm_src 0
		.amdhsa_exception_fp_ieee_div_zero 0
		.amdhsa_exception_fp_ieee_overflow 0
		.amdhsa_exception_fp_ieee_underflow 0
		.amdhsa_exception_fp_ieee_inexact 0
		.amdhsa_exception_int_div_zero 0
	.end_amdhsa_kernel
	.section	.text._ZN2at6native32elementwise_kernel_manual_unrollILi128ELi4EZNS0_15gpu_kernel_implINS0_11FillFunctorIiEEEEvRNS_18TensorIteratorBaseERKT_EUlibE_EEviT1_,"axG",@progbits,_ZN2at6native32elementwise_kernel_manual_unrollILi128ELi4EZNS0_15gpu_kernel_implINS0_11FillFunctorIiEEEEvRNS_18TensorIteratorBaseERKT_EUlibE_EEviT1_,comdat
.Lfunc_end22:
	.size	_ZN2at6native32elementwise_kernel_manual_unrollILi128ELi4EZNS0_15gpu_kernel_implINS0_11FillFunctorIiEEEEvRNS_18TensorIteratorBaseERKT_EUlibE_EEviT1_, .Lfunc_end22-_ZN2at6native32elementwise_kernel_manual_unrollILi128ELi4EZNS0_15gpu_kernel_implINS0_11FillFunctorIiEEEEvRNS_18TensorIteratorBaseERKT_EUlibE_EEviT1_
                                        ; -- End function
	.set _ZN2at6native32elementwise_kernel_manual_unrollILi128ELi4EZNS0_15gpu_kernel_implINS0_11FillFunctorIiEEEEvRNS_18TensorIteratorBaseERKT_EUlibE_EEviT1_.num_vgpr, 16
	.set _ZN2at6native32elementwise_kernel_manual_unrollILi128ELi4EZNS0_15gpu_kernel_implINS0_11FillFunctorIiEEEEvRNS_18TensorIteratorBaseERKT_EUlibE_EEviT1_.num_agpr, 0
	.set _ZN2at6native32elementwise_kernel_manual_unrollILi128ELi4EZNS0_15gpu_kernel_implINS0_11FillFunctorIiEEEEvRNS_18TensorIteratorBaseERKT_EUlibE_EEviT1_.numbered_sgpr, 63
	.set _ZN2at6native32elementwise_kernel_manual_unrollILi128ELi4EZNS0_15gpu_kernel_implINS0_11FillFunctorIiEEEEvRNS_18TensorIteratorBaseERKT_EUlibE_EEviT1_.num_named_barrier, 0
	.set _ZN2at6native32elementwise_kernel_manual_unrollILi128ELi4EZNS0_15gpu_kernel_implINS0_11FillFunctorIiEEEEvRNS_18TensorIteratorBaseERKT_EUlibE_EEviT1_.private_seg_size, 0
	.set _ZN2at6native32elementwise_kernel_manual_unrollILi128ELi4EZNS0_15gpu_kernel_implINS0_11FillFunctorIiEEEEvRNS_18TensorIteratorBaseERKT_EUlibE_EEviT1_.uses_vcc, 1
	.set _ZN2at6native32elementwise_kernel_manual_unrollILi128ELi4EZNS0_15gpu_kernel_implINS0_11FillFunctorIiEEEEvRNS_18TensorIteratorBaseERKT_EUlibE_EEviT1_.uses_flat_scratch, 0
	.set _ZN2at6native32elementwise_kernel_manual_unrollILi128ELi4EZNS0_15gpu_kernel_implINS0_11FillFunctorIiEEEEvRNS_18TensorIteratorBaseERKT_EUlibE_EEviT1_.has_dyn_sized_stack, 0
	.set _ZN2at6native32elementwise_kernel_manual_unrollILi128ELi4EZNS0_15gpu_kernel_implINS0_11FillFunctorIiEEEEvRNS_18TensorIteratorBaseERKT_EUlibE_EEviT1_.has_recursion, 0
	.set _ZN2at6native32elementwise_kernel_manual_unrollILi128ELi4EZNS0_15gpu_kernel_implINS0_11FillFunctorIiEEEEvRNS_18TensorIteratorBaseERKT_EUlibE_EEviT1_.has_indirect_call, 0
	.section	.AMDGPU.csdata,"",@progbits
; Kernel info:
; codeLenInByte = 12248
; TotalNumSgprs: 67
; NumVgprs: 16
; ScratchSize: 0
; MemoryBound: 0
; FloatMode: 240
; IeeeMode: 1
; LDSByteSize: 0 bytes/workgroup (compile time only)
; SGPRBlocks: 8
; VGPRBlocks: 3
; NumSGPRsForWavesPerEU: 67
; NumVGPRsForWavesPerEU: 16
; Occupancy: 10
; WaveLimiterHint : 0
; COMPUTE_PGM_RSRC2:SCRATCH_EN: 0
; COMPUTE_PGM_RSRC2:USER_SGPR: 6
; COMPUTE_PGM_RSRC2:TRAP_HANDLER: 0
; COMPUTE_PGM_RSRC2:TGID_X_EN: 1
; COMPUTE_PGM_RSRC2:TGID_Y_EN: 0
; COMPUTE_PGM_RSRC2:TGID_Z_EN: 0
; COMPUTE_PGM_RSRC2:TIDIG_COMP_CNT: 0
	.section	.text._ZN2at6native32elementwise_kernel_manual_unrollILi128ELi4EZNS0_15gpu_kernel_implINS0_11FillFunctorIiEEEEvRNS_18TensorIteratorBaseERKT_EUlibE0_EEviT1_,"axG",@progbits,_ZN2at6native32elementwise_kernel_manual_unrollILi128ELi4EZNS0_15gpu_kernel_implINS0_11FillFunctorIiEEEEvRNS_18TensorIteratorBaseERKT_EUlibE0_EEviT1_,comdat
	.protected	_ZN2at6native32elementwise_kernel_manual_unrollILi128ELi4EZNS0_15gpu_kernel_implINS0_11FillFunctorIiEEEEvRNS_18TensorIteratorBaseERKT_EUlibE0_EEviT1_ ; -- Begin function _ZN2at6native32elementwise_kernel_manual_unrollILi128ELi4EZNS0_15gpu_kernel_implINS0_11FillFunctorIiEEEEvRNS_18TensorIteratorBaseERKT_EUlibE0_EEviT1_
	.globl	_ZN2at6native32elementwise_kernel_manual_unrollILi128ELi4EZNS0_15gpu_kernel_implINS0_11FillFunctorIiEEEEvRNS_18TensorIteratorBaseERKT_EUlibE0_EEviT1_
	.p2align	8
	.type	_ZN2at6native32elementwise_kernel_manual_unrollILi128ELi4EZNS0_15gpu_kernel_implINS0_11FillFunctorIiEEEEvRNS_18TensorIteratorBaseERKT_EUlibE0_EEviT1_,@function
_ZN2at6native32elementwise_kernel_manual_unrollILi128ELi4EZNS0_15gpu_kernel_implINS0_11FillFunctorIiEEEEvRNS_18TensorIteratorBaseERKT_EUlibE0_EEviT1_: ; @_ZN2at6native32elementwise_kernel_manual_unrollILi128ELi4EZNS0_15gpu_kernel_implINS0_11FillFunctorIiEEEEvRNS_18TensorIteratorBaseERKT_EUlibE0_EEviT1_
; %bb.0:
	s_load_dword s91, s[4:5], 0x0
	s_load_dword s33, s[4:5], 0x8
	s_add_u32 s34, s4, 8
	s_addc_u32 s35, s5, 0
	v_lshl_or_b32 v8, s6, 9, v0
	v_or_b32_e32 v9, 0x180, v8
	s_waitcnt lgkmcnt(0)
	s_add_i32 s82, s33, -1
	s_cmp_gt_u32 s82, 1
	v_cmp_le_i32_e32 vcc, s91, v9
	s_cselect_b64 s[36:37], -1, 0
	s_mov_b64 s[6:7], 0
	s_mov_b64 s[20:21], 0
	s_and_saveexec_b64 s[0:1], vcc
	s_xor_b64 s[38:39], exec, s[0:1]
	s_cbranch_execz .LBB23_462
; %bb.1:
	s_load_dwordx2 s[58:59], s[34:35], 0xc4
	s_load_dwordx4 s[16:19], s[34:35], 0x108
	s_cmp_lg_u32 s33, 0
	s_cselect_b64 s[66:67], -1, 0
	s_add_u32 s64, s34, 0xc4
	s_addc_u32 s65, s35, 0
	s_waitcnt lgkmcnt(0)
	v_cvt_f32_i32_e32 v4, s18
	s_min_u32 s92, s82, 15
	s_cmp_gt_u32 s33, 1
	s_movk_i32 s0, 0xff
	v_and_b32_e32 v2, 0x400000, v4
	v_bfe_u32 v1, v4, 23, 8
	v_cmp_ne_u32_e32 vcc, 0, v2
	v_and_b32_e32 v2, 0x3fffff, v4
	s_cselect_b64 s[60:61], -1, 0
	s_ashr_i32 s41, s18, 31
	s_mov_b32 s40, s18
	v_cmp_eq_u32_e64 s[4:5], s0, v1
	v_or_b32_e32 v1, v1, v2
	s_cmp_lg_u64 s[40:41], 0
	v_cmp_ne_u32_e64 s[0:1], 0, v1
	v_readfirstlane_b32 s10, v4
	s_cselect_b64 s[8:9], -1, 0
	s_and_b64 s[0:1], vcc, s[0:1]
	s_and_b32 s11, s10, 0x7fffffff
	s_cmp_lt_u32 s11, 0x43800000
	s_cselect_b64 s[54:55], -1, 0
	s_cmp_gt_u32 s11, 0x3bffffff
	v_cndmask_b32_e64 v1, 0, 1, s[0:1]
	s_cselect_b64 s[2:3], -1, 0
	s_bfe_u32 s0, s10, 0x10014
	s_add_i32 s12, s10, s0
	s_add_i32 s0, s12, 0x487ffff
	s_lshr_b32 s90, s0, 20
	s_mov_b32 s0, 0x46000000
	v_add_f32_e64 v14, |v4|, s0
	v_readfirstlane_b32 s0, v14
	s_and_b32 s0, s0, 0xff
	s_cmp_lg_u32 s0, 0
	s_cselect_b64 s[56:57], -1, 0
	s_cmp_gt_u32 s11, 0x477fffff
	s_cselect_b64 s[42:43], -1, 0
	s_cmp_lt_u32 s11, 0x47800000
	s_movk_i32 s0, 0x80
	s_cselect_b64 s[50:51], -1, 0
	s_cmp_gt_u32 s11, 0x37ffffff
	v_and_b32_sdwa v11, v4, s0 dst_sel:DWORD dst_unused:UNUSED_PAD src0_sel:BYTE_3 src1_sel:DWORD
	s_cselect_b64 s[0:1], -1, 0
	s_bfe_u32 s13, s10, 0x10015
	s_add_i32 s10, s10, s13
	s_add_i32 s13, s10, 0x88fffff
	s_lshr_b32 s88, s13, 21
	s_mov_b32 s13, 0x42800000
	v_add_f32_e64 v13, |v4|, s13
	v_readfirstlane_b32 s13, v13
	s_and_b32 s13, s13, 0xff
	s_cmp_lg_u32 s13, 0
	s_cselect_b64 s[52:53], -1, 0
	s_cmp_gt_u32 s11, 0x43efffff
	s_cselect_b64 s[46:47], -1, 0
	s_cmp_lt_u32 s11, 0x3c800000
	s_cselect_b64 s[48:49], -1, 0
	s_add_i32 s12, s12, 0x407ffff
	s_lshr_b32 s13, s12, 20
	s_and_b32 s12, s12, 0xff00000
	s_cmp_lg_u32 s12, 0x7f00000
	s_cselect_b32 s86, s13, 0x7e
	s_cmp_lt_u32 s11, 0x38800000
	s_cselect_b64 s[44:45], -1, 0
	s_add_i32 s10, s10, 0x80fffff
	s_lshr_b32 s83, s10, 21
	v_lshrrev_b32_e32 v0, 23, v4
	s_mov_b32 s12, 0x46800000
	s_cmp_gt_u32 s11, 0x7f800000
	s_movk_i32 s10, 0x7f
	v_add_u32_e32 v15, v0, v1
	v_add_f32_e64 v0, |v4|, s12
	s_cselect_b32 s89, s10, 0x7e
	s_mov_b32 s10, 0x43000000
	v_readfirstlane_b32 s87, v0
	v_add_f32_e64 v0, |v4|, s10
	v_readfirstlane_b32 s84, v0
	v_bfe_u32 v0, v4, 16, 1
	v_add_u32_e32 v0, v4, v0
	v_add_u32_e32 v0, 0x7fff, v0
	s_load_dwordx2 s[62:63], s[34:35], 0x14
	s_load_dwordx4 s[20:23], s[34:35], 0x4
	v_lshrrev_b32_e32 v12, 16, v0
	v_cvt_f64_i32_e32 v[0:1], s18
	v_cvt_f16_f32_e32 v9, v4
	s_movk_i32 s10, 0x7c
	s_mov_b64 s[74:75], 0
	s_cselect_b32 s85, 0x7f, s10
	v_cndmask_b32_e64 v10, 0, 1, s[8:9]
	v_cmp_gt_i32_e32 vcc, s91, v8
	s_mov_b64 s[10:11], -1
	s_mov_b64 s[68:69], 0
	s_and_saveexec_b64 s[70:71], vcc
	s_cbranch_execz .LBB23_114
; %bb.2:
	s_andn2_b64 vcc, exec, s[36:37]
	s_cbranch_vccnz .LBB23_7
; %bb.3:
	s_andn2_b64 vcc, exec, s[66:67]
	s_cbranch_vccnz .LBB23_8
; %bb.4:
	s_add_i32 s77, s92, 1
	s_cmp_eq_u32 s82, 2
	s_cbranch_scc1 .LBB23_9
; %bb.5:
	s_and_b32 s76, s77, 28
	s_mov_b32 s78, 0
	v_mov_b32_e32 v2, 0
	s_mov_b64 s[68:69], s[34:35]
	s_mov_b64 s[72:73], s[64:65]
	v_mov_b32_e32 v3, v8
.LBB23_6:                               ; =>This Inner Loop Header: Depth=1
	s_load_dwordx8 s[8:15], s[68:69], 0x4
	s_load_dwordx4 s[24:27], s[68:69], 0x24
	s_load_dwordx4 s[28:31], s[72:73], 0x0
	s_add_u32 s68, s68, 48
	s_addc_u32 s69, s69, 0
	s_waitcnt lgkmcnt(0)
	v_mul_hi_u32 v5, s9, v3
	s_add_i32 s78, s78, 4
	s_add_u32 s72, s72, 16
	s_addc_u32 s73, s73, 0
	v_add_u32_e32 v5, v3, v5
	v_lshrrev_b32_e32 v5, s10, v5
	v_mul_lo_u32 v6, v5, s8
	v_mul_hi_u32 v7, s12, v5
	s_cmp_lg_u32 s76, s78
	v_sub_u32_e32 v3, v3, v6
	v_add_u32_e32 v6, v5, v7
	v_lshrrev_b32_e32 v6, s13, v6
	v_mul_lo_u32 v7, v3, s28
	v_mul_hi_u32 v3, s15, v6
	v_mul_lo_u32 v17, v6, s11
	v_add_u32_e32 v3, v6, v3
	v_lshrrev_b32_e32 v16, s24, v3
	v_mul_hi_u32 v3, s26, v16
	v_sub_u32_e32 v5, v5, v17
	v_mul_lo_u32 v17, v16, s14
	v_mul_lo_u32 v5, v5, s29
	v_add_u32_e32 v3, v16, v3
	v_lshrrev_b32_e32 v3, s27, v3
	v_mul_lo_u32 v18, v3, s25
	v_sub_u32_e32 v6, v6, v17
	v_mul_lo_u32 v6, v6, s30
	v_add3_u32 v2, v7, v2, v5
	v_sub_u32_e32 v16, v16, v18
	v_mul_lo_u32 v16, v16, s31
	v_add3_u32 v2, v6, v2, v16
	s_cbranch_scc1 .LBB23_6
	s_branch .LBB23_10
.LBB23_7:
                                        ; implicit-def: $vgpr2
	s_branch .LBB23_14
.LBB23_8:
	v_mov_b32_e32 v2, 0
	s_branch .LBB23_13
.LBB23_9:
	v_mov_b32_e32 v2, 0
	s_mov_b32 s76, 0
	v_mov_b32_e32 v3, v8
.LBB23_10:
	s_and_b32 s12, s77, 3
	s_cmp_eq_u32 s12, 0
	s_cbranch_scc1 .LBB23_13
; %bb.11:
	s_lshl_b32 s8, s76, 2
	s_add_u32 s8, s34, s8
	s_addc_u32 s9, s35, 0
	s_add_u32 s8, s8, 0xc4
	s_addc_u32 s9, s9, 0
	s_mul_i32 s10, s76, 12
	s_add_u32 s10, s34, s10
	s_addc_u32 s11, s35, 0
.LBB23_12:                              ; =>This Inner Loop Header: Depth=1
	s_load_dwordx2 s[14:15], s[10:11], 0x4
	s_load_dword s13, s[10:11], 0xc
	s_add_u32 s10, s10, 12
	s_addc_u32 s11, s11, 0
	s_waitcnt lgkmcnt(0)
	v_mul_hi_u32 v5, s15, v3
	s_load_dword s15, s[8:9], 0x0
	s_add_u32 s8, s8, 4
	s_addc_u32 s9, s9, 0
	v_add_u32_e32 v5, v3, v5
	v_lshrrev_b32_e32 v5, s13, v5
	v_mul_lo_u32 v6, v5, s14
	s_add_i32 s12, s12, -1
	s_cmp_lg_u32 s12, 0
	v_sub_u32_e32 v3, v3, v6
	s_waitcnt lgkmcnt(0)
	v_mad_u64_u32 v[2:3], s[14:15], v3, s15, v[2:3]
	v_mov_b32_e32 v3, v5
	s_cbranch_scc1 .LBB23_12
.LBB23_13:
	s_cbranch_execnz .LBB23_16
.LBB23_14:
	s_waitcnt lgkmcnt(0)
	v_mul_hi_u32 v2, s21, v8
	s_andn2_b64 vcc, exec, s[60:61]
	v_add_u32_e32 v2, v8, v2
	v_lshrrev_b32_e32 v3, s22, v2
	v_mul_lo_u32 v2, v3, s20
	v_sub_u32_e32 v2, v8, v2
	v_mul_lo_u32 v2, v2, s58
	s_cbranch_vccnz .LBB23_16
; %bb.15:
	v_mul_hi_u32 v5, s62, v3
	v_add_u32_e32 v5, v3, v5
	v_lshrrev_b32_e32 v5, s63, v5
	v_mul_lo_u32 v5, v5, s23
	v_sub_u32_e32 v3, v3, v5
	v_mad_u64_u32 v[2:3], s[8:9], v3, s59, v[2:3]
.LBB23_16:
	v_mov_b32_e32 v3, s17
	s_and_b32 s14, s19, 0xff
	v_add_co_u32_e32 v6, vcc, s16, v2
	s_cmp_lt_i32 s14, 11
	v_addc_co_u32_e32 v7, vcc, 0, v3, vcc
	s_cbranch_scc1 .LBB23_23
; %bb.17:
	s_and_b32 s15, 0xffff, s14
	s_cmp_gt_i32 s15, 25
	s_cbranch_scc0 .LBB23_26
; %bb.18:
	s_cmp_gt_i32 s15, 28
	s_cbranch_scc0 .LBB23_27
; %bb.19:
	;; [unrolled: 3-line block ×4, first 2 shown]
	s_mov_b64 s[12:13], 0
	s_mov_b64 s[8:9], -1
	s_cmp_eq_u32 s15, 46
	s_mov_b64 s[10:11], 0
	s_cbranch_scc0 .LBB23_30
; %bb.22:
	global_store_dword v[6:7], v12, off
	s_mov_b64 s[10:11], -1
	s_mov_b64 s[8:9], 0
	s_branch .LBB23_30
.LBB23_23:
	s_mov_b64 s[8:9], 0
	s_mov_b64 s[10:11], 0
	s_cbranch_execnz .LBB23_74
.LBB23_24:
	s_andn2_b64 vcc, exec, s[10:11]
	s_cbranch_vccnz .LBB23_112
.LBB23_25:
	v_add_u32_e32 v8, 0x80, v8
	s_mov_b64 s[10:11], -1
	s_branch .LBB23_113
.LBB23_26:
	s_mov_b64 s[8:9], 0
	s_mov_b64 s[10:11], 0
	s_cbranch_execnz .LBB23_52
	s_branch .LBB23_73
.LBB23_27:
	s_mov_b64 s[12:13], -1
	s_mov_b64 s[8:9], 0
	s_mov_b64 s[10:11], 0
	s_branch .LBB23_38
.LBB23_28:
	s_mov_b64 s[12:13], -1
	s_mov_b64 s[8:9], 0
	s_mov_b64 s[10:11], 0
	s_branch .LBB23_34
.LBB23_29:
	s_mov_b64 s[12:13], -1
	s_mov_b64 s[8:9], 0
	s_mov_b64 s[10:11], 0
.LBB23_30:
	s_and_b64 vcc, exec, s[12:13]
	s_cbranch_vccz .LBB23_33
; %bb.31:
	s_cmp_eq_u32 s15, 44
	s_mov_b64 s[8:9], -1
	s_cbranch_scc0 .LBB23_33
; %bb.32:
	v_mov_b32_e32 v2, 0xffff
	v_cndmask_b32_e64 v2, v15, v2, s[4:5]
	global_store_byte v[6:7], v2, off
	s_mov_b64 s[10:11], -1
	s_mov_b64 s[8:9], 0
.LBB23_33:
	s_mov_b64 s[12:13], 0
.LBB23_34:
	s_and_b64 vcc, exec, s[12:13]
	s_cbranch_vccz .LBB23_37
; %bb.35:
	s_cmp_eq_u32 s15, 29
	s_mov_b64 s[8:9], -1
	s_cbranch_scc0 .LBB23_37
; %bb.36:
	v_mov_b32_e32 v2, s40
	v_mov_b32_e32 v3, s41
	global_store_dwordx2 v[6:7], v[2:3], off
	s_mov_b64 s[10:11], -1
	s_mov_b64 s[8:9], 0
.LBB23_37:
	s_mov_b64 s[12:13], 0
.LBB23_38:
	s_and_b64 vcc, exec, s[12:13]
	s_cbranch_vccz .LBB23_51
; %bb.39:
	s_cmp_lt_i32 s15, 27
	s_mov_b64 s[10:11], -1
	s_cbranch_scc1 .LBB23_45
; %bb.40:
	s_cmp_gt_i32 s15, 27
	s_cbranch_scc0 .LBB23_42
; %bb.41:
	v_mov_b32_e32 v2, s18
	s_mov_b64 s[10:11], 0
	global_store_dword v[6:7], v2, off
.LBB23_42:
	s_andn2_b64 vcc, exec, s[10:11]
	s_cbranch_vccnz .LBB23_44
; %bb.43:
	v_mov_b32_e32 v2, s18
	global_store_short v[6:7], v2, off
.LBB23_44:
	s_mov_b64 s[10:11], 0
.LBB23_45:
	s_andn2_b64 vcc, exec, s[10:11]
	s_cbranch_vccnz .LBB23_50
; %bb.46:
	s_andn2_b64 vcc, exec, s[54:55]
	v_mov_b32_e32 v2, 0x80
	s_cbranch_vccnz .LBB23_49
; %bb.47:
	s_or_b64 s[10:11], s[2:3], s[56:57]
	s_andn2_b64 vcc, exec, s[10:11]
	v_mov_b32_e32 v2, 0
	s_cbranch_vccnz .LBB23_49
; %bb.48:
	v_mov_b32_e32 v2, s90
	v_cndmask_b32_e64 v2, v14, v2, s[2:3]
	v_or_b32_e32 v2, v2, v11
.LBB23_49:
	global_store_byte v[6:7], v2, off
.LBB23_50:
	s_mov_b64 s[10:11], -1
.LBB23_51:
	s_branch .LBB23_73
.LBB23_52:
	s_cmp_gt_i32 s15, 22
	s_mov_b64 s[12:13], -1
	s_cbranch_scc0 .LBB23_65
; %bb.53:
	s_cmp_lt_i32 s15, 24
	s_mov_b64 s[10:11], -1
	s_cbranch_scc1 .LBB23_62
; %bb.54:
	s_cmp_gt_i32 s15, 24
	s_cbranch_scc0 .LBB23_59
; %bb.55:
	s_andn2_b64 vcc, exec, s[50:51]
	v_mov_b32_e32 v2, 0x80
	s_cbranch_vccnz .LBB23_58
; %bb.56:
	s_or_b64 s[10:11], s[0:1], s[52:53]
	s_andn2_b64 vcc, exec, s[10:11]
	v_mov_b32_e32 v2, 0
	s_cbranch_vccnz .LBB23_58
; %bb.57:
	v_mov_b32_e32 v2, s88
	v_cndmask_b32_e64 v2, v13, v2, s[0:1]
	v_or_b32_e32 v2, v2, v11
.LBB23_58:
	s_mov_b64 s[10:11], 0
	global_store_byte v[6:7], v2, off
.LBB23_59:
	s_and_b64 vcc, exec, s[10:11]
	s_cbranch_vccz .LBB23_61
; %bb.60:
	s_and_b64 s[10:11], s[48:49], exec
	s_cselect_b32 s12, s87, s86
	s_and_b64 s[10:11], s[46:47], exec
	s_cselect_b32 s10, s89, s12
	v_or_b32_e32 v2, s10, v11
	global_store_byte v[6:7], v2, off
.LBB23_61:
	s_mov_b64 s[10:11], 0
.LBB23_62:
	s_andn2_b64 vcc, exec, s[10:11]
	s_cbranch_vccnz .LBB23_64
; %bb.63:
	s_and_b64 s[10:11], s[44:45], exec
	s_cselect_b32 s12, s84, s83
	s_and_b64 s[10:11], s[42:43], exec
	s_cselect_b32 s10, s85, s12
	v_or_b32_e32 v2, s10, v11
	global_store_byte v[6:7], v2, off
.LBB23_64:
	s_mov_b64 s[12:13], 0
	s_mov_b64 s[10:11], -1
.LBB23_65:
	s_andn2_b64 vcc, exec, s[12:13]
	s_cbranch_vccnz .LBB23_73
; %bb.66:
	s_cmp_gt_i32 s15, 14
	s_mov_b64 s[12:13], -1
	s_cbranch_scc0 .LBB23_70
; %bb.67:
	s_cmp_eq_u32 s15, 15
	s_mov_b64 s[8:9], -1
	s_cbranch_scc0 .LBB23_69
; %bb.68:
	global_store_short v[6:7], v12, off
	s_mov_b64 s[10:11], -1
	s_mov_b64 s[8:9], 0
.LBB23_69:
	s_mov_b64 s[12:13], 0
.LBB23_70:
	s_and_b64 vcc, exec, s[12:13]
	s_cbranch_vccz .LBB23_73
; %bb.71:
	s_cmp_eq_u32 s15, 11
	s_mov_b64 s[8:9], -1
	s_cbranch_scc0 .LBB23_73
; %bb.72:
	s_mov_b64 s[10:11], -1
	s_mov_b64 s[8:9], 0
	global_store_byte v[6:7], v10, off
.LBB23_73:
	s_branch .LBB23_24
.LBB23_74:
	s_and_b32 s12, 0xffff, s14
	s_cmp_lt_i32 s12, 5
	s_mov_b64 s[10:11], -1
	s_cbranch_scc1 .LBB23_95
; %bb.75:
	s_cmp_lt_i32 s12, 8
	s_cbranch_scc1 .LBB23_85
; %bb.76:
	s_cmp_lt_i32 s12, 9
	s_cbranch_scc1 .LBB23_82
; %bb.77:
	s_cmp_gt_i32 s12, 9
	s_cbranch_scc0 .LBB23_79
; %bb.78:
	v_mov_b32_e32 v2, 0
	v_mov_b32_e32 v3, v2
	global_store_dwordx4 v[6:7], v[0:3], off
	s_mov_b64 s[10:11], 0
.LBB23_79:
	s_andn2_b64 vcc, exec, s[10:11]
	s_cbranch_vccnz .LBB23_81
; %bb.80:
	v_mov_b32_e32 v5, 0
	global_store_dwordx2 v[6:7], v[4:5], off
.LBB23_81:
	s_mov_b64 s[10:11], 0
.LBB23_82:
	s_andn2_b64 vcc, exec, s[10:11]
	s_cbranch_vccnz .LBB23_84
; %bb.83:
	global_store_dword v[6:7], v9, off
.LBB23_84:
	s_mov_b64 s[10:11], 0
.LBB23_85:
	s_andn2_b64 vcc, exec, s[10:11]
	s_cbranch_vccnz .LBB23_94
; %bb.86:
	s_cmp_lt_i32 s12, 6
	s_mov_b64 s[10:11], -1
	s_cbranch_scc1 .LBB23_92
; %bb.87:
	s_cmp_gt_i32 s12, 6
	s_cbranch_scc0 .LBB23_89
; %bb.88:
	global_store_dwordx2 v[6:7], v[0:1], off
	s_mov_b64 s[10:11], 0
.LBB23_89:
	s_andn2_b64 vcc, exec, s[10:11]
	s_cbranch_vccnz .LBB23_91
; %bb.90:
	global_store_dword v[6:7], v4, off
.LBB23_91:
	s_mov_b64 s[10:11], 0
.LBB23_92:
	s_andn2_b64 vcc, exec, s[10:11]
	s_cbranch_vccnz .LBB23_94
; %bb.93:
	global_store_short v[6:7], v9, off
.LBB23_94:
	s_mov_b64 s[10:11], 0
.LBB23_95:
	s_andn2_b64 vcc, exec, s[10:11]
	s_cbranch_vccnz .LBB23_111
; %bb.96:
	s_cmp_lt_i32 s12, 2
	s_mov_b64 s[10:11], -1
	s_cbranch_scc1 .LBB23_106
; %bb.97:
	s_cmp_lt_i32 s12, 3
	s_cbranch_scc1 .LBB23_103
; %bb.98:
	s_cmp_gt_i32 s12, 3
	s_cbranch_scc0 .LBB23_100
; %bb.99:
	v_mov_b32_e32 v2, s40
	v_mov_b32_e32 v3, s41
	global_store_dwordx2 v[6:7], v[2:3], off
	s_mov_b64 s[10:11], 0
.LBB23_100:
	s_andn2_b64 vcc, exec, s[10:11]
	s_cbranch_vccnz .LBB23_102
; %bb.101:
	v_mov_b32_e32 v2, s18
	global_store_dword v[6:7], v2, off
.LBB23_102:
	s_mov_b64 s[10:11], 0
.LBB23_103:
	s_andn2_b64 vcc, exec, s[10:11]
	s_cbranch_vccnz .LBB23_105
; %bb.104:
	v_mov_b32_e32 v2, s18
	global_store_short v[6:7], v2, off
.LBB23_105:
	s_mov_b64 s[10:11], 0
.LBB23_106:
	s_andn2_b64 vcc, exec, s[10:11]
	s_cbranch_vccnz .LBB23_111
; %bb.107:
	s_cmp_gt_i32 s12, 0
	s_mov_b64 s[10:11], -1
	s_cbranch_scc0 .LBB23_109
; %bb.108:
	v_mov_b32_e32 v2, s18
	global_store_byte v[6:7], v2, off
	s_mov_b64 s[10:11], 0
.LBB23_109:
	s_andn2_b64 vcc, exec, s[10:11]
	s_cbranch_vccnz .LBB23_111
; %bb.110:
	v_mov_b32_e32 v2, s18
	global_store_byte v[6:7], v2, off
.LBB23_111:
	s_branch .LBB23_25
.LBB23_112:
	s_mov_b64 s[10:11], 0
                                        ; implicit-def: $vgpr8
.LBB23_113:
	s_and_b64 s[68:69], s[8:9], exec
	s_orn2_b64 s[10:11], s[10:11], exec
.LBB23_114:
	s_or_b64 exec, exec, s[70:71]
	s_mov_b64 s[8:9], 0
                                        ; implicit-def: $sgpr24
                                        ; implicit-def: $vgpr6_vgpr7
	s_and_saveexec_b64 s[70:71], s[10:11]
	s_cbranch_execz .LBB23_121
; %bb.115:
	v_cmp_gt_i32_e32 vcc, s91, v8
	s_mov_b64 s[8:9], -1
	s_mov_b64 s[72:73], s[68:69]
	s_and_saveexec_b64 s[74:75], vcc
	s_cbranch_execz .LBB23_232
; %bb.116:
	s_andn2_b64 vcc, exec, s[36:37]
	s_cbranch_vccnz .LBB23_124
; %bb.117:
	s_andn2_b64 vcc, exec, s[66:67]
	s_cbranch_vccnz .LBB23_125
; %bb.118:
	s_add_i32 s79, s92, 1
	s_cmp_eq_u32 s82, 2
	s_cbranch_scc1 .LBB23_126
; %bb.119:
	s_and_b32 s78, s79, 28
	s_mov_b32 s80, 0
	v_mov_b32_e32 v2, 0
	s_mov_b64 s[72:73], s[34:35]
	s_mov_b64 s[76:77], s[64:65]
	v_mov_b32_e32 v3, v8
.LBB23_120:                             ; =>This Inner Loop Header: Depth=1
	s_load_dwordx8 s[8:15], s[72:73], 0x4
	s_load_dwordx4 s[24:27], s[72:73], 0x24
	s_load_dwordx4 s[28:31], s[76:77], 0x0
	s_add_u32 s72, s72, 48
	s_addc_u32 s73, s73, 0
	s_waitcnt lgkmcnt(0)
	v_mul_hi_u32 v5, s9, v3
	s_add_i32 s80, s80, 4
	s_add_u32 s76, s76, 16
	s_addc_u32 s77, s77, 0
	v_add_u32_e32 v5, v3, v5
	v_lshrrev_b32_e32 v5, s10, v5
	v_mul_lo_u32 v6, v5, s8
	v_mul_hi_u32 v7, s12, v5
	s_cmp_eq_u32 s78, s80
	v_sub_u32_e32 v3, v3, v6
	v_add_u32_e32 v6, v5, v7
	v_lshrrev_b32_e32 v6, s13, v6
	v_mul_lo_u32 v7, v3, s28
	v_mul_hi_u32 v3, s15, v6
	v_mul_lo_u32 v17, v6, s11
	v_add_u32_e32 v3, v6, v3
	v_lshrrev_b32_e32 v16, s24, v3
	v_mul_hi_u32 v3, s26, v16
	v_sub_u32_e32 v5, v5, v17
	v_mul_lo_u32 v17, v16, s14
	v_mul_lo_u32 v5, v5, s29
	v_add_u32_e32 v3, v16, v3
	v_lshrrev_b32_e32 v3, s27, v3
	v_mul_lo_u32 v18, v3, s25
	v_sub_u32_e32 v6, v6, v17
	v_mul_lo_u32 v6, v6, s30
	v_add3_u32 v2, v7, v2, v5
	v_sub_u32_e32 v16, v16, v18
	v_mul_lo_u32 v16, v16, s31
	v_add3_u32 v2, v6, v2, v16
	s_cbranch_scc0 .LBB23_120
	s_branch .LBB23_127
.LBB23_121:
	s_or_b64 exec, exec, s[70:71]
	s_mov_b64 s[0:1], 0
	s_and_saveexec_b64 s[2:3], s[68:69]
	s_cbranch_execnz .LBB23_422
.LBB23_122:
	s_or_b64 exec, exec, s[2:3]
	s_and_saveexec_b64 s[2:3], s[74:75]
	s_xor_b64 s[2:3], exec, s[2:3]
	s_cbranch_execz .LBB23_423
.LBB23_123:
	global_store_byte v[6:7], v10, off
	s_or_b64 exec, exec, s[2:3]
	s_and_saveexec_b64 s[2:3], s[8:9]
	s_xor_b64 s[2:3], exec, s[2:3]
	s_cbranch_execz .LBB23_461
	s_branch .LBB23_424
.LBB23_124:
                                        ; implicit-def: $vgpr2
	s_andn2_b64 vcc, exec, s[8:9]
	s_cbranch_vccz .LBB23_131
	s_branch .LBB23_133
.LBB23_125:
	v_mov_b32_e32 v2, 0
	s_branch .LBB23_130
.LBB23_126:
	v_mov_b32_e32 v2, 0
	s_mov_b32 s78, 0
	v_mov_b32_e32 v3, v8
.LBB23_127:
	s_and_b32 s12, s79, 3
	s_cmp_eq_u32 s12, 0
	s_cbranch_scc1 .LBB23_130
; %bb.128:
	s_lshl_b32 s8, s78, 2
	s_add_u32 s8, s34, s8
	s_addc_u32 s9, s35, 0
	s_add_u32 s8, s8, 0xc4
	s_addc_u32 s9, s9, 0
	s_mul_i32 s10, s78, 12
	s_add_u32 s10, s34, s10
	s_addc_u32 s11, s35, 0
.LBB23_129:                             ; =>This Inner Loop Header: Depth=1
	s_load_dwordx2 s[14:15], s[10:11], 0x4
	s_load_dword s13, s[10:11], 0xc
	s_add_u32 s10, s10, 12
	s_addc_u32 s11, s11, 0
	s_waitcnt lgkmcnt(0)
	v_mul_hi_u32 v5, s15, v3
	s_load_dword s15, s[8:9], 0x0
	s_add_u32 s8, s8, 4
	s_addc_u32 s9, s9, 0
	v_add_u32_e32 v5, v3, v5
	v_lshrrev_b32_e32 v5, s13, v5
	v_mul_lo_u32 v6, v5, s14
	s_add_i32 s12, s12, -1
	s_cmp_lg_u32 s12, 0
	v_sub_u32_e32 v3, v3, v6
	s_waitcnt lgkmcnt(0)
	v_mad_u64_u32 v[2:3], s[14:15], v3, s15, v[2:3]
	v_mov_b32_e32 v3, v5
	s_cbranch_scc1 .LBB23_129
.LBB23_130:
	s_cbranch_execnz .LBB23_133
.LBB23_131:
	s_waitcnt lgkmcnt(0)
	v_mul_hi_u32 v2, s21, v8
	s_andn2_b64 vcc, exec, s[60:61]
	v_add_u32_e32 v2, v8, v2
	v_lshrrev_b32_e32 v3, s22, v2
	v_mul_lo_u32 v2, v3, s20
	v_sub_u32_e32 v2, v8, v2
	v_mul_lo_u32 v2, v2, s58
	s_cbranch_vccnz .LBB23_133
; %bb.132:
	v_mul_hi_u32 v5, s62, v3
	v_add_u32_e32 v5, v3, v5
	v_lshrrev_b32_e32 v5, s63, v5
	v_mul_lo_u32 v5, v5, s23
	v_sub_u32_e32 v3, v3, v5
	v_mad_u64_u32 v[2:3], s[8:9], v3, s59, v[2:3]
.LBB23_133:
	v_mov_b32_e32 v3, s17
	s_and_b32 s14, s19, 0xff
	v_add_co_u32_e32 v6, vcc, s16, v2
	s_cmp_lt_i32 s14, 11
	v_addc_co_u32_e32 v7, vcc, 0, v3, vcc
	s_cbranch_scc1 .LBB23_140
; %bb.134:
	s_and_b32 s15, 0xffff, s14
	s_cmp_gt_i32 s15, 25
	s_cbranch_scc0 .LBB23_143
; %bb.135:
	s_cmp_gt_i32 s15, 28
	s_cbranch_scc0 .LBB23_144
; %bb.136:
	;; [unrolled: 3-line block ×4, first 2 shown]
	s_mov_b64 s[12:13], 0
	s_mov_b64 s[8:9], -1
	s_cmp_eq_u32 s15, 46
	s_mov_b64 s[10:11], 0
	s_cbranch_scc0 .LBB23_147
; %bb.139:
	global_store_dword v[6:7], v12, off
	s_mov_b64 s[10:11], -1
	s_mov_b64 s[8:9], 0
	s_branch .LBB23_147
.LBB23_140:
	s_mov_b64 s[10:11], 0
	s_mov_b64 s[8:9], s[68:69]
	s_cbranch_execnz .LBB23_192
.LBB23_141:
	s_andn2_b64 vcc, exec, s[10:11]
	s_cbranch_vccnz .LBB23_230
.LBB23_142:
	v_add_u32_e32 v8, 0x80, v8
	s_mov_b64 s[10:11], -1
	s_branch .LBB23_231
.LBB23_143:
	s_mov_b64 s[12:13], -1
	s_mov_b64 s[10:11], 0
	s_mov_b64 s[8:9], s[68:69]
	s_branch .LBB23_169
.LBB23_144:
	s_mov_b64 s[12:13], -1
	s_mov_b64 s[10:11], 0
	s_mov_b64 s[8:9], s[68:69]
	s_branch .LBB23_155
.LBB23_145:
	s_mov_b64 s[12:13], -1
	s_mov_b64 s[10:11], 0
	s_mov_b64 s[8:9], s[68:69]
	s_branch .LBB23_151
.LBB23_146:
	s_mov_b64 s[12:13], -1
	s_mov_b64 s[10:11], 0
	s_mov_b64 s[8:9], s[68:69]
.LBB23_147:
	s_and_b64 vcc, exec, s[12:13]
	s_cbranch_vccz .LBB23_150
; %bb.148:
	s_cmp_eq_u32 s15, 44
	s_mov_b64 s[8:9], -1
	s_cbranch_scc0 .LBB23_150
; %bb.149:
	v_mov_b32_e32 v2, 0xffff
	v_cndmask_b32_e64 v2, v15, v2, s[4:5]
	s_mov_b64 s[10:11], -1
	s_mov_b64 s[8:9], 0
	global_store_byte v[6:7], v2, off
.LBB23_150:
	s_mov_b64 s[12:13], 0
.LBB23_151:
	s_and_b64 vcc, exec, s[12:13]
	s_cbranch_vccz .LBB23_154
; %bb.152:
	s_cmp_eq_u32 s15, 29
	s_mov_b64 s[8:9], -1
	s_cbranch_scc0 .LBB23_154
; %bb.153:
	v_mov_b32_e32 v2, s40
	v_mov_b32_e32 v3, s41
	global_store_dwordx2 v[6:7], v[2:3], off
	s_mov_b64 s[10:11], -1
	s_mov_b64 s[8:9], 0
.LBB23_154:
	s_mov_b64 s[12:13], 0
.LBB23_155:
	s_and_b64 vcc, exec, s[12:13]
	s_cbranch_vccz .LBB23_168
; %bb.156:
	s_cmp_lt_i32 s15, 27
	s_mov_b64 s[10:11], -1
	s_cbranch_scc1 .LBB23_162
; %bb.157:
	s_cmp_gt_i32 s15, 27
	s_cbranch_scc0 .LBB23_159
; %bb.158:
	v_mov_b32_e32 v2, s18
	s_mov_b64 s[10:11], 0
	global_store_dword v[6:7], v2, off
.LBB23_159:
	s_andn2_b64 vcc, exec, s[10:11]
	s_cbranch_vccnz .LBB23_161
; %bb.160:
	v_mov_b32_e32 v2, s18
	global_store_short v[6:7], v2, off
.LBB23_161:
	s_mov_b64 s[10:11], 0
.LBB23_162:
	s_andn2_b64 vcc, exec, s[10:11]
	s_cbranch_vccnz .LBB23_167
; %bb.163:
	s_andn2_b64 vcc, exec, s[54:55]
	v_mov_b32_e32 v2, 0x80
	s_cbranch_vccnz .LBB23_166
; %bb.164:
	s_or_b64 s[10:11], s[2:3], s[56:57]
	s_andn2_b64 vcc, exec, s[10:11]
	v_mov_b32_e32 v2, 0
	s_cbranch_vccnz .LBB23_166
; %bb.165:
	v_mov_b32_e32 v2, s90
	v_cndmask_b32_e64 v2, v14, v2, s[2:3]
	v_or_b32_e32 v2, v2, v11
.LBB23_166:
	global_store_byte v[6:7], v2, off
.LBB23_167:
	s_mov_b64 s[10:11], -1
.LBB23_168:
	s_mov_b64 s[12:13], 0
.LBB23_169:
	s_and_b64 vcc, exec, s[12:13]
	s_cbranch_vccz .LBB23_191
; %bb.170:
	s_cmp_gt_i32 s15, 22
	s_mov_b64 s[12:13], -1
	s_cbranch_scc0 .LBB23_183
; %bb.171:
	s_cmp_lt_i32 s15, 24
	s_mov_b64 s[10:11], -1
	s_cbranch_scc1 .LBB23_180
; %bb.172:
	s_cmp_gt_i32 s15, 24
	s_cbranch_scc0 .LBB23_177
; %bb.173:
	s_andn2_b64 vcc, exec, s[50:51]
	v_mov_b32_e32 v2, 0x80
	s_cbranch_vccnz .LBB23_176
; %bb.174:
	s_or_b64 s[10:11], s[0:1], s[52:53]
	s_andn2_b64 vcc, exec, s[10:11]
	v_mov_b32_e32 v2, 0
	s_cbranch_vccnz .LBB23_176
; %bb.175:
	v_mov_b32_e32 v2, s88
	v_cndmask_b32_e64 v2, v13, v2, s[0:1]
	v_or_b32_e32 v2, v2, v11
.LBB23_176:
	s_mov_b64 s[10:11], 0
	global_store_byte v[6:7], v2, off
.LBB23_177:
	s_and_b64 vcc, exec, s[10:11]
	s_cbranch_vccz .LBB23_179
; %bb.178:
	s_and_b64 s[10:11], s[48:49], exec
	s_cselect_b32 s12, s87, s86
	s_and_b64 s[10:11], s[46:47], exec
	s_cselect_b32 s10, s89, s12
	v_or_b32_e32 v2, s10, v11
	global_store_byte v[6:7], v2, off
.LBB23_179:
	s_mov_b64 s[10:11], 0
.LBB23_180:
	s_andn2_b64 vcc, exec, s[10:11]
	s_cbranch_vccnz .LBB23_182
; %bb.181:
	s_and_b64 s[10:11], s[44:45], exec
	s_cselect_b32 s12, s84, s83
	s_and_b64 s[10:11], s[42:43], exec
	s_cselect_b32 s10, s85, s12
	v_or_b32_e32 v2, s10, v11
	global_store_byte v[6:7], v2, off
.LBB23_182:
	s_mov_b64 s[12:13], 0
	s_mov_b64 s[10:11], -1
.LBB23_183:
	s_andn2_b64 vcc, exec, s[12:13]
	s_cbranch_vccnz .LBB23_191
; %bb.184:
	s_cmp_gt_i32 s15, 14
	s_mov_b64 s[12:13], -1
	s_cbranch_scc0 .LBB23_188
; %bb.185:
	s_cmp_eq_u32 s15, 15
	s_mov_b64 s[8:9], -1
	s_cbranch_scc0 .LBB23_187
; %bb.186:
	global_store_short v[6:7], v12, off
	s_mov_b64 s[10:11], -1
	s_mov_b64 s[8:9], 0
.LBB23_187:
	s_mov_b64 s[12:13], 0
.LBB23_188:
	s_and_b64 vcc, exec, s[12:13]
	s_cbranch_vccz .LBB23_191
; %bb.189:
	s_cmp_eq_u32 s15, 11
	s_mov_b64 s[8:9], -1
	s_cbranch_scc0 .LBB23_191
; %bb.190:
	s_mov_b64 s[10:11], -1
	s_mov_b64 s[8:9], 0
	global_store_byte v[6:7], v10, off
.LBB23_191:
	s_branch .LBB23_141
.LBB23_192:
	s_and_b32 s12, 0xffff, s14
	s_cmp_lt_i32 s12, 5
	s_mov_b64 s[10:11], -1
	s_cbranch_scc1 .LBB23_213
; %bb.193:
	s_cmp_lt_i32 s12, 8
	s_cbranch_scc1 .LBB23_203
; %bb.194:
	s_cmp_lt_i32 s12, 9
	s_cbranch_scc1 .LBB23_200
; %bb.195:
	s_cmp_gt_i32 s12, 9
	s_cbranch_scc0 .LBB23_197
; %bb.196:
	v_mov_b32_e32 v2, 0
	v_mov_b32_e32 v3, v2
	s_mov_b64 s[10:11], 0
	global_store_dwordx4 v[6:7], v[0:3], off
.LBB23_197:
	s_andn2_b64 vcc, exec, s[10:11]
	s_cbranch_vccnz .LBB23_199
; %bb.198:
	v_mov_b32_e32 v5, 0
	global_store_dwordx2 v[6:7], v[4:5], off
.LBB23_199:
	s_mov_b64 s[10:11], 0
.LBB23_200:
	s_andn2_b64 vcc, exec, s[10:11]
	s_cbranch_vccnz .LBB23_202
; %bb.201:
	global_store_dword v[6:7], v9, off
.LBB23_202:
	s_mov_b64 s[10:11], 0
.LBB23_203:
	s_andn2_b64 vcc, exec, s[10:11]
	s_cbranch_vccnz .LBB23_212
; %bb.204:
	s_cmp_lt_i32 s12, 6
	s_mov_b64 s[10:11], -1
	s_cbranch_scc1 .LBB23_210
; %bb.205:
	s_cmp_gt_i32 s12, 6
	s_cbranch_scc0 .LBB23_207
; %bb.206:
	s_mov_b64 s[10:11], 0
	global_store_dwordx2 v[6:7], v[0:1], off
.LBB23_207:
	s_andn2_b64 vcc, exec, s[10:11]
	s_cbranch_vccnz .LBB23_209
; %bb.208:
	global_store_dword v[6:7], v4, off
.LBB23_209:
	s_mov_b64 s[10:11], 0
.LBB23_210:
	s_andn2_b64 vcc, exec, s[10:11]
	s_cbranch_vccnz .LBB23_212
; %bb.211:
	global_store_short v[6:7], v9, off
.LBB23_212:
	s_mov_b64 s[10:11], 0
.LBB23_213:
	s_andn2_b64 vcc, exec, s[10:11]
	s_cbranch_vccnz .LBB23_229
; %bb.214:
	s_cmp_lt_i32 s12, 2
	s_mov_b64 s[10:11], -1
	s_cbranch_scc1 .LBB23_224
; %bb.215:
	s_cmp_lt_i32 s12, 3
	s_cbranch_scc1 .LBB23_221
; %bb.216:
	s_cmp_gt_i32 s12, 3
	s_cbranch_scc0 .LBB23_218
; %bb.217:
	v_mov_b32_e32 v2, s40
	v_mov_b32_e32 v3, s41
	s_mov_b64 s[10:11], 0
	global_store_dwordx2 v[6:7], v[2:3], off
.LBB23_218:
	s_andn2_b64 vcc, exec, s[10:11]
	s_cbranch_vccnz .LBB23_220
; %bb.219:
	v_mov_b32_e32 v2, s18
	global_store_dword v[6:7], v2, off
.LBB23_220:
	s_mov_b64 s[10:11], 0
.LBB23_221:
	s_andn2_b64 vcc, exec, s[10:11]
	s_cbranch_vccnz .LBB23_223
; %bb.222:
	v_mov_b32_e32 v2, s18
	global_store_short v[6:7], v2, off
.LBB23_223:
	s_mov_b64 s[10:11], 0
.LBB23_224:
	s_andn2_b64 vcc, exec, s[10:11]
	s_cbranch_vccnz .LBB23_229
; %bb.225:
	s_cmp_gt_i32 s12, 0
	s_mov_b64 s[10:11], -1
	s_cbranch_scc0 .LBB23_227
; %bb.226:
	v_mov_b32_e32 v2, s18
	s_mov_b64 s[10:11], 0
	global_store_byte v[6:7], v2, off
.LBB23_227:
	s_andn2_b64 vcc, exec, s[10:11]
	s_cbranch_vccnz .LBB23_229
; %bb.228:
	v_mov_b32_e32 v2, s18
	global_store_byte v[6:7], v2, off
.LBB23_229:
	s_branch .LBB23_142
.LBB23_230:
	s_mov_b64 s[10:11], 0
                                        ; implicit-def: $vgpr8
.LBB23_231:
	s_andn2_b64 s[12:13], s[68:69], exec
	s_and_b64 s[8:9], s[8:9], exec
	s_or_b64 s[72:73], s[12:13], s[8:9]
	s_orn2_b64 s[8:9], s[10:11], exec
.LBB23_232:
	s_or_b64 exec, exec, s[74:75]
	s_mov_b64 s[10:11], 0
	s_mov_b64 s[12:13], 0
                                        ; implicit-def: $sgpr24
                                        ; implicit-def: $vgpr6_vgpr7
	s_and_saveexec_b64 s[74:75], s[8:9]
	s_cbranch_execz .LBB23_421
; %bb.233:
	v_cmp_gt_i32_e32 vcc, s91, v8
	s_mov_b64 s[10:11], -1
	s_mov_b64 s[78:79], s[72:73]
	s_and_saveexec_b64 s[76:77], vcc
	s_cbranch_execz .LBB23_349
; %bb.234:
	s_andn2_b64 vcc, exec, s[36:37]
	s_cbranch_vccnz .LBB23_239
; %bb.235:
	s_andn2_b64 vcc, exec, s[66:67]
	s_cbranch_vccnz .LBB23_240
; %bb.236:
	s_add_i32 s94, s92, 1
	s_cmp_eq_u32 s82, 2
	s_cbranch_scc1 .LBB23_241
; %bb.237:
	s_and_b32 s93, s94, 28
	s_mov_b32 s95, 0
	v_mov_b32_e32 v2, 0
	s_mov_b64 s[78:79], s[34:35]
	s_mov_b64 s[80:81], s[64:65]
	v_mov_b32_e32 v3, v8
.LBB23_238:                             ; =>This Inner Loop Header: Depth=1
	s_load_dwordx8 s[8:15], s[78:79], 0x4
	s_load_dwordx4 s[24:27], s[78:79], 0x24
	s_load_dwordx4 s[28:31], s[80:81], 0x0
	s_add_u32 s78, s78, 48
	s_addc_u32 s79, s79, 0
	s_waitcnt lgkmcnt(0)
	v_mul_hi_u32 v5, s9, v3
	s_add_i32 s95, s95, 4
	s_add_u32 s80, s80, 16
	s_addc_u32 s81, s81, 0
	v_add_u32_e32 v5, v3, v5
	v_lshrrev_b32_e32 v5, s10, v5
	v_mul_lo_u32 v6, v5, s8
	v_mul_hi_u32 v7, s12, v5
	s_cmp_eq_u32 s93, s95
	v_sub_u32_e32 v3, v3, v6
	v_add_u32_e32 v6, v5, v7
	v_lshrrev_b32_e32 v6, s13, v6
	v_mul_lo_u32 v7, v3, s28
	v_mul_hi_u32 v3, s15, v6
	v_mul_lo_u32 v17, v6, s11
	v_add_u32_e32 v3, v6, v3
	v_lshrrev_b32_e32 v16, s24, v3
	v_mul_hi_u32 v3, s26, v16
	v_sub_u32_e32 v5, v5, v17
	v_mul_lo_u32 v17, v16, s14
	v_mul_lo_u32 v5, v5, s29
	v_add_u32_e32 v3, v16, v3
	v_lshrrev_b32_e32 v3, s27, v3
	v_mul_lo_u32 v18, v3, s25
	v_sub_u32_e32 v6, v6, v17
	v_mul_lo_u32 v6, v6, s30
	v_add3_u32 v2, v7, v2, v5
	v_sub_u32_e32 v16, v16, v18
	v_mul_lo_u32 v16, v16, s31
	v_add3_u32 v2, v6, v2, v16
	s_cbranch_scc0 .LBB23_238
	s_branch .LBB23_242
.LBB23_239:
	s_mov_b64 s[8:9], -1
                                        ; implicit-def: $vgpr2
	s_branch .LBB23_246
.LBB23_240:
	v_mov_b32_e32 v2, 0
	s_branch .LBB23_245
.LBB23_241:
	v_mov_b32_e32 v2, 0
	s_mov_b32 s93, 0
	v_mov_b32_e32 v3, v8
.LBB23_242:
	s_and_b32 s12, s94, 3
	s_cmp_eq_u32 s12, 0
	s_cbranch_scc1 .LBB23_245
; %bb.243:
	s_lshl_b32 s8, s93, 2
	s_add_u32 s8, s34, s8
	s_addc_u32 s9, s35, 0
	s_add_u32 s8, s8, 0xc4
	s_addc_u32 s9, s9, 0
	s_mul_i32 s10, s93, 12
	s_add_u32 s10, s34, s10
	s_addc_u32 s11, s35, 0
.LBB23_244:                             ; =>This Inner Loop Header: Depth=1
	s_load_dwordx2 s[14:15], s[10:11], 0x4
	s_load_dword s13, s[10:11], 0xc
	s_add_u32 s10, s10, 12
	s_addc_u32 s11, s11, 0
	s_waitcnt lgkmcnt(0)
	v_mul_hi_u32 v5, s15, v3
	s_load_dword s15, s[8:9], 0x0
	s_add_u32 s8, s8, 4
	s_addc_u32 s9, s9, 0
	v_add_u32_e32 v5, v3, v5
	v_lshrrev_b32_e32 v5, s13, v5
	v_mul_lo_u32 v6, v5, s14
	s_add_i32 s12, s12, -1
	s_cmp_lg_u32 s12, 0
	v_sub_u32_e32 v3, v3, v6
	s_waitcnt lgkmcnt(0)
	v_mad_u64_u32 v[2:3], s[14:15], v3, s15, v[2:3]
	v_mov_b32_e32 v3, v5
	s_cbranch_scc1 .LBB23_244
.LBB23_245:
	s_mov_b64 s[8:9], 0
.LBB23_246:
	s_andn2_b64 vcc, exec, s[8:9]
	s_cbranch_vccnz .LBB23_249
; %bb.247:
	s_waitcnt lgkmcnt(0)
	v_mul_hi_u32 v2, s21, v8
	s_andn2_b64 vcc, exec, s[60:61]
	v_add_u32_e32 v2, v8, v2
	v_lshrrev_b32_e32 v3, s22, v2
	v_mul_lo_u32 v2, v3, s20
	v_sub_u32_e32 v2, v8, v2
	v_mul_lo_u32 v2, v2, s58
	s_cbranch_vccnz .LBB23_249
; %bb.248:
	v_mul_hi_u32 v5, s62, v3
	v_add_u32_e32 v5, v3, v5
	v_lshrrev_b32_e32 v5, s63, v5
	v_mul_lo_u32 v5, v5, s23
	v_sub_u32_e32 v3, v3, v5
	v_mad_u64_u32 v[2:3], s[8:9], v3, s59, v[2:3]
.LBB23_249:
	v_mov_b32_e32 v3, s17
	s_and_b32 s14, s19, 0xff
	v_add_co_u32_e32 v6, vcc, s16, v2
	s_cmp_lt_i32 s14, 11
	v_addc_co_u32_e32 v7, vcc, 0, v3, vcc
	s_cbranch_scc1 .LBB23_256
; %bb.250:
	s_and_b32 s15, 0xffff, s14
	s_cmp_gt_i32 s15, 25
	s_cbranch_scc0 .LBB23_257
; %bb.251:
	s_cmp_gt_i32 s15, 28
	s_cbranch_scc0 .LBB23_258
; %bb.252:
	;; [unrolled: 3-line block ×4, first 2 shown]
	s_mov_b64 s[12:13], 0
	s_mov_b64 s[8:9], -1
	s_cmp_eq_u32 s15, 46
	s_mov_b64 s[10:11], 0
	s_cbranch_scc0 .LBB23_261
; %bb.255:
	global_store_dword v[6:7], v12, off
	s_mov_b64 s[10:11], -1
	s_mov_b64 s[8:9], 0
	s_branch .LBB23_261
.LBB23_256:
	s_mov_b64 s[12:13], -1
	s_mov_b64 s[10:11], 0
	s_mov_b64 s[8:9], s[72:73]
	s_branch .LBB23_306
.LBB23_257:
	s_mov_b64 s[12:13], -1
	s_mov_b64 s[10:11], 0
	s_mov_b64 s[8:9], s[72:73]
	s_branch .LBB23_283
.LBB23_258:
	s_mov_b64 s[12:13], -1
	s_mov_b64 s[10:11], 0
	s_mov_b64 s[8:9], s[72:73]
	s_branch .LBB23_269
.LBB23_259:
	s_mov_b64 s[12:13], -1
	s_mov_b64 s[10:11], 0
	s_mov_b64 s[8:9], s[72:73]
	s_branch .LBB23_265
.LBB23_260:
	s_mov_b64 s[12:13], -1
	s_mov_b64 s[10:11], 0
	s_mov_b64 s[8:9], s[72:73]
.LBB23_261:
	s_and_b64 vcc, exec, s[12:13]
	s_cbranch_vccz .LBB23_264
; %bb.262:
	s_cmp_eq_u32 s15, 44
	s_mov_b64 s[8:9], -1
	s_cbranch_scc0 .LBB23_264
; %bb.263:
	v_mov_b32_e32 v2, 0xffff
	v_cndmask_b32_e64 v2, v15, v2, s[4:5]
	s_mov_b64 s[10:11], -1
	s_mov_b64 s[8:9], 0
	global_store_byte v[6:7], v2, off
.LBB23_264:
	s_mov_b64 s[12:13], 0
.LBB23_265:
	s_and_b64 vcc, exec, s[12:13]
	s_cbranch_vccz .LBB23_268
; %bb.266:
	s_cmp_eq_u32 s15, 29
	s_mov_b64 s[8:9], -1
	s_cbranch_scc0 .LBB23_268
; %bb.267:
	v_mov_b32_e32 v2, s40
	v_mov_b32_e32 v3, s41
	global_store_dwordx2 v[6:7], v[2:3], off
	s_mov_b64 s[10:11], -1
	s_mov_b64 s[8:9], 0
.LBB23_268:
	s_mov_b64 s[12:13], 0
.LBB23_269:
	s_and_b64 vcc, exec, s[12:13]
	s_cbranch_vccz .LBB23_282
; %bb.270:
	s_cmp_lt_i32 s15, 27
	s_mov_b64 s[10:11], -1
	s_cbranch_scc1 .LBB23_276
; %bb.271:
	s_cmp_gt_i32 s15, 27
	s_cbranch_scc0 .LBB23_273
; %bb.272:
	v_mov_b32_e32 v2, s18
	s_mov_b64 s[10:11], 0
	global_store_dword v[6:7], v2, off
.LBB23_273:
	s_andn2_b64 vcc, exec, s[10:11]
	s_cbranch_vccnz .LBB23_275
; %bb.274:
	v_mov_b32_e32 v2, s18
	global_store_short v[6:7], v2, off
.LBB23_275:
	s_mov_b64 s[10:11], 0
.LBB23_276:
	s_andn2_b64 vcc, exec, s[10:11]
	s_cbranch_vccnz .LBB23_281
; %bb.277:
	s_andn2_b64 vcc, exec, s[54:55]
	v_mov_b32_e32 v2, 0x80
	s_cbranch_vccnz .LBB23_280
; %bb.278:
	s_or_b64 s[10:11], s[2:3], s[56:57]
	s_andn2_b64 vcc, exec, s[10:11]
	v_mov_b32_e32 v2, 0
	s_cbranch_vccnz .LBB23_280
; %bb.279:
	v_mov_b32_e32 v2, s90
	v_cndmask_b32_e64 v2, v14, v2, s[2:3]
	v_or_b32_e32 v2, v2, v11
.LBB23_280:
	global_store_byte v[6:7], v2, off
.LBB23_281:
	s_mov_b64 s[10:11], -1
.LBB23_282:
	s_mov_b64 s[12:13], 0
.LBB23_283:
	s_and_b64 vcc, exec, s[12:13]
	s_cbranch_vccz .LBB23_305
; %bb.284:
	s_cmp_gt_i32 s15, 22
	s_mov_b64 s[12:13], -1
	s_cbranch_scc0 .LBB23_297
; %bb.285:
	s_cmp_lt_i32 s15, 24
	s_mov_b64 s[10:11], -1
	s_cbranch_scc1 .LBB23_294
; %bb.286:
	s_cmp_gt_i32 s15, 24
	s_cbranch_scc0 .LBB23_291
; %bb.287:
	s_andn2_b64 vcc, exec, s[50:51]
	v_mov_b32_e32 v2, 0x80
	s_cbranch_vccnz .LBB23_290
; %bb.288:
	s_or_b64 s[10:11], s[0:1], s[52:53]
	s_andn2_b64 vcc, exec, s[10:11]
	v_mov_b32_e32 v2, 0
	s_cbranch_vccnz .LBB23_290
; %bb.289:
	v_mov_b32_e32 v2, s88
	v_cndmask_b32_e64 v2, v13, v2, s[0:1]
	v_or_b32_e32 v2, v2, v11
.LBB23_290:
	s_mov_b64 s[10:11], 0
	global_store_byte v[6:7], v2, off
.LBB23_291:
	s_and_b64 vcc, exec, s[10:11]
	s_cbranch_vccz .LBB23_293
; %bb.292:
	s_and_b64 s[10:11], s[48:49], exec
	s_cselect_b32 s12, s87, s86
	s_and_b64 s[10:11], s[46:47], exec
	s_cselect_b32 s10, s89, s12
	v_or_b32_e32 v2, s10, v11
	global_store_byte v[6:7], v2, off
.LBB23_293:
	s_mov_b64 s[10:11], 0
.LBB23_294:
	s_andn2_b64 vcc, exec, s[10:11]
	s_cbranch_vccnz .LBB23_296
; %bb.295:
	s_and_b64 s[10:11], s[44:45], exec
	s_cselect_b32 s12, s84, s83
	s_and_b64 s[10:11], s[42:43], exec
	s_cselect_b32 s10, s85, s12
	v_or_b32_e32 v2, s10, v11
	global_store_byte v[6:7], v2, off
.LBB23_296:
	s_mov_b64 s[12:13], 0
	s_mov_b64 s[10:11], -1
.LBB23_297:
	s_andn2_b64 vcc, exec, s[12:13]
	s_cbranch_vccnz .LBB23_305
; %bb.298:
	s_cmp_gt_i32 s15, 14
	s_mov_b64 s[12:13], -1
	s_cbranch_scc0 .LBB23_302
; %bb.299:
	s_cmp_eq_u32 s15, 15
	s_mov_b64 s[8:9], -1
	s_cbranch_scc0 .LBB23_301
; %bb.300:
	global_store_short v[6:7], v12, off
	s_mov_b64 s[10:11], -1
	s_mov_b64 s[8:9], 0
.LBB23_301:
	s_mov_b64 s[12:13], 0
.LBB23_302:
	s_and_b64 vcc, exec, s[12:13]
	s_cbranch_vccz .LBB23_305
; %bb.303:
	s_cmp_eq_u32 s15, 11
	s_mov_b64 s[8:9], -1
	s_cbranch_scc0 .LBB23_305
; %bb.304:
	s_mov_b64 s[10:11], -1
	s_mov_b64 s[8:9], 0
	global_store_byte v[6:7], v10, off
.LBB23_305:
	s_mov_b64 s[12:13], 0
.LBB23_306:
	s_and_b64 vcc, exec, s[12:13]
	s_cbranch_vccz .LBB23_345
; %bb.307:
	s_and_b32 s12, 0xffff, s14
	s_cmp_lt_i32 s12, 5
	s_mov_b64 s[10:11], -1
	s_cbranch_scc1 .LBB23_328
; %bb.308:
	s_cmp_lt_i32 s12, 8
	s_cbranch_scc1 .LBB23_318
; %bb.309:
	s_cmp_lt_i32 s12, 9
	s_cbranch_scc1 .LBB23_315
; %bb.310:
	s_cmp_gt_i32 s12, 9
	s_cbranch_scc0 .LBB23_312
; %bb.311:
	v_mov_b32_e32 v2, 0
	v_mov_b32_e32 v3, v2
	s_mov_b64 s[10:11], 0
	global_store_dwordx4 v[6:7], v[0:3], off
.LBB23_312:
	s_andn2_b64 vcc, exec, s[10:11]
	s_cbranch_vccnz .LBB23_314
; %bb.313:
	v_mov_b32_e32 v5, 0
	global_store_dwordx2 v[6:7], v[4:5], off
.LBB23_314:
	s_mov_b64 s[10:11], 0
.LBB23_315:
	s_andn2_b64 vcc, exec, s[10:11]
	s_cbranch_vccnz .LBB23_317
; %bb.316:
	global_store_dword v[6:7], v9, off
.LBB23_317:
	s_mov_b64 s[10:11], 0
.LBB23_318:
	s_andn2_b64 vcc, exec, s[10:11]
	s_cbranch_vccnz .LBB23_327
; %bb.319:
	s_cmp_lt_i32 s12, 6
	s_mov_b64 s[10:11], -1
	s_cbranch_scc1 .LBB23_325
; %bb.320:
	s_cmp_gt_i32 s12, 6
	s_cbranch_scc0 .LBB23_322
; %bb.321:
	s_mov_b64 s[10:11], 0
	global_store_dwordx2 v[6:7], v[0:1], off
.LBB23_322:
	s_andn2_b64 vcc, exec, s[10:11]
	s_cbranch_vccnz .LBB23_324
; %bb.323:
	global_store_dword v[6:7], v4, off
.LBB23_324:
	s_mov_b64 s[10:11], 0
.LBB23_325:
	s_andn2_b64 vcc, exec, s[10:11]
	s_cbranch_vccnz .LBB23_327
; %bb.326:
	global_store_short v[6:7], v9, off
.LBB23_327:
	s_mov_b64 s[10:11], 0
.LBB23_328:
	s_andn2_b64 vcc, exec, s[10:11]
	s_cbranch_vccnz .LBB23_344
; %bb.329:
	s_cmp_lt_i32 s12, 2
	s_mov_b64 s[10:11], -1
	s_cbranch_scc1 .LBB23_339
; %bb.330:
	s_cmp_lt_i32 s12, 3
	s_cbranch_scc1 .LBB23_336
; %bb.331:
	s_cmp_gt_i32 s12, 3
	s_cbranch_scc0 .LBB23_333
; %bb.332:
	v_mov_b32_e32 v2, s40
	v_mov_b32_e32 v3, s41
	s_mov_b64 s[10:11], 0
	global_store_dwordx2 v[6:7], v[2:3], off
.LBB23_333:
	s_andn2_b64 vcc, exec, s[10:11]
	s_cbranch_vccnz .LBB23_335
; %bb.334:
	v_mov_b32_e32 v2, s18
	global_store_dword v[6:7], v2, off
.LBB23_335:
	s_mov_b64 s[10:11], 0
.LBB23_336:
	s_andn2_b64 vcc, exec, s[10:11]
	s_cbranch_vccnz .LBB23_338
; %bb.337:
	v_mov_b32_e32 v2, s18
	global_store_short v[6:7], v2, off
.LBB23_338:
	s_mov_b64 s[10:11], 0
.LBB23_339:
	s_andn2_b64 vcc, exec, s[10:11]
	s_cbranch_vccnz .LBB23_344
; %bb.340:
	s_cmp_gt_i32 s12, 0
	s_mov_b64 s[10:11], -1
	s_cbranch_scc0 .LBB23_342
; %bb.341:
	v_mov_b32_e32 v2, s18
	s_mov_b64 s[10:11], 0
	global_store_byte v[6:7], v2, off
.LBB23_342:
	s_andn2_b64 vcc, exec, s[10:11]
	s_cbranch_vccnz .LBB23_344
; %bb.343:
	v_mov_b32_e32 v2, s18
	global_store_byte v[6:7], v2, off
.LBB23_344:
	s_mov_b64 s[10:11], -1
.LBB23_345:
	s_andn2_b64 vcc, exec, s[10:11]
	s_cbranch_vccnz .LBB23_347
; %bb.346:
	v_add_u32_e32 v8, 0x80, v8
	s_mov_b64 s[10:11], -1
	s_branch .LBB23_348
.LBB23_347:
	s_mov_b64 s[10:11], 0
                                        ; implicit-def: $vgpr8
.LBB23_348:
	s_andn2_b64 s[12:13], s[72:73], exec
	s_and_b64 s[8:9], s[8:9], exec
	s_or_b64 s[78:79], s[12:13], s[8:9]
	s_orn2_b64 s[10:11], s[10:11], exec
.LBB23_349:
	s_or_b64 exec, exec, s[76:77]
	s_mov_b64 s[8:9], 0
	s_mov_b64 s[14:15], 0
                                        ; implicit-def: $sgpr24
                                        ; implicit-def: $vgpr6_vgpr7
	s_and_saveexec_b64 s[76:77], s[10:11]
	s_cbranch_execz .LBB23_420
; %bb.350:
	v_cmp_gt_i32_e32 vcc, s91, v8
	s_mov_b64 s[10:11], 0
	s_mov_b64 s[12:13], s[78:79]
                                        ; implicit-def: $sgpr24
                                        ; implicit-def: $vgpr6_vgpr7
	s_and_saveexec_b64 s[80:81], vcc
	s_cbranch_execz .LBB23_419
; %bb.351:
	s_andn2_b64 vcc, exec, s[36:37]
	s_cbranch_vccnz .LBB23_356
; %bb.352:
	s_andn2_b64 vcc, exec, s[66:67]
	s_cbranch_vccnz .LBB23_357
; %bb.353:
	s_add_i32 s92, s92, 1
	s_cmp_eq_u32 s82, 2
	s_cbranch_scc1 .LBB23_358
; %bb.354:
	s_and_b32 s91, s92, 28
	s_mov_b32 s93, 0
	v_mov_b32_e32 v2, 0
	s_mov_b64 s[66:67], s[34:35]
	v_mov_b32_e32 v3, v8
.LBB23_355:                             ; =>This Inner Loop Header: Depth=1
	s_load_dwordx8 s[8:15], s[66:67], 0x4
	s_load_dwordx4 s[24:27], s[66:67], 0x24
	s_load_dwordx4 s[28:31], s[64:65], 0x0
	s_add_u32 s66, s66, 48
	s_addc_u32 s67, s67, 0
	s_waitcnt lgkmcnt(0)
	v_mul_hi_u32 v5, s9, v3
	s_add_i32 s93, s93, 4
	s_add_u32 s64, s64, 16
	s_addc_u32 s65, s65, 0
	v_add_u32_e32 v5, v3, v5
	v_lshrrev_b32_e32 v5, s10, v5
	v_mul_lo_u32 v6, v5, s8
	v_mul_hi_u32 v7, s12, v5
	s_cmp_eq_u32 s91, s93
	v_sub_u32_e32 v3, v3, v6
	v_add_u32_e32 v6, v5, v7
	v_lshrrev_b32_e32 v6, s13, v6
	v_mul_lo_u32 v7, v3, s28
	v_mul_hi_u32 v3, s15, v6
	v_mul_lo_u32 v17, v6, s11
	v_add_u32_e32 v3, v6, v3
	v_lshrrev_b32_e32 v16, s24, v3
	v_mul_hi_u32 v3, s26, v16
	v_sub_u32_e32 v5, v5, v17
	v_mul_lo_u32 v17, v16, s14
	v_mul_lo_u32 v5, v5, s29
	v_add_u32_e32 v3, v16, v3
	v_lshrrev_b32_e32 v3, s27, v3
	v_mul_lo_u32 v18, v3, s25
	v_sub_u32_e32 v6, v6, v17
	v_mul_lo_u32 v6, v6, s30
	v_add3_u32 v2, v7, v2, v5
	v_sub_u32_e32 v16, v16, v18
	v_mul_lo_u32 v16, v16, s31
	v_add3_u32 v2, v6, v2, v16
	s_cbranch_scc0 .LBB23_355
	s_branch .LBB23_359
.LBB23_356:
	s_mov_b64 s[8:9], -1
                                        ; implicit-def: $vgpr2
	s_branch .LBB23_363
.LBB23_357:
	v_mov_b32_e32 v2, 0
	s_branch .LBB23_362
.LBB23_358:
	v_mov_b32_e32 v2, 0
	s_mov_b32 s91, 0
	v_mov_b32_e32 v3, v8
.LBB23_359:
	s_and_b32 s12, s92, 3
	s_cmp_eq_u32 s12, 0
	s_cbranch_scc1 .LBB23_362
; %bb.360:
	s_lshl_b32 s8, s91, 2
	s_add_u32 s8, s34, s8
	s_addc_u32 s9, s35, 0
	s_add_u32 s8, s8, 0xc4
	s_addc_u32 s9, s9, 0
	s_mul_i32 s10, s91, 12
	s_add_u32 s10, s34, s10
	s_addc_u32 s11, s35, 0
.LBB23_361:                             ; =>This Inner Loop Header: Depth=1
	s_load_dwordx2 s[14:15], s[10:11], 0x4
	s_load_dword s13, s[10:11], 0xc
	s_add_u32 s10, s10, 12
	s_addc_u32 s11, s11, 0
	s_waitcnt lgkmcnt(0)
	v_mul_hi_u32 v5, s15, v3
	s_load_dword s15, s[8:9], 0x0
	s_add_u32 s8, s8, 4
	s_addc_u32 s9, s9, 0
	v_add_u32_e32 v5, v3, v5
	v_lshrrev_b32_e32 v5, s13, v5
	v_mul_lo_u32 v6, v5, s14
	s_add_i32 s12, s12, -1
	s_cmp_lg_u32 s12, 0
	v_sub_u32_e32 v3, v3, v6
	s_waitcnt lgkmcnt(0)
	v_mad_u64_u32 v[2:3], s[14:15], v3, s15, v[2:3]
	v_mov_b32_e32 v3, v5
	s_cbranch_scc1 .LBB23_361
.LBB23_362:
	s_mov_b64 s[8:9], 0
.LBB23_363:
	s_andn2_b64 vcc, exec, s[8:9]
	s_cbranch_vccnz .LBB23_366
; %bb.364:
	s_waitcnt lgkmcnt(0)
	v_mul_hi_u32 v2, s21, v8
	s_andn2_b64 vcc, exec, s[60:61]
	v_add_u32_e32 v2, v8, v2
	v_lshrrev_b32_e32 v3, s22, v2
	v_mul_lo_u32 v2, v3, s20
	v_sub_u32_e32 v2, v8, v2
	v_mul_lo_u32 v2, v2, s58
	s_cbranch_vccnz .LBB23_366
; %bb.365:
	v_mul_hi_u32 v5, s62, v3
	v_add_u32_e32 v5, v3, v5
	v_lshrrev_b32_e32 v5, s63, v5
	v_mul_lo_u32 v5, v5, s23
	v_sub_u32_e32 v3, v3, v5
	v_mad_u64_u32 v[2:3], s[8:9], v3, s59, v[2:3]
.LBB23_366:
	v_mov_b32_e32 v3, s17
	s_and_b32 s24, s19, 0xff
	v_add_co_u32_e32 v6, vcc, s16, v2
	s_cmp_lt_i32 s24, 11
	v_addc_co_u32_e32 v7, vcc, 0, v3, vcc
	s_cbranch_scc1 .LBB23_416
; %bb.367:
	s_and_b32 s12, 0xffff, s24
	s_mov_b64 s[10:11], -1
	s_cmp_gt_i32 s12, 25
	s_mov_b64 s[8:9], s[78:79]
	s_cbranch_scc0 .LBB23_395
; %bb.368:
	s_cmp_gt_i32 s12, 28
	s_mov_b64 s[8:9], s[78:79]
	s_cbranch_scc0 .LBB23_382
; %bb.369:
	;; [unrolled: 4-line block ×4, first 2 shown]
	s_cmp_eq_u32 s12, 46
	s_mov_b64 s[8:9], -1
	s_cbranch_scc0 .LBB23_373
; %bb.372:
	global_store_dword v[6:7], v12, off
	s_mov_b64 s[8:9], 0
.LBB23_373:
	s_mov_b64 s[10:11], 0
.LBB23_374:
	s_and_b64 vcc, exec, s[10:11]
	s_cbranch_vccz .LBB23_377
; %bb.375:
	s_cmp_eq_u32 s12, 44
	s_mov_b64 s[8:9], -1
	s_cbranch_scc0 .LBB23_377
; %bb.376:
	v_mov_b32_e32 v2, 0xffff
	v_cndmask_b32_e64 v2, v15, v2, s[4:5]
	global_store_byte v[6:7], v2, off
	s_mov_b64 s[8:9], 0
.LBB23_377:
	s_mov_b64 s[10:11], 0
.LBB23_378:
	s_and_b64 vcc, exec, s[10:11]
	s_cbranch_vccz .LBB23_381
; %bb.379:
	s_cmp_eq_u32 s12, 29
	s_mov_b64 s[8:9], -1
	s_cbranch_scc0 .LBB23_381
; %bb.380:
	v_mov_b32_e32 v2, s40
	v_mov_b32_e32 v3, s41
	global_store_dwordx2 v[6:7], v[2:3], off
	s_mov_b64 s[8:9], 0
.LBB23_381:
	s_mov_b64 s[10:11], 0
.LBB23_382:
	s_and_b64 vcc, exec, s[10:11]
	s_cbranch_vccz .LBB23_394
; %bb.383:
	s_cmp_lt_i32 s12, 27
	s_mov_b64 s[4:5], -1
	s_cbranch_scc1 .LBB23_389
; %bb.384:
	s_cmp_gt_i32 s12, 27
	s_cbranch_scc0 .LBB23_386
; %bb.385:
	v_mov_b32_e32 v2, s18
	s_mov_b64 s[4:5], 0
	global_store_dword v[6:7], v2, off
.LBB23_386:
	s_andn2_b64 vcc, exec, s[4:5]
	s_cbranch_vccnz .LBB23_388
; %bb.387:
	v_mov_b32_e32 v2, s18
	global_store_short v[6:7], v2, off
.LBB23_388:
	s_mov_b64 s[4:5], 0
.LBB23_389:
	s_andn2_b64 vcc, exec, s[4:5]
	s_cbranch_vccnz .LBB23_394
; %bb.390:
	s_andn2_b64 vcc, exec, s[54:55]
	v_mov_b32_e32 v2, 0x80
	s_cbranch_vccnz .LBB23_393
; %bb.391:
	s_or_b64 s[4:5], s[2:3], s[56:57]
	s_andn2_b64 vcc, exec, s[4:5]
	v_mov_b32_e32 v2, 0
	s_cbranch_vccnz .LBB23_393
; %bb.392:
	v_mov_b32_e32 v2, s90
	v_cndmask_b32_e64 v2, v14, v2, s[2:3]
	v_or_b32_e32 v2, v2, v11
.LBB23_393:
	global_store_byte v[6:7], v2, off
.LBB23_394:
	s_mov_b64 s[10:11], 0
.LBB23_395:
	s_mov_b64 s[2:3], 0
	s_and_b64 vcc, exec, s[10:11]
	s_cbranch_vccz .LBB23_417
; %bb.396:
	s_cmp_gt_i32 s12, 22
	s_mov_b64 s[4:5], -1
	s_cbranch_scc0 .LBB23_409
; %bb.397:
	s_cmp_lt_i32 s12, 24
	s_cbranch_scc1 .LBB23_406
; %bb.398:
	s_cmp_gt_i32 s12, 24
	s_cbranch_scc0 .LBB23_403
; %bb.399:
	s_andn2_b64 vcc, exec, s[50:51]
	v_mov_b32_e32 v2, 0x80
	s_cbranch_vccnz .LBB23_402
; %bb.400:
	s_or_b64 s[4:5], s[0:1], s[52:53]
	s_andn2_b64 vcc, exec, s[4:5]
	v_mov_b32_e32 v2, 0
	s_cbranch_vccnz .LBB23_402
; %bb.401:
	v_mov_b32_e32 v2, s88
	v_cndmask_b32_e64 v2, v13, v2, s[0:1]
	v_or_b32_e32 v2, v2, v11
.LBB23_402:
	s_mov_b64 s[4:5], 0
	global_store_byte v[6:7], v2, off
.LBB23_403:
	s_and_b64 vcc, exec, s[4:5]
	s_cbranch_vccz .LBB23_405
; %bb.404:
	s_and_b64 s[0:1], s[48:49], exec
	s_cselect_b32 s4, s87, s86
	s_and_b64 s[0:1], s[46:47], exec
	s_cselect_b32 s0, s89, s4
	v_or_b32_e32 v2, s0, v11
	global_store_byte v[6:7], v2, off
.LBB23_405:
	s_mov_b64 s[4:5], 0
.LBB23_406:
	s_andn2_b64 vcc, exec, s[4:5]
	s_cbranch_vccnz .LBB23_408
; %bb.407:
	s_and_b64 s[0:1], s[44:45], exec
	s_cselect_b32 s4, s84, s83
	s_and_b64 s[0:1], s[42:43], exec
	s_cselect_b32 s0, s85, s4
	v_or_b32_e32 v2, s0, v11
	global_store_byte v[6:7], v2, off
.LBB23_408:
	s_mov_b64 s[4:5], 0
.LBB23_409:
	s_andn2_b64 vcc, exec, s[4:5]
	s_mov_b64 s[0:1], 0
	s_cbranch_vccnz .LBB23_418
; %bb.410:
	s_cmp_gt_i32 s12, 14
	s_mov_b64 s[4:5], -1
	s_cbranch_scc0 .LBB23_414
; %bb.411:
	s_cmp_eq_u32 s12, 15
	s_mov_b64 s[8:9], -1
	s_cbranch_scc0 .LBB23_413
; %bb.412:
	global_store_short v[6:7], v12, off
	s_mov_b64 s[8:9], 0
.LBB23_413:
	s_mov_b64 s[4:5], 0
.LBB23_414:
	s_and_b64 vcc, exec, s[4:5]
	s_cbranch_vccz .LBB23_418
; %bb.415:
	s_cmp_lg_u32 s12, 11
	s_cselect_b64 s[4:5], -1, 0
	s_andn2_b64 s[8:9], s[8:9], exec
	s_and_b64 s[4:5], s[4:5], exec
	s_mov_b64 s[0:1], -1
	s_or_b64 s[8:9], s[8:9], s[4:5]
	s_branch .LBB23_418
.LBB23_416:
	s_mov_b64 s[0:1], 0
	s_mov_b64 s[2:3], -1
	s_mov_b64 s[8:9], s[78:79]
	s_branch .LBB23_418
.LBB23_417:
	s_mov_b64 s[0:1], 0
.LBB23_418:
	s_and_b64 s[14:15], s[2:3], exec
	s_and_b64 s[10:11], s[0:1], exec
	s_andn2_b64 s[0:1], s[78:79], exec
	s_and_b64 s[2:3], s[8:9], exec
	s_or_b64 s[12:13], s[0:1], s[2:3]
.LBB23_419:
	s_or_b64 exec, exec, s[80:81]
	s_andn2_b64 s[0:1], s[78:79], exec
	s_and_b64 s[2:3], s[12:13], exec
	s_and_b64 s[14:15], s[14:15], exec
	;; [unrolled: 1-line block ×3, first 2 shown]
	s_or_b64 s[78:79], s[0:1], s[2:3]
.LBB23_420:
	s_or_b64 exec, exec, s[76:77]
	s_andn2_b64 s[0:1], s[72:73], exec
	s_and_b64 s[2:3], s[78:79], exec
	s_and_b64 s[12:13], s[14:15], exec
	;; [unrolled: 1-line block ×3, first 2 shown]
	s_or_b64 s[72:73], s[0:1], s[2:3]
.LBB23_421:
	s_or_b64 exec, exec, s[74:75]
	s_andn2_b64 s[0:1], s[68:69], exec
	s_and_b64 s[2:3], s[72:73], exec
	s_and_b64 s[8:9], s[12:13], exec
	;; [unrolled: 1-line block ×3, first 2 shown]
	s_or_b64 s[68:69], s[0:1], s[2:3]
	s_or_b64 exec, exec, s[70:71]
	s_mov_b64 s[0:1], 0
	s_and_saveexec_b64 s[2:3], s[68:69]
	s_cbranch_execz .LBB23_122
.LBB23_422:
	s_mov_b64 s[0:1], exec
	s_andn2_b64 s[74:75], s[74:75], exec
	s_trap 2
	s_or_b64 exec, exec, s[2:3]
	s_and_saveexec_b64 s[2:3], s[74:75]
	s_xor_b64 s[2:3], exec, s[2:3]
	s_cbranch_execnz .LBB23_123
.LBB23_423:
	s_or_b64 exec, exec, s[2:3]
	s_and_saveexec_b64 s[2:3], s[8:9]
	s_xor_b64 s[2:3], exec, s[2:3]
	s_cbranch_execz .LBB23_461
.LBB23_424:
	s_sext_i32_i16 s8, s24
	s_cmp_lt_i32 s8, 5
	s_mov_b64 s[4:5], -1
	s_cbranch_scc1 .LBB23_445
; %bb.425:
	s_cmp_lt_i32 s8, 8
	s_cbranch_scc1 .LBB23_435
; %bb.426:
	s_cmp_lt_i32 s8, 9
	s_cbranch_scc1 .LBB23_432
; %bb.427:
	s_cmp_gt_i32 s8, 9
	s_cbranch_scc0 .LBB23_429
; %bb.428:
	v_mov_b32_e32 v2, 0
	v_mov_b32_e32 v3, v2
	s_mov_b64 s[4:5], 0
	global_store_dwordx4 v[6:7], v[0:3], off
.LBB23_429:
	s_andn2_b64 vcc, exec, s[4:5]
	s_cbranch_vccnz .LBB23_431
; %bb.430:
	v_mov_b32_e32 v5, 0
	global_store_dwordx2 v[6:7], v[4:5], off
.LBB23_431:
	s_mov_b64 s[4:5], 0
.LBB23_432:
	s_andn2_b64 vcc, exec, s[4:5]
	s_cbranch_vccnz .LBB23_434
; %bb.433:
	global_store_dword v[6:7], v9, off
.LBB23_434:
	s_mov_b64 s[4:5], 0
.LBB23_435:
	s_andn2_b64 vcc, exec, s[4:5]
	s_cbranch_vccnz .LBB23_444
; %bb.436:
	s_sext_i32_i16 s8, s24
	s_cmp_lt_i32 s8, 6
	s_mov_b64 s[4:5], -1
	s_cbranch_scc1 .LBB23_442
; %bb.437:
	s_cmp_gt_i32 s8, 6
	s_cbranch_scc0 .LBB23_439
; %bb.438:
	s_mov_b64 s[4:5], 0
	global_store_dwordx2 v[6:7], v[0:1], off
.LBB23_439:
	s_andn2_b64 vcc, exec, s[4:5]
	s_cbranch_vccnz .LBB23_441
; %bb.440:
	global_store_dword v[6:7], v4, off
.LBB23_441:
	s_mov_b64 s[4:5], 0
.LBB23_442:
	s_andn2_b64 vcc, exec, s[4:5]
	s_cbranch_vccnz .LBB23_444
; %bb.443:
	global_store_short v[6:7], v9, off
.LBB23_444:
	s_mov_b64 s[4:5], 0
.LBB23_445:
	s_andn2_b64 vcc, exec, s[4:5]
	s_cbranch_vccnz .LBB23_461
; %bb.446:
	s_sext_i32_i16 s8, s24
	s_cmp_lt_i32 s8, 2
	s_mov_b64 s[4:5], -1
	s_cbranch_scc1 .LBB23_456
; %bb.447:
	s_cmp_lt_i32 s8, 3
	s_cbranch_scc1 .LBB23_453
; %bb.448:
	s_cmp_gt_i32 s8, 3
	s_cbranch_scc0 .LBB23_450
; %bb.449:
	v_mov_b32_e32 v0, s40
	v_mov_b32_e32 v1, s41
	s_mov_b64 s[4:5], 0
	global_store_dwordx2 v[6:7], v[0:1], off
.LBB23_450:
	s_andn2_b64 vcc, exec, s[4:5]
	s_cbranch_vccnz .LBB23_452
; %bb.451:
	v_mov_b32_e32 v0, s18
	global_store_dword v[6:7], v0, off
.LBB23_452:
	s_mov_b64 s[4:5], 0
.LBB23_453:
	s_andn2_b64 vcc, exec, s[4:5]
	s_cbranch_vccnz .LBB23_455
; %bb.454:
	v_mov_b32_e32 v0, s18
	global_store_short v[6:7], v0, off
.LBB23_455:
	s_mov_b64 s[4:5], 0
.LBB23_456:
	s_andn2_b64 vcc, exec, s[4:5]
	s_cbranch_vccnz .LBB23_461
; %bb.457:
	s_sext_i32_i16 s4, s24
	s_cmp_gt_i32 s4, 0
	s_mov_b64 s[4:5], -1
	s_cbranch_scc0 .LBB23_459
; %bb.458:
	v_mov_b32_e32 v0, s18
	s_mov_b64 s[4:5], 0
	global_store_byte v[6:7], v0, off
.LBB23_459:
	s_andn2_b64 vcc, exec, s[4:5]
	s_cbranch_vccnz .LBB23_461
; %bb.460:
	v_mov_b32_e32 v0, s18
	global_store_byte v[6:7], v0, off
.LBB23_461:
	s_or_b64 exec, exec, s[2:3]
	s_waitcnt lgkmcnt(0)
	s_and_b64 s[20:21], s[0:1], exec
                                        ; implicit-def: $vgpr9
                                        ; implicit-def: $vgpr8
.LBB23_462:
	s_or_saveexec_b64 s[22:23], s[38:39]
	s_mov_b64 s[0:1], 0
                                        ; implicit-def: $sgpr3
                                        ; implicit-def: $vgpr0_vgpr1
                                        ; implicit-def: $sgpr2
	s_xor_b64 exec, exec, s[22:23]
	s_cbranch_execz .LBB23_945
; %bb.463:
	v_cndmask_b32_e64 v0, 0, 1, s[36:37]
	v_cmp_ne_u32_e64 s[0:1], 1, v0
	s_andn2_b64 vcc, exec, s[36:37]
	s_cbranch_vccnz .LBB23_469
; %bb.464:
	s_cmp_lg_u32 s33, 0
	s_mov_b32 s26, 0
	s_cbranch_scc0 .LBB23_470
; %bb.465:
	s_min_u32 s27, s82, 15
	s_add_i32 s27, s27, 1
	s_cmp_eq_u32 s82, 2
	s_cbranch_scc1 .LBB23_471
; %bb.466:
	s_and_b32 s26, s27, 28
	s_add_u32 s2, s34, 0xc4
	s_addc_u32 s3, s35, 0
	s_mov_b32 s28, 0
	v_mov_b32_e32 v6, 0
	s_mov_b64 s[24:25], s[34:35]
	v_mov_b32_e32 v0, v8
.LBB23_467:                             ; =>This Inner Loop Header: Depth=1
	s_load_dwordx8 s[4:11], s[24:25], 0x4
	s_load_dwordx4 s[12:15], s[24:25], 0x24
	s_load_dwordx4 s[16:19], s[2:3], 0x0
	s_add_u32 s24, s24, 48
	s_addc_u32 s25, s25, 0
	s_waitcnt lgkmcnt(0)
	v_mul_hi_u32 v1, s5, v0
	s_add_i32 s28, s28, 4
	s_add_u32 s2, s2, 16
	s_addc_u32 s3, s3, 0
	v_add_u32_e32 v1, v0, v1
	v_lshrrev_b32_e32 v1, s6, v1
	v_mul_lo_u32 v2, v1, s4
	v_mul_hi_u32 v3, s8, v1
	s_cmp_lg_u32 s26, s28
	v_sub_u32_e32 v0, v0, v2
	v_add_u32_e32 v2, v1, v3
	v_lshrrev_b32_e32 v2, s9, v2
	v_mul_lo_u32 v3, v0, s16
	v_mul_hi_u32 v0, s11, v2
	v_mul_lo_u32 v5, v2, s7
	v_add_u32_e32 v0, v2, v0
	v_lshrrev_b32_e32 v4, s12, v0
	v_mul_hi_u32 v0, s14, v4
	v_sub_u32_e32 v1, v1, v5
	v_mul_lo_u32 v5, v4, s10
	v_mul_lo_u32 v1, v1, s17
	v_add_u32_e32 v0, v4, v0
	v_lshrrev_b32_e32 v0, s15, v0
	v_mul_lo_u32 v7, v0, s13
	v_sub_u32_e32 v2, v2, v5
	v_mul_lo_u32 v2, v2, s18
	v_add3_u32 v1, v3, v6, v1
	v_sub_u32_e32 v4, v4, v7
	v_mul_lo_u32 v4, v4, s19
	v_add3_u32 v6, v2, v1, v4
	s_cbranch_scc1 .LBB23_467
; %bb.468:
	s_and_b32 s6, s27, 3
	s_cmp_eq_u32 s6, 0
	s_cbranch_scc0 .LBB23_472
	s_branch .LBB23_474
.LBB23_469:
                                        ; implicit-def: $vgpr6
	s_branch .LBB23_475
.LBB23_470:
	v_mov_b32_e32 v6, 0
	s_branch .LBB23_474
.LBB23_471:
	v_mov_b32_e32 v6, 0
	v_mov_b32_e32 v0, v8
	s_and_b32 s6, s27, 3
	s_cmp_eq_u32 s6, 0
	s_cbranch_scc1 .LBB23_474
.LBB23_472:
	s_lshl_b32 s2, s26, 2
	s_add_u32 s2, s34, s2
	s_addc_u32 s3, s35, 0
	s_add_u32 s2, s2, 0xc4
	s_addc_u32 s3, s3, 0
	s_mul_i32 s4, s26, 12
	s_add_u32 s4, s34, s4
	s_addc_u32 s5, s35, 0
.LBB23_473:                             ; =>This Inner Loop Header: Depth=1
	s_load_dwordx2 s[8:9], s[4:5], 0x4
	s_load_dword s7, s[4:5], 0xc
	s_add_u32 s4, s4, 12
	s_addc_u32 s5, s5, 0
	s_waitcnt lgkmcnt(0)
	v_mul_hi_u32 v1, s9, v0
	s_load_dword s9, s[2:3], 0x0
	s_add_u32 s2, s2, 4
	s_addc_u32 s3, s3, 0
	v_add_u32_e32 v1, v0, v1
	v_lshrrev_b32_e32 v1, s7, v1
	v_mul_lo_u32 v2, v1, s8
	s_add_i32 s6, s6, -1
	s_cmp_lg_u32 s6, 0
	v_sub_u32_e32 v0, v0, v2
	s_waitcnt lgkmcnt(0)
	v_mad_u64_u32 v[6:7], s[8:9], v0, s9, v[6:7]
	v_mov_b32_e32 v0, v1
	s_cbranch_scc1 .LBB23_473
.LBB23_474:
	s_cbranch_execnz .LBB23_477
.LBB23_475:
	s_load_dwordx4 s[4:7], s[34:35], 0x4
	s_load_dword s2, s[34:35], 0xc4
	s_cmp_lt_u32 s33, 2
	s_waitcnt lgkmcnt(0)
	v_mul_hi_u32 v0, s5, v8
	v_add_u32_e32 v0, v8, v0
	v_lshrrev_b32_e32 v0, s6, v0
	v_mul_lo_u32 v1, v0, s4
	v_sub_u32_e32 v1, v8, v1
	v_mul_lo_u32 v6, v1, s2
	s_cbranch_scc1 .LBB23_477
; %bb.476:
	s_load_dwordx4 s[4:7], s[34:35], 0x10
	s_load_dword s2, s[34:35], 0xc8
	s_waitcnt lgkmcnt(0)
	v_mul_hi_u32 v1, s5, v0
	v_add_u32_e32 v1, v0, v1
	v_lshrrev_b32_e32 v1, s6, v1
	v_mul_lo_u32 v1, v1, s4
	v_sub_u32_e32 v0, v0, v1
	v_mad_u64_u32 v[6:7], s[2:3], v0, s2, v[6:7]
.LBB23_477:
	s_and_b64 vcc, exec, s[0:1]
	v_add_u32_e32 v0, 0x80, v8
	s_cbranch_vccnz .LBB23_483
; %bb.478:
	s_cmp_lg_u32 s33, 0
	s_mov_b32 s26, 0
	s_cbranch_scc0 .LBB23_484
; %bb.479:
	s_min_u32 s27, s82, 15
	s_add_i32 s27, s27, 1
	s_cmp_eq_u32 s82, 2
	s_cbranch_scc1 .LBB23_485
; %bb.480:
	s_and_b32 s26, s27, 28
	s_add_u32 s2, s34, 0xc4
	s_addc_u32 s3, s35, 0
	s_mov_b32 s28, 0
	v_mov_b32_e32 v4, 0
	s_mov_b64 s[24:25], s[34:35]
	v_mov_b32_e32 v1, v0
.LBB23_481:                             ; =>This Inner Loop Header: Depth=1
	s_load_dwordx8 s[4:11], s[24:25], 0x4
	s_load_dwordx4 s[12:15], s[24:25], 0x24
	s_load_dwordx4 s[16:19], s[2:3], 0x0
	s_add_u32 s24, s24, 48
	s_addc_u32 s25, s25, 0
	s_waitcnt lgkmcnt(0)
	v_mul_hi_u32 v2, s5, v1
	s_add_i32 s28, s28, 4
	s_add_u32 s2, s2, 16
	s_addc_u32 s3, s3, 0
	v_add_u32_e32 v2, v1, v2
	v_lshrrev_b32_e32 v2, s6, v2
	v_mul_lo_u32 v3, v2, s4
	v_mul_hi_u32 v5, s8, v2
	s_cmp_lg_u32 s26, s28
	v_sub_u32_e32 v1, v1, v3
	v_add_u32_e32 v3, v2, v5
	v_lshrrev_b32_e32 v3, s9, v3
	v_mul_lo_u32 v5, v1, s16
	v_mul_hi_u32 v1, s11, v3
	v_mul_lo_u32 v10, v3, s7
	v_add_u32_e32 v1, v3, v1
	v_lshrrev_b32_e32 v7, s12, v1
	v_mul_hi_u32 v1, s14, v7
	v_sub_u32_e32 v2, v2, v10
	v_mul_lo_u32 v10, v7, s10
	v_mul_lo_u32 v2, v2, s17
	v_add_u32_e32 v1, v7, v1
	v_lshrrev_b32_e32 v1, s15, v1
	v_mul_lo_u32 v11, v1, s13
	v_sub_u32_e32 v3, v3, v10
	v_mul_lo_u32 v3, v3, s18
	v_add3_u32 v2, v5, v4, v2
	v_sub_u32_e32 v7, v7, v11
	v_mul_lo_u32 v7, v7, s19
	v_add3_u32 v4, v3, v2, v7
	s_cbranch_scc1 .LBB23_481
; %bb.482:
	s_and_b32 s6, s27, 3
	s_cmp_eq_u32 s6, 0
	s_cbranch_scc0 .LBB23_486
	s_branch .LBB23_488
.LBB23_483:
                                        ; implicit-def: $vgpr4
	s_branch .LBB23_489
.LBB23_484:
	v_mov_b32_e32 v4, 0
	s_branch .LBB23_488
.LBB23_485:
	v_mov_b32_e32 v4, 0
	v_mov_b32_e32 v1, v0
	s_and_b32 s6, s27, 3
	s_cmp_eq_u32 s6, 0
	s_cbranch_scc1 .LBB23_488
.LBB23_486:
	s_lshl_b32 s2, s26, 2
	s_add_u32 s2, s34, s2
	s_addc_u32 s3, s35, 0
	s_add_u32 s2, s2, 0xc4
	s_addc_u32 s3, s3, 0
	s_mul_i32 s4, s26, 12
	s_add_u32 s4, s34, s4
	s_addc_u32 s5, s35, 0
.LBB23_487:                             ; =>This Inner Loop Header: Depth=1
	s_load_dwordx2 s[8:9], s[4:5], 0x4
	s_load_dword s7, s[4:5], 0xc
	s_add_u32 s4, s4, 12
	s_addc_u32 s5, s5, 0
	s_waitcnt lgkmcnt(0)
	v_mul_hi_u32 v2, s9, v1
	s_load_dword s9, s[2:3], 0x0
	s_add_u32 s2, s2, 4
	s_addc_u32 s3, s3, 0
	v_add_u32_e32 v2, v1, v2
	v_lshrrev_b32_e32 v2, s7, v2
	v_mul_lo_u32 v3, v2, s8
	s_add_i32 s6, s6, -1
	s_cmp_lg_u32 s6, 0
	v_sub_u32_e32 v1, v1, v3
	s_waitcnt lgkmcnt(0)
	v_mad_u64_u32 v[4:5], s[8:9], v1, s9, v[4:5]
	v_mov_b32_e32 v1, v2
	s_cbranch_scc1 .LBB23_487
.LBB23_488:
	s_cbranch_execnz .LBB23_491
.LBB23_489:
	s_load_dwordx4 s[4:7], s[34:35], 0x4
	s_load_dword s2, s[34:35], 0xc4
	s_cmp_lt_u32 s33, 2
	s_waitcnt lgkmcnt(0)
	v_mul_hi_u32 v1, s5, v0
	v_add_u32_e32 v1, v0, v1
	v_lshrrev_b32_e32 v1, s6, v1
	v_mul_lo_u32 v2, v1, s4
	v_sub_u32_e32 v0, v0, v2
	v_mul_lo_u32 v4, v0, s2
	s_cbranch_scc1 .LBB23_491
; %bb.490:
	s_load_dwordx4 s[4:7], s[34:35], 0x10
	s_load_dword s2, s[34:35], 0xc8
	s_waitcnt lgkmcnt(0)
	v_mul_hi_u32 v0, s5, v1
	v_add_u32_e32 v0, v1, v0
	v_lshrrev_b32_e32 v0, s6, v0
	v_mul_lo_u32 v0, v0, s4
	v_sub_u32_e32 v0, v1, v0
	v_mad_u64_u32 v[4:5], s[2:3], v0, s2, v[4:5]
.LBB23_491:
	s_and_b64 vcc, exec, s[0:1]
	v_add_u32_e32 v0, 0x100, v8
	s_cbranch_vccnz .LBB23_497
; %bb.492:
	s_cmp_lg_u32 s33, 0
	s_mov_b32 s26, 0
	s_cbranch_scc0 .LBB23_498
; %bb.493:
	s_min_u32 s27, s82, 15
	s_add_i32 s27, s27, 1
	s_cmp_eq_u32 s82, 2
	s_cbranch_scc1 .LBB23_499
; %bb.494:
	s_and_b32 s26, s27, 28
	s_add_u32 s2, s34, 0xc4
	s_addc_u32 s3, s35, 0
	s_mov_b32 s28, 0
	v_mov_b32_e32 v2, 0
	s_mov_b64 s[24:25], s[34:35]
	v_mov_b32_e32 v1, v0
.LBB23_495:                             ; =>This Inner Loop Header: Depth=1
	s_load_dwordx8 s[4:11], s[24:25], 0x4
	s_load_dwordx4 s[12:15], s[24:25], 0x24
	s_load_dwordx4 s[16:19], s[2:3], 0x0
	s_add_u32 s24, s24, 48
	s_addc_u32 s25, s25, 0
	s_waitcnt lgkmcnt(0)
	v_mul_hi_u32 v3, s5, v1
	s_add_i32 s28, s28, 4
	s_add_u32 s2, s2, 16
	s_addc_u32 s3, s3, 0
	v_add_u32_e32 v3, v1, v3
	v_lshrrev_b32_e32 v3, s6, v3
	v_mul_lo_u32 v5, v3, s4
	v_mul_hi_u32 v7, s8, v3
	s_cmp_lg_u32 s26, s28
	v_sub_u32_e32 v1, v1, v5
	v_add_u32_e32 v5, v3, v7
	v_lshrrev_b32_e32 v5, s9, v5
	v_mul_lo_u32 v7, v1, s16
	v_mul_hi_u32 v1, s11, v5
	v_mul_lo_u32 v10, v5, s7
	v_add_u32_e32 v1, v5, v1
	v_lshrrev_b32_e32 v8, s12, v1
	v_mul_hi_u32 v1, s14, v8
	v_sub_u32_e32 v3, v3, v10
	v_mul_lo_u32 v10, v8, s10
	v_mul_lo_u32 v3, v3, s17
	v_add_u32_e32 v1, v8, v1
	v_lshrrev_b32_e32 v1, s15, v1
	v_mul_lo_u32 v11, v1, s13
	v_sub_u32_e32 v5, v5, v10
	v_mul_lo_u32 v5, v5, s18
	v_add3_u32 v2, v7, v2, v3
	v_sub_u32_e32 v8, v8, v11
	v_mul_lo_u32 v8, v8, s19
	v_add3_u32 v2, v5, v2, v8
	s_cbranch_scc1 .LBB23_495
; %bb.496:
	s_and_b32 s6, s27, 3
	s_cmp_eq_u32 s6, 0
	s_cbranch_scc0 .LBB23_500
	s_branch .LBB23_502
.LBB23_497:
                                        ; implicit-def: $vgpr2
	s_branch .LBB23_503
.LBB23_498:
	v_mov_b32_e32 v2, 0
	s_branch .LBB23_502
.LBB23_499:
	v_mov_b32_e32 v2, 0
	v_mov_b32_e32 v1, v0
	s_and_b32 s6, s27, 3
	s_cmp_eq_u32 s6, 0
	s_cbranch_scc1 .LBB23_502
.LBB23_500:
	s_lshl_b32 s2, s26, 2
	s_add_u32 s2, s34, s2
	s_addc_u32 s3, s35, 0
	s_add_u32 s2, s2, 0xc4
	s_addc_u32 s3, s3, 0
	s_mul_i32 s4, s26, 12
	s_add_u32 s4, s34, s4
	s_addc_u32 s5, s35, 0
.LBB23_501:                             ; =>This Inner Loop Header: Depth=1
	s_load_dwordx2 s[8:9], s[4:5], 0x4
	s_load_dword s7, s[4:5], 0xc
	s_add_u32 s4, s4, 12
	s_addc_u32 s5, s5, 0
	s_waitcnt lgkmcnt(0)
	v_mul_hi_u32 v3, s9, v1
	s_load_dword s9, s[2:3], 0x0
	s_add_u32 s2, s2, 4
	s_addc_u32 s3, s3, 0
	v_add_u32_e32 v3, v1, v3
	v_lshrrev_b32_e32 v5, s7, v3
	v_mul_lo_u32 v3, v5, s8
	s_add_i32 s6, s6, -1
	s_cmp_lg_u32 s6, 0
	v_sub_u32_e32 v1, v1, v3
	s_waitcnt lgkmcnt(0)
	v_mad_u64_u32 v[2:3], s[8:9], v1, s9, v[2:3]
	v_mov_b32_e32 v1, v5
	s_cbranch_scc1 .LBB23_501
.LBB23_502:
	s_cbranch_execnz .LBB23_505
.LBB23_503:
	s_load_dwordx4 s[4:7], s[34:35], 0x4
	s_load_dword s2, s[34:35], 0xc4
	s_cmp_lt_u32 s33, 2
	s_waitcnt lgkmcnt(0)
	v_mul_hi_u32 v1, s5, v0
	v_add_u32_e32 v1, v0, v1
	v_lshrrev_b32_e32 v1, s6, v1
	v_mul_lo_u32 v2, v1, s4
	v_sub_u32_e32 v0, v0, v2
	v_mul_lo_u32 v2, v0, s2
	s_cbranch_scc1 .LBB23_505
; %bb.504:
	s_load_dwordx4 s[4:7], s[34:35], 0x10
	s_load_dword s2, s[34:35], 0xc8
	s_waitcnt lgkmcnt(0)
	v_mul_hi_u32 v0, s5, v1
	v_add_u32_e32 v0, v1, v0
	v_lshrrev_b32_e32 v0, s6, v0
	v_mul_lo_u32 v0, v0, s4
	v_sub_u32_e32 v0, v1, v0
	v_mad_u64_u32 v[2:3], s[2:3], v0, s2, v[2:3]
.LBB23_505:
	s_and_b64 vcc, exec, s[0:1]
	s_cbranch_vccnz .LBB23_511
; %bb.506:
	s_cmp_lg_u32 s33, 0
	s_mov_b32 s24, 0
	s_cbranch_scc0 .LBB23_512
; %bb.507:
	s_min_u32 s25, s82, 15
	s_add_i32 s25, s25, 1
	s_cmp_eq_u32 s82, 2
	s_cbranch_scc1 .LBB23_513
; %bb.508:
	s_and_b32 s24, s25, 28
	s_add_u32 s16, s34, 0xc4
	s_addc_u32 s17, s35, 0
	s_mov_b32 s26, 0
	v_mov_b32_e32 v0, 0
	s_mov_b64 s[18:19], s[34:35]
	v_mov_b32_e32 v1, v9
.LBB23_509:                             ; =>This Inner Loop Header: Depth=1
	s_load_dwordx8 s[0:7], s[18:19], 0x4
	s_load_dwordx4 s[8:11], s[18:19], 0x24
	s_load_dwordx4 s[12:15], s[16:17], 0x0
	s_add_u32 s18, s18, 48
	s_addc_u32 s19, s19, 0
	s_waitcnt lgkmcnt(0)
	v_mul_hi_u32 v3, s1, v1
	s_add_i32 s26, s26, 4
	s_add_u32 s16, s16, 16
	s_addc_u32 s17, s17, 0
	v_add_u32_e32 v3, v1, v3
	v_lshrrev_b32_e32 v3, s2, v3
	v_mul_lo_u32 v5, v3, s0
	v_mul_hi_u32 v7, s4, v3
	s_cmp_lg_u32 s24, s26
	v_sub_u32_e32 v1, v1, v5
	v_add_u32_e32 v5, v3, v7
	v_lshrrev_b32_e32 v5, s5, v5
	v_mul_lo_u32 v7, v1, s12
	v_mul_hi_u32 v1, s7, v5
	v_mul_lo_u32 v10, v5, s3
	v_add_u32_e32 v1, v5, v1
	v_lshrrev_b32_e32 v8, s8, v1
	v_mul_hi_u32 v1, s10, v8
	v_sub_u32_e32 v3, v3, v10
	v_mul_lo_u32 v10, v8, s6
	v_mul_lo_u32 v3, v3, s13
	v_add_u32_e32 v1, v8, v1
	v_lshrrev_b32_e32 v1, s11, v1
	v_mul_lo_u32 v11, v1, s9
	v_sub_u32_e32 v5, v5, v10
	v_mul_lo_u32 v5, v5, s14
	v_add3_u32 v0, v7, v0, v3
	v_sub_u32_e32 v8, v8, v11
	v_mul_lo_u32 v8, v8, s15
	v_add3_u32 v0, v5, v0, v8
	s_cbranch_scc1 .LBB23_509
; %bb.510:
	s_and_b32 s4, s25, 3
	s_cmp_eq_u32 s4, 0
	s_cbranch_scc0 .LBB23_514
	s_branch .LBB23_516
.LBB23_511:
                                        ; implicit-def: $vgpr0
	s_branch .LBB23_517
.LBB23_512:
	v_mov_b32_e32 v0, 0
	s_branch .LBB23_516
.LBB23_513:
	v_mov_b32_e32 v0, 0
	v_mov_b32_e32 v1, v9
	s_and_b32 s4, s25, 3
	s_cmp_eq_u32 s4, 0
	s_cbranch_scc1 .LBB23_516
.LBB23_514:
	s_lshl_b32 s0, s24, 2
	s_add_u32 s0, s34, s0
	s_addc_u32 s1, s35, 0
	s_add_u32 s0, s0, 0xc4
	s_addc_u32 s1, s1, 0
	s_mul_i32 s2, s24, 12
	s_add_u32 s2, s34, s2
	s_addc_u32 s3, s35, 0
.LBB23_515:                             ; =>This Inner Loop Header: Depth=1
	s_load_dwordx2 s[6:7], s[2:3], 0x4
	s_load_dword s5, s[2:3], 0xc
	s_add_u32 s2, s2, 12
	s_addc_u32 s3, s3, 0
	s_waitcnt lgkmcnt(0)
	v_mul_hi_u32 v3, s7, v1
	s_load_dword s7, s[0:1], 0x0
	s_add_u32 s0, s0, 4
	s_addc_u32 s1, s1, 0
	v_add_u32_e32 v3, v1, v3
	v_lshrrev_b32_e32 v3, s5, v3
	v_mul_lo_u32 v5, v3, s6
	s_add_i32 s4, s4, -1
	s_cmp_lg_u32 s4, 0
	v_sub_u32_e32 v1, v1, v5
	s_waitcnt lgkmcnt(0)
	v_mad_u64_u32 v[0:1], s[6:7], v1, s7, v[0:1]
	v_mov_b32_e32 v1, v3
	s_cbranch_scc1 .LBB23_515
.LBB23_516:
	s_cbranch_execnz .LBB23_519
.LBB23_517:
	s_load_dwordx4 s[0:3], s[34:35], 0x4
	s_waitcnt lgkmcnt(0)
	s_load_dword s3, s[34:35], 0xc4
	s_cmp_lt_u32 s33, 2
	v_mul_hi_u32 v0, s1, v9
	v_add_u32_e32 v0, v9, v0
	v_lshrrev_b32_e32 v1, s2, v0
	v_mul_lo_u32 v0, v1, s0
	v_sub_u32_e32 v0, v9, v0
	s_waitcnt lgkmcnt(0)
	v_mul_lo_u32 v0, v0, s3
	s_cbranch_scc1 .LBB23_519
; %bb.518:
	s_load_dwordx4 s[0:3], s[34:35], 0x10
	s_waitcnt lgkmcnt(0)
	s_load_dword s3, s[34:35], 0xc8
	v_mul_hi_u32 v3, s1, v1
	v_add_u32_e32 v3, v1, v3
	v_lshrrev_b32_e32 v3, s2, v3
	v_mul_lo_u32 v3, v3, s0
	v_sub_u32_e32 v1, v1, v3
	s_waitcnt lgkmcnt(0)
	v_mad_u64_u32 v[0:1], s[0:1], v1, s3, v[0:1]
.LBB23_519:
	s_load_dwordx4 s[0:3], s[34:35], 0x108
	s_waitcnt lgkmcnt(0)
	v_mov_b32_e32 v1, s1
	s_and_b32 s3, s3, 0xff
	v_add_co_u32_e32 v5, vcc, s0, v6
	s_cmp_lt_i32 s3, 11
	v_addc_co_u32_e32 v6, vcc, 0, v1, vcc
	s_cbranch_scc1 .LBB23_547
; %bb.520:
	s_and_b32 s12, 0xffff, s3
	s_mov_b64 s[10:11], -1
	s_mov_b64 s[6:7], 0
	s_cmp_gt_i32 s12, 25
	s_mov_b64 s[8:9], 0
	s_mov_b64 s[4:5], 0
	s_cbranch_scc0 .LBB23_557
; %bb.521:
	s_cmp_gt_i32 s12, 28
	s_cbranch_scc0 .LBB23_536
; %bb.522:
	s_cmp_gt_i32 s12, 43
	;; [unrolled: 3-line block ×3, first 2 shown]
	s_cbranch_scc0 .LBB23_526
; %bb.524:
	s_mov_b64 s[4:5], -1
	s_mov_b64 s[10:11], 0
	s_cmp_eq_u32 s12, 46
	s_cbranch_scc0 .LBB23_526
; %bb.525:
	v_cvt_f32_i32_e32 v1, s2
	s_mov_b64 s[4:5], 0
	s_mov_b64 s[8:9], -1
	v_bfe_u32 v3, v1, 16, 1
	v_add_u32_e32 v1, v1, v3
	v_add_u32_e32 v1, 0x7fff, v1
	v_lshrrev_b32_e32 v1, 16, v1
	global_store_dword v[5:6], v1, off
.LBB23_526:
	s_and_b64 vcc, exec, s[10:11]
	s_cbranch_vccz .LBB23_531
; %bb.527:
	s_cmp_eq_u32 s12, 44
	s_mov_b64 s[4:5], -1
	s_cbranch_scc0 .LBB23_531
; %bb.528:
	v_cvt_f32_i32_e32 v1, s2
	v_mov_b32_e32 v3, 0xff
	v_readfirstlane_b32 s4, v1
	s_bfe_u32 s5, s4, 0x80017
	s_cmpk_eq_i32 s5, 0xff
	s_cbranch_scc1 .LBB23_530
; %bb.529:
	s_bitcmp1_b32 s4, 22
	s_cselect_b64 s[8:9], -1, 0
	s_and_b32 s4, s4, 0x3fffff
	s_or_b32 s4, s5, s4
	s_cmp_lg_u32 s4, 0
	s_cselect_b64 s[4:5], -1, 0
	s_and_b64 s[4:5], s[8:9], s[4:5]
	v_lshrrev_b32_e32 v1, 23, v1
	v_cndmask_b32_e64 v3, 0, 1, s[4:5]
	v_add_u32_e32 v3, v1, v3
.LBB23_530:
	s_mov_b64 s[4:5], 0
	s_mov_b64 s[8:9], -1
	global_store_byte v[5:6], v3, off
.LBB23_531:
	s_mov_b64 s[10:11], 0
.LBB23_532:
	s_and_b64 vcc, exec, s[10:11]
	s_cbranch_vccz .LBB23_535
; %bb.533:
	s_cmp_eq_u32 s12, 29
	s_mov_b64 s[4:5], -1
	s_cbranch_scc0 .LBB23_535
; %bb.534:
	s_ashr_i32 s4, s2, 31
	v_mov_b32_e32 v7, s2
	v_mov_b32_e32 v8, s4
	global_store_dwordx2 v[5:6], v[7:8], off
	s_mov_b64 s[4:5], 0
	s_mov_b64 s[8:9], -1
.LBB23_535:
	s_mov_b64 s[10:11], 0
.LBB23_536:
	s_and_b64 vcc, exec, s[10:11]
	s_cbranch_vccz .LBB23_556
; %bb.537:
	s_cmp_lt_i32 s12, 27
	s_mov_b64 s[8:9], -1
	s_cbranch_scc1 .LBB23_543
; %bb.538:
	s_cmp_gt_i32 s12, 27
	s_cbranch_scc0 .LBB23_540
; %bb.539:
	v_mov_b32_e32 v1, s2
	s_mov_b64 s[8:9], 0
	global_store_dword v[5:6], v1, off
.LBB23_540:
	s_andn2_b64 vcc, exec, s[8:9]
	s_cbranch_vccnz .LBB23_542
; %bb.541:
	v_mov_b32_e32 v1, s2
	global_store_short v[5:6], v1, off
.LBB23_542:
	s_mov_b64 s[8:9], 0
.LBB23_543:
	s_andn2_b64 vcc, exec, s[8:9]
	s_cbranch_vccnz .LBB23_555
; %bb.544:
	v_cvt_f32_i32_e32 v1, s2
	v_mov_b32_e32 v3, 0x80
	v_readfirstlane_b32 s13, v1
	s_and_b32 s8, s13, 0x7fffffff
	s_cmp_gt_u32 s8, 0x437fffff
	s_cbranch_scc1 .LBB23_554
; %bb.545:
	s_cmp_gt_u32 s8, 0x3bffffff
	s_cbranch_scc0 .LBB23_549
; %bb.546:
	s_bfe_u32 s8, s13, 0x10014
	s_add_i32 s8, s13, s8
	s_add_i32 s8, s8, 0x487ffff
	s_lshr_b32 s14, s8, 20
	s_mov_b64 s[10:11], 0
	s_mov_b64 s[8:9], -1
	s_branch .LBB23_550
.LBB23_547:
	s_mov_b64 s[8:9], 0
	s_mov_b64 s[4:5], s[20:21]
	s_cbranch_execnz .LBB23_607
.LBB23_548:
	s_andn2_b64 vcc, exec, s[8:9]
	s_cbranch_vccz .LBB23_645
	s_branch .LBB23_943
.LBB23_549:
	s_mov_b64 s[10:11], -1
	s_mov_b64 s[8:9], 0
                                        ; implicit-def: $sgpr14
.LBB23_550:
	s_andn2_b64 vcc, exec, s[10:11]
	v_mov_b32_e32 v1, s14
	s_cbranch_vccnz .LBB23_552
; %bb.551:
	v_mov_b32_e32 v1, 0x46000000
	v_add_f32_e64 v1, |s13|, v1
	v_and_b32_e32 v1, 0xff, v1
	v_cmp_ne_u32_e64 s[8:9], 0, v1
.LBB23_552:
	s_andn2_b64 vcc, exec, s[8:9]
	v_mov_b32_e32 v3, 0
	s_cbranch_vccnz .LBB23_554
; %bb.553:
	s_lshr_b32 s8, s13, 24
	s_and_b32 s8, s8, 0x80
	v_or_b32_e32 v3, s8, v1
.LBB23_554:
	global_store_byte v[5:6], v3, off
.LBB23_555:
	s_mov_b64 s[8:9], -1
.LBB23_556:
	s_mov_b64 s[10:11], 0
.LBB23_557:
	s_and_b64 vcc, exec, s[10:11]
	s_cbranch_vccz .LBB23_603
; %bb.558:
	s_cmp_gt_i32 s12, 22
	s_mov_b64 s[6:7], -1
	s_cbranch_scc0 .LBB23_596
; %bb.559:
	s_cmp_lt_i32 s12, 24
	s_cbranch_scc1 .LBB23_583
; %bb.560:
	s_cmp_gt_i32 s12, 24
	s_cbranch_scc0 .LBB23_570
; %bb.561:
	v_cvt_f32_i32_e32 v1, s2
	v_mov_b32_e32 v3, 0x80
	v_readfirstlane_b32 s10, v1
	s_and_b32 s6, s10, 0x7fffffff
	s_cmp_gt_u32 s6, 0x477fffff
	s_cbranch_scc1 .LBB23_569
; %bb.562:
	s_cmp_gt_u32 s6, 0x37ffffff
	s_cbranch_scc0 .LBB23_564
; %bb.563:
	s_bfe_u32 s6, s10, 0x10015
	s_add_i32 s6, s10, s6
	s_add_i32 s6, s6, 0x88fffff
	s_lshr_b32 s11, s6, 21
	s_mov_b64 s[8:9], 0
	s_mov_b64 s[6:7], -1
	s_branch .LBB23_565
.LBB23_564:
	s_mov_b64 s[8:9], -1
	s_mov_b64 s[6:7], 0
                                        ; implicit-def: $sgpr11
.LBB23_565:
	s_andn2_b64 vcc, exec, s[8:9]
	v_mov_b32_e32 v1, s11
	s_cbranch_vccnz .LBB23_567
; %bb.566:
	v_mov_b32_e32 v1, 0x42800000
	v_add_f32_e64 v1, |s10|, v1
	v_and_b32_e32 v1, 0xff, v1
	v_cmp_ne_u32_e64 s[6:7], 0, v1
.LBB23_567:
	s_andn2_b64 vcc, exec, s[6:7]
	v_mov_b32_e32 v3, 0
	s_cbranch_vccnz .LBB23_569
; %bb.568:
	s_lshr_b32 s6, s10, 24
	s_and_b32 s6, s6, 0x80
	v_or_b32_e32 v3, s6, v1
.LBB23_569:
	s_mov_b64 s[6:7], 0
	global_store_byte v[5:6], v3, off
.LBB23_570:
	s_and_b64 vcc, exec, s[6:7]
	s_cbranch_vccz .LBB23_582
; %bb.571:
	v_cvt_f32_i32_e32 v1, s2
	v_readfirstlane_b32 s8, v1
	s_and_b32 s9, s8, 0x7fffffff
	s_cmp_lt_u32 s9, 0x43f00000
	s_cbranch_scc0 .LBB23_574
; %bb.572:
	s_cmp_gt_u32 s9, 0x3c7fffff
	s_cbranch_scc0 .LBB23_575
; %bb.573:
	s_bfe_u32 s6, s8, 0x10014
	s_add_i32 s6, s8, s6
	s_add_i32 s6, s6, 0x407ffff
	s_lshr_b32 s7, s6, 20
	s_and_b32 s6, s6, 0xff00000
	s_cmp_lg_u32 s6, 0x7f00000
	s_cselect_b32 s10, s7, 0x7e
	s_mov_b64 s[6:7], 0
	s_branch .LBB23_576
.LBB23_574:
	s_mov_b64 s[6:7], -1
                                        ; implicit-def: $vgpr3
	s_branch .LBB23_579
.LBB23_575:
	s_mov_b64 s[6:7], -1
                                        ; implicit-def: $sgpr10
.LBB23_576:
	s_andn2_b64 vcc, exec, s[6:7]
	v_mov_b32_e32 v3, s10
	s_cbranch_vccnz .LBB23_578
; %bb.577:
	s_mov_b32 s6, 0x46800000
	v_add_f32_e64 v3, |v1|, s6
.LBB23_578:
	s_mov_b64 s[6:7], 0
.LBB23_579:
	s_andn2_b64 vcc, exec, s[6:7]
	s_cbranch_vccnz .LBB23_581
; %bb.580:
	s_cmp_gt_u32 s9, 0x7f800000
	s_movk_i32 s6, 0x7f
	s_cselect_b32 s6, s6, 0x7e
	v_mov_b32_e32 v3, s6
.LBB23_581:
	s_lshr_b32 s6, s8, 24
	s_and_b32 s6, s6, 0x80
	v_or_b32_e32 v1, s6, v3
	global_store_byte v[5:6], v1, off
.LBB23_582:
	s_mov_b64 s[6:7], 0
.LBB23_583:
	s_andn2_b64 vcc, exec, s[6:7]
	s_cbranch_vccnz .LBB23_595
; %bb.584:
	v_cvt_f32_i32_e32 v1, s2
	v_readfirstlane_b32 s8, v1
	s_and_b32 s9, s8, 0x7fffffff
	s_cmp_lt_u32 s9, 0x47800000
	s_cbranch_scc0 .LBB23_587
; %bb.585:
	s_cmp_gt_u32 s9, 0x387fffff
	s_cbranch_scc0 .LBB23_588
; %bb.586:
	s_bfe_u32 s6, s8, 0x10015
	s_add_i32 s6, s8, s6
	s_add_i32 s6, s6, 0x80fffff
	s_lshr_b32 s10, s6, 21
	s_mov_b64 s[6:7], 0
	s_branch .LBB23_589
.LBB23_587:
	s_mov_b64 s[6:7], -1
                                        ; implicit-def: $vgpr3
	s_branch .LBB23_592
.LBB23_588:
	s_mov_b64 s[6:7], -1
                                        ; implicit-def: $sgpr10
.LBB23_589:
	s_andn2_b64 vcc, exec, s[6:7]
	v_mov_b32_e32 v3, s10
	s_cbranch_vccnz .LBB23_591
; %bb.590:
	s_mov_b32 s6, 0x43000000
	v_add_f32_e64 v3, |v1|, s6
.LBB23_591:
	s_mov_b64 s[6:7], 0
.LBB23_592:
	s_andn2_b64 vcc, exec, s[6:7]
	s_cbranch_vccnz .LBB23_594
; %bb.593:
	s_cmp_gt_u32 s9, 0x7f800000
	s_movk_i32 s6, 0x7f
	s_cselect_b32 s6, s6, 0x7c
	v_mov_b32_e32 v3, s6
.LBB23_594:
	s_lshr_b32 s6, s8, 24
	s_and_b32 s6, s6, 0x80
	v_or_b32_e32 v1, s6, v3
	global_store_byte v[5:6], v1, off
.LBB23_595:
	s_mov_b64 s[6:7], 0
	s_mov_b64 s[8:9], -1
.LBB23_596:
	s_andn2_b64 vcc, exec, s[6:7]
	s_mov_b64 s[6:7], 0
	s_cbranch_vccnz .LBB23_603
; %bb.597:
	s_cmp_gt_i32 s12, 14
	s_mov_b64 s[10:11], -1
	s_cbranch_scc0 .LBB23_601
; %bb.598:
	s_cmp_eq_u32 s12, 15
	s_mov_b64 s[4:5], -1
	s_cbranch_scc0 .LBB23_600
; %bb.599:
	v_cvt_f32_i32_e32 v1, s2
	s_mov_b64 s[4:5], 0
	s_mov_b64 s[8:9], -1
	v_bfe_u32 v3, v1, 16, 1
	v_add_u32_e32 v1, v1, v3
	v_add_u32_e32 v1, 0x7fff, v1
	global_store_short_d16_hi v[5:6], v1, off
.LBB23_600:
	s_mov_b64 s[10:11], 0
.LBB23_601:
	s_and_b64 vcc, exec, s[10:11]
	s_cbranch_vccz .LBB23_603
; %bb.602:
	s_cmp_lg_u32 s12, 11
	s_mov_b64 s[6:7], -1
	s_cselect_b64 s[4:5], -1, 0
.LBB23_603:
	s_and_b64 vcc, exec, s[4:5]
	s_mov_b64 s[4:5], s[20:21]
	s_cbranch_vccnz .LBB23_675
; %bb.604:
	s_andn2_b64 vcc, exec, s[6:7]
	s_cbranch_vccnz .LBB23_606
.LBB23_605:
	s_cmp_lg_u32 s2, 0
	s_cselect_b64 s[6:7], -1, 0
	v_cndmask_b32_e64 v1, 0, 1, s[6:7]
	global_store_byte v[5:6], v1, off
	s_mov_b64 s[8:9], -1
.LBB23_606:
	s_branch .LBB23_548
.LBB23_607:
	s_and_b32 s8, 0xffff, s3
	s_cmp_lt_i32 s8, 5
	s_mov_b64 s[6:7], -1
	s_cbranch_scc1 .LBB23_628
; %bb.608:
	s_cmp_lt_i32 s8, 8
	s_cbranch_scc1 .LBB23_618
; %bb.609:
	s_cmp_lt_i32 s8, 9
	s_cbranch_scc1 .LBB23_615
; %bb.610:
	s_cmp_gt_i32 s8, 9
	s_cbranch_scc0 .LBB23_612
; %bb.611:
	v_cvt_f64_i32_e32 v[7:8], s2
	v_mov_b32_e32 v9, 0
	v_mov_b32_e32 v10, v9
	s_mov_b64 s[6:7], 0
	global_store_dwordx4 v[5:6], v[7:10], off
.LBB23_612:
	s_andn2_b64 vcc, exec, s[6:7]
	s_cbranch_vccnz .LBB23_614
; %bb.613:
	v_cvt_f32_i32_e32 v7, s2
	v_mov_b32_e32 v8, 0
	global_store_dwordx2 v[5:6], v[7:8], off
.LBB23_614:
	s_mov_b64 s[6:7], 0
.LBB23_615:
	s_andn2_b64 vcc, exec, s[6:7]
	s_cbranch_vccnz .LBB23_617
; %bb.616:
	v_cvt_f32_i32_e32 v1, s2
	v_cvt_f16_f32_e32 v1, v1
	global_store_dword v[5:6], v1, off
.LBB23_617:
	s_mov_b64 s[6:7], 0
.LBB23_618:
	s_andn2_b64 vcc, exec, s[6:7]
	s_cbranch_vccnz .LBB23_627
; %bb.619:
	s_cmp_lt_i32 s8, 6
	s_mov_b64 s[6:7], -1
	s_cbranch_scc1 .LBB23_625
; %bb.620:
	s_cmp_gt_i32 s8, 6
	s_cbranch_scc0 .LBB23_622
; %bb.621:
	v_cvt_f64_i32_e32 v[7:8], s2
	s_mov_b64 s[6:7], 0
	global_store_dwordx2 v[5:6], v[7:8], off
.LBB23_622:
	s_andn2_b64 vcc, exec, s[6:7]
	s_cbranch_vccnz .LBB23_624
; %bb.623:
	v_cvt_f32_i32_e32 v1, s2
	global_store_dword v[5:6], v1, off
.LBB23_624:
	s_mov_b64 s[6:7], 0
.LBB23_625:
	s_andn2_b64 vcc, exec, s[6:7]
	s_cbranch_vccnz .LBB23_627
; %bb.626:
	v_cvt_f32_i32_e32 v1, s2
	v_cvt_f16_f32_e32 v1, v1
	global_store_short v[5:6], v1, off
.LBB23_627:
	s_mov_b64 s[6:7], 0
.LBB23_628:
	s_andn2_b64 vcc, exec, s[6:7]
	s_cbranch_vccnz .LBB23_644
; %bb.629:
	s_cmp_lt_i32 s8, 2
	s_mov_b64 s[6:7], -1
	s_cbranch_scc1 .LBB23_639
; %bb.630:
	s_cmp_lt_i32 s8, 3
	s_cbranch_scc1 .LBB23_636
; %bb.631:
	s_cmp_gt_i32 s8, 3
	s_cbranch_scc0 .LBB23_633
; %bb.632:
	s_ashr_i32 s6, s2, 31
	v_mov_b32_e32 v7, s2
	v_mov_b32_e32 v8, s6
	global_store_dwordx2 v[5:6], v[7:8], off
	s_mov_b64 s[6:7], 0
.LBB23_633:
	s_andn2_b64 vcc, exec, s[6:7]
	s_cbranch_vccnz .LBB23_635
; %bb.634:
	v_mov_b32_e32 v1, s2
	global_store_dword v[5:6], v1, off
.LBB23_635:
	s_mov_b64 s[6:7], 0
.LBB23_636:
	s_andn2_b64 vcc, exec, s[6:7]
	s_cbranch_vccnz .LBB23_638
; %bb.637:
	v_mov_b32_e32 v1, s2
	global_store_short v[5:6], v1, off
.LBB23_638:
	s_mov_b64 s[6:7], 0
.LBB23_639:
	s_andn2_b64 vcc, exec, s[6:7]
	s_cbranch_vccnz .LBB23_644
; %bb.640:
	s_cmp_gt_i32 s8, 0
	s_mov_b64 s[6:7], -1
	s_cbranch_scc0 .LBB23_642
; %bb.641:
	v_mov_b32_e32 v1, s2
	global_store_byte v[5:6], v1, off
	s_mov_b64 s[6:7], 0
.LBB23_642:
	s_andn2_b64 vcc, exec, s[6:7]
	s_cbranch_vccnz .LBB23_644
; %bb.643:
	v_mov_b32_e32 v1, s2
	global_store_byte v[5:6], v1, off
.LBB23_644:
.LBB23_645:
	v_mov_b32_e32 v1, s1
	s_and_b32 s14, 0xffff, s3
	v_add_co_u32_e32 v3, vcc, s0, v4
	s_cmp_lt_i32 s14, 11
	v_addc_co_u32_e32 v4, vcc, 0, v1, vcc
	s_cbranch_scc1 .LBB23_673
; %bb.646:
	s_mov_b64 s[12:13], -1
	s_mov_b64 s[8:9], 0
	s_cmp_gt_i32 s14, 25
	s_mov_b64 s[10:11], 0
	s_mov_b64 s[6:7], 0
	s_cbranch_scc0 .LBB23_684
; %bb.647:
	s_cmp_gt_i32 s14, 28
	s_cbranch_scc0 .LBB23_662
; %bb.648:
	s_cmp_gt_i32 s14, 43
	;; [unrolled: 3-line block ×3, first 2 shown]
	s_cbranch_scc0 .LBB23_652
; %bb.650:
	s_mov_b64 s[6:7], -1
	s_mov_b64 s[12:13], 0
	s_cmp_eq_u32 s14, 46
	s_cbranch_scc0 .LBB23_652
; %bb.651:
	v_cvt_f32_i32_e32 v1, s2
	s_mov_b64 s[6:7], 0
	s_mov_b64 s[10:11], -1
	v_bfe_u32 v5, v1, 16, 1
	v_add_u32_e32 v1, v1, v5
	v_add_u32_e32 v1, 0x7fff, v1
	v_lshrrev_b32_e32 v1, 16, v1
	global_store_dword v[3:4], v1, off
.LBB23_652:
	s_and_b64 vcc, exec, s[12:13]
	s_cbranch_vccz .LBB23_657
; %bb.653:
	s_cmp_eq_u32 s14, 44
	s_mov_b64 s[6:7], -1
	s_cbranch_scc0 .LBB23_657
; %bb.654:
	v_cvt_f32_i32_e32 v1, s2
	v_mov_b32_e32 v5, 0xff
	v_readfirstlane_b32 s6, v1
	s_bfe_u32 s7, s6, 0x80017
	s_cmpk_eq_i32 s7, 0xff
	s_cbranch_scc1 .LBB23_656
; %bb.655:
	s_bitcmp1_b32 s6, 22
	s_cselect_b64 s[10:11], -1, 0
	s_and_b32 s6, s6, 0x3fffff
	s_or_b32 s6, s7, s6
	s_cmp_lg_u32 s6, 0
	s_cselect_b64 s[6:7], -1, 0
	s_and_b64 s[6:7], s[10:11], s[6:7]
	v_lshrrev_b32_e32 v1, 23, v1
	v_cndmask_b32_e64 v5, 0, 1, s[6:7]
	v_add_u32_e32 v5, v1, v5
.LBB23_656:
	s_mov_b64 s[6:7], 0
	s_mov_b64 s[10:11], -1
	global_store_byte v[3:4], v5, off
.LBB23_657:
	s_mov_b64 s[12:13], 0
.LBB23_658:
	s_and_b64 vcc, exec, s[12:13]
	s_cbranch_vccz .LBB23_661
; %bb.659:
	s_cmp_eq_u32 s14, 29
	s_mov_b64 s[6:7], -1
	s_cbranch_scc0 .LBB23_661
; %bb.660:
	s_ashr_i32 s6, s2, 31
	v_mov_b32_e32 v5, s2
	v_mov_b32_e32 v6, s6
	global_store_dwordx2 v[3:4], v[5:6], off
	s_mov_b64 s[6:7], 0
	s_mov_b64 s[10:11], -1
.LBB23_661:
	s_mov_b64 s[12:13], 0
.LBB23_662:
	s_and_b64 vcc, exec, s[12:13]
	s_cbranch_vccz .LBB23_683
; %bb.663:
	s_cmp_lt_i32 s14, 27
	s_mov_b64 s[10:11], -1
	s_cbranch_scc1 .LBB23_669
; %bb.664:
	s_cmp_gt_i32 s14, 27
	s_cbranch_scc0 .LBB23_666
; %bb.665:
	v_mov_b32_e32 v1, s2
	s_mov_b64 s[10:11], 0
	global_store_dword v[3:4], v1, off
.LBB23_666:
	s_andn2_b64 vcc, exec, s[10:11]
	s_cbranch_vccnz .LBB23_668
; %bb.667:
	v_mov_b32_e32 v1, s2
	global_store_short v[3:4], v1, off
.LBB23_668:
	s_mov_b64 s[10:11], 0
.LBB23_669:
	s_andn2_b64 vcc, exec, s[10:11]
	s_cbranch_vccnz .LBB23_682
; %bb.670:
	v_cvt_f32_i32_e32 v1, s2
	v_mov_b32_e32 v5, 0x80
	v_readfirstlane_b32 s15, v1
	s_and_b32 s10, s15, 0x7fffffff
	s_cmp_gt_u32 s10, 0x437fffff
	s_cbranch_scc1 .LBB23_681
; %bb.671:
	s_cmp_gt_u32 s10, 0x3bffffff
	s_cbranch_scc0 .LBB23_676
; %bb.672:
	s_bfe_u32 s10, s15, 0x10014
	s_add_i32 s10, s15, s10
	s_add_i32 s10, s10, 0x487ffff
	s_lshr_b32 s16, s10, 20
	s_mov_b64 s[12:13], 0
	s_mov_b64 s[10:11], -1
	s_branch .LBB23_677
.LBB23_673:
	s_mov_b64 s[10:11], 0
	s_cbranch_execnz .LBB23_734
.LBB23_674:
	s_andn2_b64 vcc, exec, s[10:11]
	s_cbranch_vccz .LBB23_772
	s_branch .LBB23_943
.LBB23_675:
	s_or_b64 s[4:5], s[20:21], exec
	s_trap 2
	s_cbranch_execz .LBB23_605
	s_branch .LBB23_606
.LBB23_676:
	s_mov_b64 s[12:13], -1
	s_mov_b64 s[10:11], 0
                                        ; implicit-def: $sgpr16
.LBB23_677:
	s_andn2_b64 vcc, exec, s[12:13]
	v_mov_b32_e32 v1, s16
	s_cbranch_vccnz .LBB23_679
; %bb.678:
	v_mov_b32_e32 v1, 0x46000000
	v_add_f32_e64 v1, |s15|, v1
	v_and_b32_e32 v1, 0xff, v1
	v_cmp_ne_u32_e64 s[10:11], 0, v1
.LBB23_679:
	s_andn2_b64 vcc, exec, s[10:11]
	v_mov_b32_e32 v5, 0
	s_cbranch_vccnz .LBB23_681
; %bb.680:
	s_lshr_b32 s10, s15, 24
	s_and_b32 s10, s10, 0x80
	v_or_b32_e32 v5, s10, v1
.LBB23_681:
	global_store_byte v[3:4], v5, off
.LBB23_682:
	s_mov_b64 s[10:11], -1
.LBB23_683:
	s_mov_b64 s[12:13], 0
.LBB23_684:
	s_and_b64 vcc, exec, s[12:13]
	s_cbranch_vccz .LBB23_730
; %bb.685:
	s_cmp_gt_i32 s14, 22
	s_mov_b64 s[8:9], -1
	s_cbranch_scc0 .LBB23_723
; %bb.686:
	s_cmp_lt_i32 s14, 24
	s_cbranch_scc1 .LBB23_710
; %bb.687:
	s_cmp_gt_i32 s14, 24
	s_cbranch_scc0 .LBB23_697
; %bb.688:
	v_cvt_f32_i32_e32 v1, s2
	v_mov_b32_e32 v5, 0x80
	v_readfirstlane_b32 s12, v1
	s_and_b32 s8, s12, 0x7fffffff
	s_cmp_gt_u32 s8, 0x477fffff
	s_cbranch_scc1 .LBB23_696
; %bb.689:
	s_cmp_gt_u32 s8, 0x37ffffff
	s_cbranch_scc0 .LBB23_691
; %bb.690:
	s_bfe_u32 s8, s12, 0x10015
	s_add_i32 s8, s12, s8
	s_add_i32 s8, s8, 0x88fffff
	s_lshr_b32 s13, s8, 21
	s_mov_b64 s[10:11], 0
	s_mov_b64 s[8:9], -1
	s_branch .LBB23_692
.LBB23_691:
	s_mov_b64 s[10:11], -1
	s_mov_b64 s[8:9], 0
                                        ; implicit-def: $sgpr13
.LBB23_692:
	s_andn2_b64 vcc, exec, s[10:11]
	v_mov_b32_e32 v1, s13
	s_cbranch_vccnz .LBB23_694
; %bb.693:
	v_mov_b32_e32 v1, 0x42800000
	v_add_f32_e64 v1, |s12|, v1
	v_and_b32_e32 v1, 0xff, v1
	v_cmp_ne_u32_e64 s[8:9], 0, v1
.LBB23_694:
	s_andn2_b64 vcc, exec, s[8:9]
	v_mov_b32_e32 v5, 0
	s_cbranch_vccnz .LBB23_696
; %bb.695:
	s_lshr_b32 s8, s12, 24
	s_and_b32 s8, s8, 0x80
	v_or_b32_e32 v5, s8, v1
.LBB23_696:
	s_mov_b64 s[8:9], 0
	global_store_byte v[3:4], v5, off
.LBB23_697:
	s_and_b64 vcc, exec, s[8:9]
	s_cbranch_vccz .LBB23_709
; %bb.698:
	v_cvt_f32_i32_e32 v1, s2
	v_readfirstlane_b32 s10, v1
	s_and_b32 s11, s10, 0x7fffffff
	s_cmp_lt_u32 s11, 0x43f00000
	s_cbranch_scc0 .LBB23_701
; %bb.699:
	s_cmp_gt_u32 s11, 0x3c7fffff
	s_cbranch_scc0 .LBB23_702
; %bb.700:
	s_bfe_u32 s8, s10, 0x10014
	s_add_i32 s8, s10, s8
	s_add_i32 s8, s8, 0x407ffff
	s_lshr_b32 s9, s8, 20
	s_and_b32 s8, s8, 0xff00000
	s_cmp_lg_u32 s8, 0x7f00000
	s_cselect_b32 s12, s9, 0x7e
	s_mov_b64 s[8:9], 0
	s_branch .LBB23_703
.LBB23_701:
	s_mov_b64 s[8:9], -1
                                        ; implicit-def: $vgpr5
	s_branch .LBB23_706
.LBB23_702:
	s_mov_b64 s[8:9], -1
                                        ; implicit-def: $sgpr12
.LBB23_703:
	s_andn2_b64 vcc, exec, s[8:9]
	v_mov_b32_e32 v5, s12
	s_cbranch_vccnz .LBB23_705
; %bb.704:
	s_mov_b32 s8, 0x46800000
	v_add_f32_e64 v5, |v1|, s8
.LBB23_705:
	s_mov_b64 s[8:9], 0
.LBB23_706:
	s_andn2_b64 vcc, exec, s[8:9]
	s_cbranch_vccnz .LBB23_708
; %bb.707:
	s_cmp_gt_u32 s11, 0x7f800000
	s_movk_i32 s8, 0x7f
	s_cselect_b32 s8, s8, 0x7e
	v_mov_b32_e32 v5, s8
.LBB23_708:
	s_lshr_b32 s8, s10, 24
	s_and_b32 s8, s8, 0x80
	v_or_b32_e32 v1, s8, v5
	global_store_byte v[3:4], v1, off
.LBB23_709:
	s_mov_b64 s[8:9], 0
.LBB23_710:
	s_andn2_b64 vcc, exec, s[8:9]
	s_cbranch_vccnz .LBB23_722
; %bb.711:
	v_cvt_f32_i32_e32 v1, s2
	v_readfirstlane_b32 s10, v1
	s_and_b32 s11, s10, 0x7fffffff
	s_cmp_lt_u32 s11, 0x47800000
	s_cbranch_scc0 .LBB23_714
; %bb.712:
	s_cmp_gt_u32 s11, 0x387fffff
	s_cbranch_scc0 .LBB23_715
; %bb.713:
	s_bfe_u32 s8, s10, 0x10015
	s_add_i32 s8, s10, s8
	s_add_i32 s8, s8, 0x80fffff
	s_lshr_b32 s12, s8, 21
	s_mov_b64 s[8:9], 0
	s_branch .LBB23_716
.LBB23_714:
	s_mov_b64 s[8:9], -1
                                        ; implicit-def: $vgpr5
	s_branch .LBB23_719
.LBB23_715:
	s_mov_b64 s[8:9], -1
                                        ; implicit-def: $sgpr12
.LBB23_716:
	s_andn2_b64 vcc, exec, s[8:9]
	v_mov_b32_e32 v5, s12
	s_cbranch_vccnz .LBB23_718
; %bb.717:
	s_mov_b32 s8, 0x43000000
	v_add_f32_e64 v5, |v1|, s8
.LBB23_718:
	s_mov_b64 s[8:9], 0
.LBB23_719:
	s_andn2_b64 vcc, exec, s[8:9]
	s_cbranch_vccnz .LBB23_721
; %bb.720:
	s_cmp_gt_u32 s11, 0x7f800000
	s_movk_i32 s8, 0x7f
	s_cselect_b32 s8, s8, 0x7c
	v_mov_b32_e32 v5, s8
.LBB23_721:
	s_lshr_b32 s8, s10, 24
	s_and_b32 s8, s8, 0x80
	v_or_b32_e32 v1, s8, v5
	global_store_byte v[3:4], v1, off
.LBB23_722:
	s_mov_b64 s[8:9], 0
	s_mov_b64 s[10:11], -1
.LBB23_723:
	s_andn2_b64 vcc, exec, s[8:9]
	s_mov_b64 s[8:9], 0
	s_cbranch_vccnz .LBB23_730
; %bb.724:
	s_cmp_gt_i32 s14, 14
	s_mov_b64 s[12:13], -1
	s_cbranch_scc0 .LBB23_728
; %bb.725:
	s_cmp_eq_u32 s14, 15
	s_mov_b64 s[6:7], -1
	s_cbranch_scc0 .LBB23_727
; %bb.726:
	v_cvt_f32_i32_e32 v1, s2
	s_mov_b64 s[6:7], 0
	s_mov_b64 s[10:11], -1
	v_bfe_u32 v5, v1, 16, 1
	v_add_u32_e32 v1, v1, v5
	v_add_u32_e32 v1, 0x7fff, v1
	global_store_short_d16_hi v[3:4], v1, off
.LBB23_727:
	s_mov_b64 s[12:13], 0
.LBB23_728:
	s_and_b64 vcc, exec, s[12:13]
	s_cbranch_vccz .LBB23_730
; %bb.729:
	s_cmp_lg_u32 s14, 11
	s_mov_b64 s[8:9], -1
	s_cselect_b64 s[6:7], -1, 0
.LBB23_730:
	s_and_b64 vcc, exec, s[6:7]
	s_cbranch_vccnz .LBB23_832
; %bb.731:
	s_andn2_b64 vcc, exec, s[8:9]
	s_cbranch_vccnz .LBB23_733
.LBB23_732:
	s_cmp_lg_u32 s2, 0
	s_cselect_b64 s[6:7], -1, 0
	v_cndmask_b32_e64 v1, 0, 1, s[6:7]
	s_mov_b64 s[10:11], -1
	global_store_byte v[3:4], v1, off
.LBB23_733:
	s_branch .LBB23_674
.LBB23_734:
	s_cmp_lt_i32 s14, 5
	s_mov_b64 s[6:7], -1
	s_cbranch_scc1 .LBB23_755
; %bb.735:
	s_cmp_lt_i32 s14, 8
	s_cbranch_scc1 .LBB23_745
; %bb.736:
	s_cmp_lt_i32 s14, 9
	s_cbranch_scc1 .LBB23_742
; %bb.737:
	s_cmp_gt_i32 s14, 9
	s_cbranch_scc0 .LBB23_739
; %bb.738:
	v_cvt_f64_i32_e32 v[5:6], s2
	v_mov_b32_e32 v7, 0
	v_mov_b32_e32 v8, v7
	s_mov_b64 s[6:7], 0
	global_store_dwordx4 v[3:4], v[5:8], off
.LBB23_739:
	s_andn2_b64 vcc, exec, s[6:7]
	s_cbranch_vccnz .LBB23_741
; %bb.740:
	v_cvt_f32_i32_e32 v5, s2
	v_mov_b32_e32 v6, 0
	global_store_dwordx2 v[3:4], v[5:6], off
.LBB23_741:
	s_mov_b64 s[6:7], 0
.LBB23_742:
	s_andn2_b64 vcc, exec, s[6:7]
	s_cbranch_vccnz .LBB23_744
; %bb.743:
	v_cvt_f32_i32_e32 v1, s2
	v_cvt_f16_f32_e32 v1, v1
	global_store_dword v[3:4], v1, off
.LBB23_744:
	s_mov_b64 s[6:7], 0
.LBB23_745:
	s_andn2_b64 vcc, exec, s[6:7]
	s_cbranch_vccnz .LBB23_754
; %bb.746:
	s_cmp_lt_i32 s14, 6
	s_mov_b64 s[6:7], -1
	s_cbranch_scc1 .LBB23_752
; %bb.747:
	s_cmp_gt_i32 s14, 6
	s_cbranch_scc0 .LBB23_749
; %bb.748:
	v_cvt_f64_i32_e32 v[5:6], s2
	s_mov_b64 s[6:7], 0
	global_store_dwordx2 v[3:4], v[5:6], off
.LBB23_749:
	s_andn2_b64 vcc, exec, s[6:7]
	s_cbranch_vccnz .LBB23_751
; %bb.750:
	v_cvt_f32_i32_e32 v1, s2
	global_store_dword v[3:4], v1, off
.LBB23_751:
	s_mov_b64 s[6:7], 0
.LBB23_752:
	s_andn2_b64 vcc, exec, s[6:7]
	s_cbranch_vccnz .LBB23_754
; %bb.753:
	v_cvt_f32_i32_e32 v1, s2
	v_cvt_f16_f32_e32 v1, v1
	global_store_short v[3:4], v1, off
.LBB23_754:
	s_mov_b64 s[6:7], 0
.LBB23_755:
	s_andn2_b64 vcc, exec, s[6:7]
	s_cbranch_vccnz .LBB23_771
; %bb.756:
	s_cmp_lt_i32 s14, 2
	s_mov_b64 s[6:7], -1
	s_cbranch_scc1 .LBB23_766
; %bb.757:
	s_cmp_lt_i32 s14, 3
	s_cbranch_scc1 .LBB23_763
; %bb.758:
	s_cmp_gt_i32 s14, 3
	s_cbranch_scc0 .LBB23_760
; %bb.759:
	s_ashr_i32 s6, s2, 31
	v_mov_b32_e32 v5, s2
	v_mov_b32_e32 v6, s6
	global_store_dwordx2 v[3:4], v[5:6], off
	s_mov_b64 s[6:7], 0
.LBB23_760:
	s_andn2_b64 vcc, exec, s[6:7]
	s_cbranch_vccnz .LBB23_762
; %bb.761:
	v_mov_b32_e32 v1, s2
	global_store_dword v[3:4], v1, off
.LBB23_762:
	s_mov_b64 s[6:7], 0
.LBB23_763:
	s_andn2_b64 vcc, exec, s[6:7]
	s_cbranch_vccnz .LBB23_765
; %bb.764:
	v_mov_b32_e32 v1, s2
	global_store_short v[3:4], v1, off
.LBB23_765:
	s_mov_b64 s[6:7], 0
.LBB23_766:
	s_andn2_b64 vcc, exec, s[6:7]
	s_cbranch_vccnz .LBB23_771
; %bb.767:
	s_cmp_gt_i32 s14, 0
	s_mov_b64 s[6:7], -1
	s_cbranch_scc0 .LBB23_769
; %bb.768:
	v_mov_b32_e32 v1, s2
	global_store_byte v[3:4], v1, off
	s_mov_b64 s[6:7], 0
.LBB23_769:
	s_andn2_b64 vcc, exec, s[6:7]
	s_cbranch_vccnz .LBB23_771
; %bb.770:
	v_mov_b32_e32 v1, s2
	global_store_byte v[3:4], v1, off
.LBB23_771:
.LBB23_772:
	v_mov_b32_e32 v3, s1
	v_add_co_u32_e32 v1, vcc, s0, v2
	s_cmp_lt_i32 s14, 11
	v_addc_co_u32_e32 v2, vcc, 0, v3, vcc
	s_cbranch_scc1 .LBB23_800
; %bb.773:
	s_mov_b64 s[12:13], -1
	s_mov_b64 s[8:9], 0
	s_cmp_gt_i32 s14, 25
	s_mov_b64 s[10:11], 0
	s_mov_b64 s[6:7], 0
	s_cbranch_scc0 .LBB23_841
; %bb.774:
	s_cmp_gt_i32 s14, 28
	s_cbranch_scc0 .LBB23_789
; %bb.775:
	s_cmp_gt_i32 s14, 43
	;; [unrolled: 3-line block ×3, first 2 shown]
	s_cbranch_scc0 .LBB23_779
; %bb.777:
	s_mov_b64 s[6:7], -1
	s_mov_b64 s[12:13], 0
	s_cmp_eq_u32 s14, 46
	s_cbranch_scc0 .LBB23_779
; %bb.778:
	v_cvt_f32_i32_e32 v3, s2
	s_mov_b64 s[6:7], 0
	s_mov_b64 s[10:11], -1
	v_bfe_u32 v4, v3, 16, 1
	v_add_u32_e32 v3, v3, v4
	v_add_u32_e32 v3, 0x7fff, v3
	v_lshrrev_b32_e32 v3, 16, v3
	global_store_dword v[1:2], v3, off
.LBB23_779:
	s_and_b64 vcc, exec, s[12:13]
	s_cbranch_vccz .LBB23_784
; %bb.780:
	s_cmp_eq_u32 s14, 44
	s_mov_b64 s[6:7], -1
	s_cbranch_scc0 .LBB23_784
; %bb.781:
	v_cvt_f32_i32_e32 v3, s2
	v_mov_b32_e32 v4, 0xff
	v_readfirstlane_b32 s6, v3
	s_bfe_u32 s7, s6, 0x80017
	s_cmpk_eq_i32 s7, 0xff
	s_cbranch_scc1 .LBB23_783
; %bb.782:
	s_bitcmp1_b32 s6, 22
	s_cselect_b64 s[10:11], -1, 0
	s_and_b32 s6, s6, 0x3fffff
	s_or_b32 s6, s7, s6
	s_cmp_lg_u32 s6, 0
	s_cselect_b64 s[6:7], -1, 0
	s_and_b64 s[6:7], s[10:11], s[6:7]
	v_lshrrev_b32_e32 v3, 23, v3
	v_cndmask_b32_e64 v4, 0, 1, s[6:7]
	v_add_u32_e32 v4, v3, v4
.LBB23_783:
	s_mov_b64 s[6:7], 0
	s_mov_b64 s[10:11], -1
	global_store_byte v[1:2], v4, off
.LBB23_784:
	s_mov_b64 s[12:13], 0
.LBB23_785:
	s_and_b64 vcc, exec, s[12:13]
	s_cbranch_vccz .LBB23_788
; %bb.786:
	s_cmp_eq_u32 s14, 29
	s_mov_b64 s[6:7], -1
	s_cbranch_scc0 .LBB23_788
; %bb.787:
	s_ashr_i32 s6, s2, 31
	v_mov_b32_e32 v3, s2
	v_mov_b32_e32 v4, s6
	global_store_dwordx2 v[1:2], v[3:4], off
	s_mov_b64 s[6:7], 0
	s_mov_b64 s[10:11], -1
.LBB23_788:
	s_mov_b64 s[12:13], 0
.LBB23_789:
	s_and_b64 vcc, exec, s[12:13]
	s_cbranch_vccz .LBB23_840
; %bb.790:
	s_cmp_lt_i32 s14, 27
	s_mov_b64 s[10:11], -1
	s_cbranch_scc1 .LBB23_796
; %bb.791:
	s_cmp_gt_i32 s14, 27
	s_cbranch_scc0 .LBB23_793
; %bb.792:
	v_mov_b32_e32 v3, s2
	s_mov_b64 s[10:11], 0
	global_store_dword v[1:2], v3, off
.LBB23_793:
	s_andn2_b64 vcc, exec, s[10:11]
	s_cbranch_vccnz .LBB23_795
; %bb.794:
	v_mov_b32_e32 v3, s2
	global_store_short v[1:2], v3, off
.LBB23_795:
	s_mov_b64 s[10:11], 0
.LBB23_796:
	s_andn2_b64 vcc, exec, s[10:11]
	s_cbranch_vccnz .LBB23_839
; %bb.797:
	v_cvt_f32_i32_e32 v3, s2
	v_mov_b32_e32 v4, 0x80
	v_readfirstlane_b32 s15, v3
	s_and_b32 s10, s15, 0x7fffffff
	s_cmp_gt_u32 s10, 0x437fffff
	s_cbranch_scc1 .LBB23_838
; %bb.798:
	s_cmp_gt_u32 s10, 0x3bffffff
	s_cbranch_scc0 .LBB23_833
; %bb.799:
	s_bfe_u32 s10, s15, 0x10014
	s_add_i32 s10, s15, s10
	s_add_i32 s10, s10, 0x487ffff
	s_lshr_b32 s16, s10, 20
	s_mov_b64 s[12:13], 0
	s_mov_b64 s[10:11], -1
	s_branch .LBB23_834
.LBB23_800:
	s_mov_b64 s[10:11], 0
	s_cbranch_execnz .LBB23_905
.LBB23_801:
	s_andn2_b64 vcc, exec, s[10:11]
	s_cbranch_vccnz .LBB23_943
.LBB23_802:
	v_mov_b32_e32 v1, s1
	v_add_co_u32_e32 v0, vcc, s0, v0
	s_cmp_lt_i32 s14, 11
	v_addc_co_u32_e32 v1, vcc, 0, v1, vcc
	s_cbranch_scc1 .LBB23_831
; %bb.803:
	s_mov_b64 s[8:9], -1
	s_mov_b64 s[6:7], 0
	s_cmp_gt_i32 s14, 25
	s_mov_b64 s[0:1], 0
	s_cbranch_scc0 .LBB23_855
; %bb.804:
	s_cmp_gt_i32 s14, 28
	s_cbranch_scc0 .LBB23_820
; %bb.805:
	s_cmp_gt_i32 s14, 43
	;; [unrolled: 3-line block ×3, first 2 shown]
	s_cbranch_scc0 .LBB23_810
; %bb.807:
	s_cmp_eq_u32 s14, 46
	s_mov_b64 s[0:1], -1
	s_cbranch_scc0 .LBB23_809
; %bb.808:
	v_cvt_f32_i32_e32 v2, s2
	s_mov_b64 s[0:1], 0
	v_bfe_u32 v3, v2, 16, 1
	v_add_u32_e32 v2, v2, v3
	v_add_u32_e32 v2, 0x7fff, v2
	v_lshrrev_b32_e32 v2, 16, v2
	global_store_dword v[0:1], v2, off
.LBB23_809:
	s_mov_b64 s[8:9], 0
.LBB23_810:
	s_and_b64 vcc, exec, s[8:9]
	s_cbranch_vccz .LBB23_815
; %bb.811:
	s_cmp_eq_u32 s14, 44
	s_mov_b64 s[0:1], -1
	s_cbranch_scc0 .LBB23_815
; %bb.812:
	v_cvt_f32_i32_e32 v2, s2
	v_mov_b32_e32 v3, 0xff
	v_readfirstlane_b32 s0, v2
	s_bfe_u32 s1, s0, 0x80017
	s_cmpk_eq_i32 s1, 0xff
	s_cbranch_scc1 .LBB23_814
; %bb.813:
	s_bitcmp1_b32 s0, 22
	s_cselect_b64 s[8:9], -1, 0
	s_and_b32 s0, s0, 0x3fffff
	s_or_b32 s0, s1, s0
	s_cmp_lg_u32 s0, 0
	s_cselect_b64 s[0:1], -1, 0
	s_and_b64 s[0:1], s[8:9], s[0:1]
	v_lshrrev_b32_e32 v2, 23, v2
	v_cndmask_b32_e64 v3, 0, 1, s[0:1]
	v_add_u32_e32 v3, v2, v3
.LBB23_814:
	s_mov_b64 s[0:1], 0
	global_store_byte v[0:1], v3, off
.LBB23_815:
	s_mov_b64 s[8:9], 0
.LBB23_816:
	s_and_b64 vcc, exec, s[8:9]
	s_cbranch_vccz .LBB23_819
; %bb.817:
	s_cmp_eq_u32 s14, 29
	s_mov_b64 s[0:1], -1
	s_cbranch_scc0 .LBB23_819
; %bb.818:
	s_ashr_i32 s0, s2, 31
	v_mov_b32_e32 v2, s2
	v_mov_b32_e32 v3, s0
	global_store_dwordx2 v[0:1], v[2:3], off
	s_mov_b64 s[0:1], 0
.LBB23_819:
	s_mov_b64 s[8:9], 0
.LBB23_820:
	s_and_b64 vcc, exec, s[8:9]
	s_cbranch_vccz .LBB23_854
; %bb.821:
	s_cmp_lt_i32 s14, 27
	s_mov_b64 s[8:9], -1
	s_cbranch_scc1 .LBB23_827
; %bb.822:
	s_cmp_gt_i32 s14, 27
	s_cbranch_scc0 .LBB23_824
; %bb.823:
	v_mov_b32_e32 v2, s2
	global_store_dword v[0:1], v2, off
	s_mov_b64 s[8:9], 0
.LBB23_824:
	s_andn2_b64 vcc, exec, s[8:9]
	s_cbranch_vccnz .LBB23_826
; %bb.825:
	v_mov_b32_e32 v2, s2
	global_store_short v[0:1], v2, off
.LBB23_826:
	s_mov_b64 s[8:9], 0
.LBB23_827:
	s_andn2_b64 vcc, exec, s[8:9]
	s_cbranch_vccnz .LBB23_854
; %bb.828:
	v_cvt_f32_i32_e32 v2, s2
	v_mov_b32_e32 v3, 0x80
	v_readfirstlane_b32 s12, v2
	s_and_b32 s8, s12, 0x7fffffff
	s_cmp_gt_u32 s8, 0x437fffff
	s_cbranch_scc1 .LBB23_853
; %bb.829:
	s_cmp_gt_u32 s8, 0x3bffffff
	s_cbranch_scc0 .LBB23_848
; %bb.830:
	s_bfe_u32 s8, s12, 0x10014
	s_add_i32 s8, s12, s8
	s_add_i32 s8, s8, 0x487ffff
	s_lshr_b32 s13, s8, 20
	s_mov_b64 s[10:11], 0
	s_mov_b64 s[8:9], -1
	s_branch .LBB23_849
.LBB23_831:
	s_mov_b64 s[6:7], 0
	s_mov_b64 s[0:1], -1
	s_branch .LBB23_944
.LBB23_832:
	s_trap 2
	s_or_b64 s[4:5], s[4:5], exec
	s_cbranch_execz .LBB23_732
	s_branch .LBB23_733
.LBB23_833:
	s_mov_b64 s[12:13], -1
	s_mov_b64 s[10:11], 0
                                        ; implicit-def: $sgpr16
.LBB23_834:
	s_andn2_b64 vcc, exec, s[12:13]
	v_mov_b32_e32 v3, s16
	s_cbranch_vccnz .LBB23_836
; %bb.835:
	v_mov_b32_e32 v3, 0x46000000
	v_add_f32_e64 v3, |s15|, v3
	v_and_b32_e32 v3, 0xff, v3
	v_cmp_ne_u32_e64 s[10:11], 0, v3
.LBB23_836:
	s_andn2_b64 vcc, exec, s[10:11]
	v_mov_b32_e32 v4, 0
	s_cbranch_vccnz .LBB23_838
; %bb.837:
	s_lshr_b32 s10, s15, 24
	s_and_b32 s10, s10, 0x80
	v_or_b32_e32 v4, s10, v3
.LBB23_838:
	global_store_byte v[1:2], v4, off
.LBB23_839:
	s_mov_b64 s[10:11], -1
.LBB23_840:
	s_mov_b64 s[12:13], 0
.LBB23_841:
	s_and_b64 vcc, exec, s[12:13]
	s_cbranch_vccz .LBB23_901
; %bb.842:
	s_cmp_gt_i32 s14, 22
	s_mov_b64 s[8:9], -1
	s_cbranch_scc0 .LBB23_894
; %bb.843:
	s_cmp_lt_i32 s14, 24
	s_cbranch_scc1 .LBB23_881
; %bb.844:
	s_cmp_gt_i32 s14, 24
	s_cbranch_scc0 .LBB23_868
; %bb.845:
	v_cvt_f32_i32_e32 v3, s2
	v_mov_b32_e32 v4, 0x80
	v_readfirstlane_b32 s12, v3
	s_and_b32 s8, s12, 0x7fffffff
	s_cmp_gt_u32 s8, 0x477fffff
	s_cbranch_scc1 .LBB23_867
; %bb.846:
	s_cmp_gt_u32 s8, 0x37ffffff
	s_cbranch_scc0 .LBB23_862
; %bb.847:
	s_bfe_u32 s8, s12, 0x10015
	s_add_i32 s8, s12, s8
	s_add_i32 s8, s8, 0x88fffff
	s_lshr_b32 s13, s8, 21
	s_mov_b64 s[10:11], 0
	s_mov_b64 s[8:9], -1
	s_branch .LBB23_863
.LBB23_848:
	s_mov_b64 s[10:11], -1
	s_mov_b64 s[8:9], 0
                                        ; implicit-def: $sgpr13
.LBB23_849:
	s_andn2_b64 vcc, exec, s[10:11]
	v_mov_b32_e32 v2, s13
	s_cbranch_vccnz .LBB23_851
; %bb.850:
	v_mov_b32_e32 v2, 0x46000000
	v_add_f32_e64 v2, |s12|, v2
	v_and_b32_e32 v2, 0xff, v2
	v_cmp_ne_u32_e64 s[8:9], 0, v2
.LBB23_851:
	s_andn2_b64 vcc, exec, s[8:9]
	v_mov_b32_e32 v3, 0
	s_cbranch_vccnz .LBB23_853
; %bb.852:
	s_lshr_b32 s8, s12, 24
	s_and_b32 s8, s8, 0x80
	v_or_b32_e32 v3, s8, v2
.LBB23_853:
	global_store_byte v[0:1], v3, off
.LBB23_854:
	s_mov_b64 s[8:9], 0
.LBB23_855:
	s_and_b64 vcc, exec, s[8:9]
	s_cbranch_vccz .LBB23_1028
; %bb.856:
	s_cmp_gt_i32 s14, 22
	s_mov_b64 s[6:7], -1
	s_cbranch_scc0 .LBB23_1021
; %bb.857:
	s_cmp_lt_i32 s14, 24
	s_cbranch_scc1 .LBB23_1008
; %bb.858:
	s_cmp_gt_i32 s14, 24
	s_cbranch_scc0 .LBB23_995
; %bb.859:
	v_cvt_f32_i32_e32 v2, s2
	v_mov_b32_e32 v3, 0x80
	v_readfirstlane_b32 s10, v2
	s_and_b32 s6, s10, 0x7fffffff
	s_cmp_gt_u32 s6, 0x477fffff
	s_cbranch_scc1 .LBB23_994
; %bb.860:
	s_cmp_gt_u32 s6, 0x37ffffff
	s_cbranch_scc0 .LBB23_989
; %bb.861:
	s_bfe_u32 s6, s10, 0x10015
	s_add_i32 s6, s10, s6
	s_add_i32 s6, s6, 0x88fffff
	s_lshr_b32 s11, s6, 21
	s_mov_b64 s[8:9], 0
	s_mov_b64 s[6:7], -1
	s_branch .LBB23_990
.LBB23_862:
	s_mov_b64 s[10:11], -1
	s_mov_b64 s[8:9], 0
                                        ; implicit-def: $sgpr13
.LBB23_863:
	s_andn2_b64 vcc, exec, s[10:11]
	v_mov_b32_e32 v3, s13
	s_cbranch_vccnz .LBB23_865
; %bb.864:
	v_mov_b32_e32 v3, 0x42800000
	v_add_f32_e64 v3, |s12|, v3
	v_and_b32_e32 v3, 0xff, v3
	v_cmp_ne_u32_e64 s[8:9], 0, v3
.LBB23_865:
	s_andn2_b64 vcc, exec, s[8:9]
	v_mov_b32_e32 v4, 0
	s_cbranch_vccnz .LBB23_867
; %bb.866:
	s_lshr_b32 s8, s12, 24
	s_and_b32 s8, s8, 0x80
	v_or_b32_e32 v4, s8, v3
.LBB23_867:
	s_mov_b64 s[8:9], 0
	global_store_byte v[1:2], v4, off
.LBB23_868:
	s_and_b64 vcc, exec, s[8:9]
	s_cbranch_vccz .LBB23_880
; %bb.869:
	v_cvt_f32_i32_e32 v3, s2
	v_readfirstlane_b32 s10, v3
	s_and_b32 s11, s10, 0x7fffffff
	s_cmp_lt_u32 s11, 0x43f00000
	s_cbranch_scc0 .LBB23_872
; %bb.870:
	s_cmp_gt_u32 s11, 0x3c7fffff
	s_cbranch_scc0 .LBB23_873
; %bb.871:
	s_bfe_u32 s8, s10, 0x10014
	s_add_i32 s8, s10, s8
	s_add_i32 s8, s8, 0x407ffff
	s_lshr_b32 s9, s8, 20
	s_and_b32 s8, s8, 0xff00000
	s_cmp_lg_u32 s8, 0x7f00000
	s_cselect_b32 s12, s9, 0x7e
	s_mov_b64 s[8:9], 0
	s_branch .LBB23_874
.LBB23_872:
	s_mov_b64 s[8:9], -1
                                        ; implicit-def: $vgpr4
	s_branch .LBB23_877
.LBB23_873:
	s_mov_b64 s[8:9], -1
                                        ; implicit-def: $sgpr12
.LBB23_874:
	s_andn2_b64 vcc, exec, s[8:9]
	v_mov_b32_e32 v4, s12
	s_cbranch_vccnz .LBB23_876
; %bb.875:
	s_mov_b32 s8, 0x46800000
	v_add_f32_e64 v4, |v3|, s8
.LBB23_876:
	s_mov_b64 s[8:9], 0
.LBB23_877:
	s_andn2_b64 vcc, exec, s[8:9]
	s_cbranch_vccnz .LBB23_879
; %bb.878:
	s_cmp_gt_u32 s11, 0x7f800000
	s_movk_i32 s8, 0x7f
	s_cselect_b32 s8, s8, 0x7e
	v_mov_b32_e32 v4, s8
.LBB23_879:
	s_lshr_b32 s8, s10, 24
	s_and_b32 s8, s8, 0x80
	v_or_b32_e32 v3, s8, v4
	global_store_byte v[1:2], v3, off
.LBB23_880:
	s_mov_b64 s[8:9], 0
.LBB23_881:
	s_andn2_b64 vcc, exec, s[8:9]
	s_cbranch_vccnz .LBB23_893
; %bb.882:
	v_cvt_f32_i32_e32 v3, s2
	v_readfirstlane_b32 s10, v3
	s_and_b32 s11, s10, 0x7fffffff
	s_cmp_lt_u32 s11, 0x47800000
	s_cbranch_scc0 .LBB23_885
; %bb.883:
	s_cmp_gt_u32 s11, 0x387fffff
	s_cbranch_scc0 .LBB23_886
; %bb.884:
	s_bfe_u32 s8, s10, 0x10015
	s_add_i32 s8, s10, s8
	s_add_i32 s8, s8, 0x80fffff
	s_lshr_b32 s12, s8, 21
	s_mov_b64 s[8:9], 0
	s_branch .LBB23_887
.LBB23_885:
	s_mov_b64 s[8:9], -1
                                        ; implicit-def: $vgpr4
	s_branch .LBB23_890
.LBB23_886:
	s_mov_b64 s[8:9], -1
                                        ; implicit-def: $sgpr12
.LBB23_887:
	s_andn2_b64 vcc, exec, s[8:9]
	v_mov_b32_e32 v4, s12
	s_cbranch_vccnz .LBB23_889
; %bb.888:
	s_mov_b32 s8, 0x43000000
	v_add_f32_e64 v4, |v3|, s8
.LBB23_889:
	s_mov_b64 s[8:9], 0
.LBB23_890:
	s_andn2_b64 vcc, exec, s[8:9]
	s_cbranch_vccnz .LBB23_892
; %bb.891:
	s_cmp_gt_u32 s11, 0x7f800000
	s_movk_i32 s8, 0x7f
	s_cselect_b32 s8, s8, 0x7c
	v_mov_b32_e32 v4, s8
.LBB23_892:
	s_lshr_b32 s8, s10, 24
	s_and_b32 s8, s8, 0x80
	v_or_b32_e32 v3, s8, v4
	global_store_byte v[1:2], v3, off
.LBB23_893:
	s_mov_b64 s[8:9], 0
	s_mov_b64 s[10:11], -1
.LBB23_894:
	s_andn2_b64 vcc, exec, s[8:9]
	s_mov_b64 s[8:9], 0
	s_cbranch_vccnz .LBB23_901
; %bb.895:
	s_cmp_gt_i32 s14, 14
	s_mov_b64 s[12:13], -1
	s_cbranch_scc0 .LBB23_899
; %bb.896:
	s_cmp_eq_u32 s14, 15
	s_mov_b64 s[6:7], -1
	s_cbranch_scc0 .LBB23_898
; %bb.897:
	v_cvt_f32_i32_e32 v3, s2
	s_mov_b64 s[6:7], 0
	s_mov_b64 s[10:11], -1
	v_bfe_u32 v4, v3, 16, 1
	v_add_u32_e32 v3, v3, v4
	v_add_u32_e32 v3, 0x7fff, v3
	global_store_short_d16_hi v[1:2], v3, off
.LBB23_898:
	s_mov_b64 s[12:13], 0
.LBB23_899:
	s_and_b64 vcc, exec, s[12:13]
	s_cbranch_vccz .LBB23_901
; %bb.900:
	s_cmp_lg_u32 s14, 11
	s_mov_b64 s[8:9], -1
	s_cselect_b64 s[6:7], -1, 0
.LBB23_901:
	s_and_b64 vcc, exec, s[6:7]
	s_cbranch_vccnz .LBB23_988
; %bb.902:
	s_andn2_b64 vcc, exec, s[8:9]
	s_cbranch_vccnz .LBB23_904
.LBB23_903:
	s_cmp_lg_u32 s2, 0
	s_cselect_b64 s[6:7], -1, 0
	v_cndmask_b32_e64 v3, 0, 1, s[6:7]
	s_mov_b64 s[10:11], -1
	global_store_byte v[1:2], v3, off
.LBB23_904:
	s_branch .LBB23_801
.LBB23_905:
	s_cmp_lt_i32 s14, 5
	s_mov_b64 s[6:7], -1
	s_cbranch_scc1 .LBB23_926
; %bb.906:
	s_cmp_lt_i32 s14, 8
	s_cbranch_scc1 .LBB23_916
; %bb.907:
	s_cmp_lt_i32 s14, 9
	s_cbranch_scc1 .LBB23_913
; %bb.908:
	s_cmp_gt_i32 s14, 9
	s_cbranch_scc0 .LBB23_910
; %bb.909:
	v_cvt_f64_i32_e32 v[3:4], s2
	v_mov_b32_e32 v5, 0
	v_mov_b32_e32 v6, v5
	s_mov_b64 s[6:7], 0
	global_store_dwordx4 v[1:2], v[3:6], off
.LBB23_910:
	s_andn2_b64 vcc, exec, s[6:7]
	s_cbranch_vccnz .LBB23_912
; %bb.911:
	v_cvt_f32_i32_e32 v3, s2
	v_mov_b32_e32 v4, 0
	global_store_dwordx2 v[1:2], v[3:4], off
.LBB23_912:
	s_mov_b64 s[6:7], 0
.LBB23_913:
	s_andn2_b64 vcc, exec, s[6:7]
	s_cbranch_vccnz .LBB23_915
; %bb.914:
	v_cvt_f32_i32_e32 v3, s2
	v_cvt_f16_f32_e32 v3, v3
	global_store_dword v[1:2], v3, off
.LBB23_915:
	s_mov_b64 s[6:7], 0
.LBB23_916:
	s_andn2_b64 vcc, exec, s[6:7]
	s_cbranch_vccnz .LBB23_925
; %bb.917:
	s_cmp_lt_i32 s14, 6
	s_mov_b64 s[6:7], -1
	s_cbranch_scc1 .LBB23_923
; %bb.918:
	s_cmp_gt_i32 s14, 6
	s_cbranch_scc0 .LBB23_920
; %bb.919:
	v_cvt_f64_i32_e32 v[3:4], s2
	s_mov_b64 s[6:7], 0
	global_store_dwordx2 v[1:2], v[3:4], off
.LBB23_920:
	s_andn2_b64 vcc, exec, s[6:7]
	s_cbranch_vccnz .LBB23_922
; %bb.921:
	v_cvt_f32_i32_e32 v3, s2
	global_store_dword v[1:2], v3, off
.LBB23_922:
	s_mov_b64 s[6:7], 0
.LBB23_923:
	s_andn2_b64 vcc, exec, s[6:7]
	s_cbranch_vccnz .LBB23_925
; %bb.924:
	v_cvt_f32_i32_e32 v3, s2
	v_cvt_f16_f32_e32 v3, v3
	global_store_short v[1:2], v3, off
.LBB23_925:
	s_mov_b64 s[6:7], 0
.LBB23_926:
	s_andn2_b64 vcc, exec, s[6:7]
	s_cbranch_vccnz .LBB23_942
; %bb.927:
	s_cmp_lt_i32 s14, 2
	s_mov_b64 s[6:7], -1
	s_cbranch_scc1 .LBB23_937
; %bb.928:
	s_cmp_lt_i32 s14, 3
	s_cbranch_scc1 .LBB23_934
; %bb.929:
	s_cmp_gt_i32 s14, 3
	s_cbranch_scc0 .LBB23_931
; %bb.930:
	s_ashr_i32 s6, s2, 31
	v_mov_b32_e32 v3, s2
	v_mov_b32_e32 v4, s6
	global_store_dwordx2 v[1:2], v[3:4], off
	s_mov_b64 s[6:7], 0
.LBB23_931:
	s_andn2_b64 vcc, exec, s[6:7]
	s_cbranch_vccnz .LBB23_933
; %bb.932:
	v_mov_b32_e32 v3, s2
	global_store_dword v[1:2], v3, off
.LBB23_933:
	s_mov_b64 s[6:7], 0
.LBB23_934:
	s_andn2_b64 vcc, exec, s[6:7]
	s_cbranch_vccnz .LBB23_936
; %bb.935:
	v_mov_b32_e32 v3, s2
	global_store_short v[1:2], v3, off
.LBB23_936:
	s_mov_b64 s[6:7], 0
.LBB23_937:
	s_andn2_b64 vcc, exec, s[6:7]
	s_cbranch_vccnz .LBB23_942
; %bb.938:
	s_cmp_gt_i32 s14, 0
	s_mov_b64 s[6:7], -1
	s_cbranch_scc0 .LBB23_940
; %bb.939:
	v_mov_b32_e32 v3, s2
	global_store_byte v[1:2], v3, off
	s_mov_b64 s[6:7], 0
.LBB23_940:
	s_andn2_b64 vcc, exec, s[6:7]
	s_cbranch_vccnz .LBB23_942
; %bb.941:
	v_mov_b32_e32 v3, s2
	global_store_byte v[1:2], v3, off
.LBB23_942:
	s_branch .LBB23_802
.LBB23_943:
	s_mov_b64 s[0:1], 0
	s_mov_b64 s[6:7], 0
                                        ; implicit-def: $sgpr3
                                        ; implicit-def: $vgpr0_vgpr1
.LBB23_944:
	s_andn2_b64 s[8:9], s[20:21], exec
	s_and_b64 s[4:5], s[4:5], exec
	s_and_b64 s[0:1], s[0:1], exec
	;; [unrolled: 1-line block ×3, first 2 shown]
	s_or_b64 s[20:21], s[8:9], s[4:5]
.LBB23_945:
	s_or_b64 exec, exec, s[22:23]
	s_and_saveexec_b64 s[4:5], s[20:21]
	s_cbranch_execz .LBB23_948
; %bb.946:
	; divergent unreachable
	s_or_b64 exec, exec, s[4:5]
	s_and_saveexec_b64 s[4:5], s[6:7]
	s_xor_b64 s[4:5], exec, s[4:5]
	s_cbranch_execnz .LBB23_949
.LBB23_947:
	s_or_b64 exec, exec, s[4:5]
	s_and_saveexec_b64 s[4:5], s[0:1]
	s_cbranch_execnz .LBB23_950
	s_branch .LBB23_987
.LBB23_948:
	s_or_b64 exec, exec, s[4:5]
	s_and_saveexec_b64 s[4:5], s[6:7]
	s_xor_b64 s[4:5], exec, s[4:5]
	s_cbranch_execz .LBB23_947
.LBB23_949:
	s_cmp_lg_u32 s2, 0
	s_cselect_b64 s[6:7], -1, 0
	v_cndmask_b32_e64 v2, 0, 1, s[6:7]
	global_store_byte v[0:1], v2, off
	s_or_b64 exec, exec, s[4:5]
	s_and_saveexec_b64 s[4:5], s[0:1]
	s_cbranch_execz .LBB23_987
.LBB23_950:
	s_sext_i32_i16 s4, s3
	s_cmp_lt_i32 s4, 5
	s_mov_b64 s[0:1], -1
	s_cbranch_scc1 .LBB23_971
; %bb.951:
	s_cmp_lt_i32 s4, 8
	s_cbranch_scc1 .LBB23_961
; %bb.952:
	s_cmp_lt_i32 s4, 9
	s_cbranch_scc1 .LBB23_958
; %bb.953:
	s_cmp_gt_i32 s4, 9
	s_cbranch_scc0 .LBB23_955
; %bb.954:
	v_cvt_f64_i32_e32 v[2:3], s2
	v_mov_b32_e32 v4, 0
	v_mov_b32_e32 v5, v4
	s_mov_b64 s[0:1], 0
	global_store_dwordx4 v[0:1], v[2:5], off
.LBB23_955:
	s_andn2_b64 vcc, exec, s[0:1]
	s_cbranch_vccnz .LBB23_957
; %bb.956:
	v_cvt_f32_i32_e32 v2, s2
	v_mov_b32_e32 v3, 0
	global_store_dwordx2 v[0:1], v[2:3], off
.LBB23_957:
	s_mov_b64 s[0:1], 0
.LBB23_958:
	s_andn2_b64 vcc, exec, s[0:1]
	s_cbranch_vccnz .LBB23_960
; %bb.959:
	v_cvt_f32_i32_e32 v2, s2
	v_cvt_f16_f32_e32 v2, v2
	global_store_dword v[0:1], v2, off
.LBB23_960:
	s_mov_b64 s[0:1], 0
.LBB23_961:
	s_andn2_b64 vcc, exec, s[0:1]
	s_cbranch_vccnz .LBB23_970
; %bb.962:
	s_sext_i32_i16 s4, s3
	s_cmp_lt_i32 s4, 6
	s_mov_b64 s[0:1], -1
	s_cbranch_scc1 .LBB23_968
; %bb.963:
	s_cmp_gt_i32 s4, 6
	s_cbranch_scc0 .LBB23_965
; %bb.964:
	v_cvt_f64_i32_e32 v[2:3], s2
	s_mov_b64 s[0:1], 0
	global_store_dwordx2 v[0:1], v[2:3], off
.LBB23_965:
	s_andn2_b64 vcc, exec, s[0:1]
	s_cbranch_vccnz .LBB23_967
; %bb.966:
	v_cvt_f32_i32_e32 v2, s2
	global_store_dword v[0:1], v2, off
.LBB23_967:
	s_mov_b64 s[0:1], 0
.LBB23_968:
	s_andn2_b64 vcc, exec, s[0:1]
	s_cbranch_vccnz .LBB23_970
; %bb.969:
	v_cvt_f32_i32_e32 v2, s2
	v_cvt_f16_f32_e32 v2, v2
	global_store_short v[0:1], v2, off
.LBB23_970:
	s_mov_b64 s[0:1], 0
.LBB23_971:
	s_andn2_b64 vcc, exec, s[0:1]
	s_cbranch_vccnz .LBB23_987
; %bb.972:
	s_sext_i32_i16 s4, s3
	s_cmp_lt_i32 s4, 2
	s_mov_b64 s[0:1], -1
	s_cbranch_scc1 .LBB23_982
; %bb.973:
	s_cmp_lt_i32 s4, 3
	s_cbranch_scc1 .LBB23_979
; %bb.974:
	s_cmp_gt_i32 s4, 3
	s_cbranch_scc0 .LBB23_976
; %bb.975:
	s_ashr_i32 s0, s2, 31
	v_mov_b32_e32 v2, s2
	v_mov_b32_e32 v3, s0
	global_store_dwordx2 v[0:1], v[2:3], off
	s_mov_b64 s[0:1], 0
.LBB23_976:
	s_andn2_b64 vcc, exec, s[0:1]
	s_cbranch_vccnz .LBB23_978
; %bb.977:
	v_mov_b32_e32 v2, s2
	global_store_dword v[0:1], v2, off
.LBB23_978:
	s_mov_b64 s[0:1], 0
.LBB23_979:
	s_andn2_b64 vcc, exec, s[0:1]
	s_cbranch_vccnz .LBB23_981
; %bb.980:
	v_mov_b32_e32 v2, s2
	global_store_short v[0:1], v2, off
.LBB23_981:
	s_mov_b64 s[0:1], 0
.LBB23_982:
	s_andn2_b64 vcc, exec, s[0:1]
	s_cbranch_vccnz .LBB23_987
; %bb.983:
	s_sext_i32_i16 s0, s3
	s_cmp_gt_i32 s0, 0
	s_mov_b64 s[0:1], -1
	s_cbranch_scc0 .LBB23_985
; %bb.984:
	v_mov_b32_e32 v2, s2
	global_store_byte v[0:1], v2, off
	s_mov_b64 s[0:1], 0
.LBB23_985:
	s_andn2_b64 vcc, exec, s[0:1]
	s_cbranch_vccnz .LBB23_987
; %bb.986:
	v_mov_b32_e32 v2, s2
	global_store_byte v[0:1], v2, off
	s_endpgm
.LBB23_987:
	s_endpgm
.LBB23_988:
	s_trap 2
	s_or_b64 s[4:5], s[4:5], exec
	s_cbranch_execz .LBB23_903
	s_branch .LBB23_904
.LBB23_989:
	s_mov_b64 s[8:9], -1
	s_mov_b64 s[6:7], 0
                                        ; implicit-def: $sgpr11
.LBB23_990:
	s_andn2_b64 vcc, exec, s[8:9]
	v_mov_b32_e32 v2, s11
	s_cbranch_vccnz .LBB23_992
; %bb.991:
	v_mov_b32_e32 v2, 0x42800000
	v_add_f32_e64 v2, |s10|, v2
	v_and_b32_e32 v2, 0xff, v2
	v_cmp_ne_u32_e64 s[6:7], 0, v2
.LBB23_992:
	s_andn2_b64 vcc, exec, s[6:7]
	v_mov_b32_e32 v3, 0
	s_cbranch_vccnz .LBB23_994
; %bb.993:
	s_lshr_b32 s6, s10, 24
	s_and_b32 s6, s6, 0x80
	v_or_b32_e32 v3, s6, v2
.LBB23_994:
	s_mov_b64 s[6:7], 0
	global_store_byte v[0:1], v3, off
.LBB23_995:
	s_and_b64 vcc, exec, s[6:7]
	s_cbranch_vccz .LBB23_1007
; %bb.996:
	v_cvt_f32_i32_e32 v2, s2
	v_readfirstlane_b32 s8, v2
	s_and_b32 s9, s8, 0x7fffffff
	s_cmp_lt_u32 s9, 0x43f00000
	s_cbranch_scc0 .LBB23_999
; %bb.997:
	s_cmp_gt_u32 s9, 0x3c7fffff
	s_cbranch_scc0 .LBB23_1000
; %bb.998:
	s_bfe_u32 s6, s8, 0x10014
	s_add_i32 s6, s8, s6
	s_add_i32 s6, s6, 0x407ffff
	s_lshr_b32 s7, s6, 20
	s_and_b32 s6, s6, 0xff00000
	s_cmp_lg_u32 s6, 0x7f00000
	s_cselect_b32 s10, s7, 0x7e
	s_mov_b64 s[6:7], 0
	s_branch .LBB23_1001
.LBB23_999:
	s_mov_b64 s[6:7], -1
                                        ; implicit-def: $vgpr3
	s_branch .LBB23_1004
.LBB23_1000:
	s_mov_b64 s[6:7], -1
                                        ; implicit-def: $sgpr10
.LBB23_1001:
	s_andn2_b64 vcc, exec, s[6:7]
	v_mov_b32_e32 v3, s10
	s_cbranch_vccnz .LBB23_1003
; %bb.1002:
	s_mov_b32 s6, 0x46800000
	v_add_f32_e64 v3, |v2|, s6
.LBB23_1003:
	s_mov_b64 s[6:7], 0
.LBB23_1004:
	s_andn2_b64 vcc, exec, s[6:7]
	s_cbranch_vccnz .LBB23_1006
; %bb.1005:
	s_cmp_gt_u32 s9, 0x7f800000
	s_movk_i32 s6, 0x7f
	s_cselect_b32 s6, s6, 0x7e
	v_mov_b32_e32 v3, s6
.LBB23_1006:
	s_lshr_b32 s6, s8, 24
	s_and_b32 s6, s6, 0x80
	v_or_b32_e32 v2, s6, v3
	global_store_byte v[0:1], v2, off
.LBB23_1007:
	s_mov_b64 s[6:7], 0
.LBB23_1008:
	s_andn2_b64 vcc, exec, s[6:7]
	s_cbranch_vccnz .LBB23_1020
; %bb.1009:
	v_cvt_f32_i32_e32 v2, s2
	v_readfirstlane_b32 s8, v2
	s_and_b32 s9, s8, 0x7fffffff
	s_cmp_lt_u32 s9, 0x47800000
	s_cbranch_scc0 .LBB23_1012
; %bb.1010:
	s_cmp_gt_u32 s9, 0x387fffff
	s_cbranch_scc0 .LBB23_1013
; %bb.1011:
	s_bfe_u32 s6, s8, 0x10015
	s_add_i32 s6, s8, s6
	s_add_i32 s6, s6, 0x80fffff
	s_lshr_b32 s10, s6, 21
	s_mov_b64 s[6:7], 0
	s_branch .LBB23_1014
.LBB23_1012:
	s_mov_b64 s[6:7], -1
                                        ; implicit-def: $vgpr3
	s_branch .LBB23_1017
.LBB23_1013:
	s_mov_b64 s[6:7], -1
                                        ; implicit-def: $sgpr10
.LBB23_1014:
	s_andn2_b64 vcc, exec, s[6:7]
	v_mov_b32_e32 v3, s10
	s_cbranch_vccnz .LBB23_1016
; %bb.1015:
	s_mov_b32 s6, 0x43000000
	v_add_f32_e64 v3, |v2|, s6
.LBB23_1016:
	s_mov_b64 s[6:7], 0
.LBB23_1017:
	s_andn2_b64 vcc, exec, s[6:7]
	s_cbranch_vccnz .LBB23_1019
; %bb.1018:
	s_cmp_gt_u32 s9, 0x7f800000
	s_movk_i32 s6, 0x7f
	s_cselect_b32 s6, s6, 0x7c
	v_mov_b32_e32 v3, s6
.LBB23_1019:
	s_lshr_b32 s6, s8, 24
	s_and_b32 s6, s6, 0x80
	v_or_b32_e32 v2, s6, v3
	global_store_byte v[0:1], v2, off
.LBB23_1020:
	s_mov_b64 s[6:7], 0
.LBB23_1021:
	s_andn2_b64 vcc, exec, s[6:7]
	s_mov_b64 s[6:7], 0
	s_cbranch_vccnz .LBB23_1028
; %bb.1022:
	s_cmp_gt_i32 s14, 14
	s_mov_b64 s[8:9], -1
	s_cbranch_scc0 .LBB23_1026
; %bb.1023:
	s_cmp_eq_u32 s14, 15
	s_mov_b64 s[0:1], -1
	s_cbranch_scc0 .LBB23_1025
; %bb.1024:
	v_cvt_f32_i32_e32 v2, s2
	s_mov_b64 s[0:1], 0
	v_bfe_u32 v3, v2, 16, 1
	v_add_u32_e32 v2, v2, v3
	v_add_u32_e32 v2, 0x7fff, v2
	global_store_short_d16_hi v[0:1], v2, off
.LBB23_1025:
	s_mov_b64 s[8:9], 0
.LBB23_1026:
	s_and_b64 vcc, exec, s[8:9]
	s_cbranch_vccz .LBB23_1028
; %bb.1027:
	s_cmp_lg_u32 s14, 11
	s_mov_b64 s[6:7], -1
	s_cselect_b64 s[0:1], -1, 0
.LBB23_1028:
	s_and_b64 vcc, exec, s[0:1]
	s_cbranch_vccnz .LBB23_1030
.LBB23_1029:
	s_mov_b64 s[0:1], 0
	s_branch .LBB23_944
.LBB23_1030:
	s_mov_b64 s[6:7], 0
	s_or_b64 s[4:5], s[4:5], exec
	s_trap 2
	s_branch .LBB23_1029
	.section	.rodata,"a",@progbits
	.p2align	6, 0x0
	.amdhsa_kernel _ZN2at6native32elementwise_kernel_manual_unrollILi128ELi4EZNS0_15gpu_kernel_implINS0_11FillFunctorIiEEEEvRNS_18TensorIteratorBaseERKT_EUlibE0_EEviT1_
		.amdhsa_group_segment_fixed_size 0
		.amdhsa_private_segment_fixed_size 0
		.amdhsa_kernarg_size 288
		.amdhsa_user_sgpr_count 6
		.amdhsa_user_sgpr_private_segment_buffer 1
		.amdhsa_user_sgpr_dispatch_ptr 0
		.amdhsa_user_sgpr_queue_ptr 0
		.amdhsa_user_sgpr_kernarg_segment_ptr 1
		.amdhsa_user_sgpr_dispatch_id 0
		.amdhsa_user_sgpr_flat_scratch_init 0
		.amdhsa_user_sgpr_private_segment_size 0
		.amdhsa_uses_dynamic_stack 0
		.amdhsa_system_sgpr_private_segment_wavefront_offset 0
		.amdhsa_system_sgpr_workgroup_id_x 1
		.amdhsa_system_sgpr_workgroup_id_y 0
		.amdhsa_system_sgpr_workgroup_id_z 0
		.amdhsa_system_sgpr_workgroup_info 0
		.amdhsa_system_vgpr_workitem_id 0
		.amdhsa_next_free_vgpr 19
		.amdhsa_next_free_sgpr 96
		.amdhsa_reserve_vcc 1
		.amdhsa_reserve_flat_scratch 0
		.amdhsa_float_round_mode_32 0
		.amdhsa_float_round_mode_16_64 0
		.amdhsa_float_denorm_mode_32 3
		.amdhsa_float_denorm_mode_16_64 3
		.amdhsa_dx10_clamp 1
		.amdhsa_ieee_mode 1
		.amdhsa_fp16_overflow 0
		.amdhsa_exception_fp_ieee_invalid_op 0
		.amdhsa_exception_fp_denorm_src 0
		.amdhsa_exception_fp_ieee_div_zero 0
		.amdhsa_exception_fp_ieee_overflow 0
		.amdhsa_exception_fp_ieee_underflow 0
		.amdhsa_exception_fp_ieee_inexact 0
		.amdhsa_exception_int_div_zero 0
	.end_amdhsa_kernel
	.section	.text._ZN2at6native32elementwise_kernel_manual_unrollILi128ELi4EZNS0_15gpu_kernel_implINS0_11FillFunctorIiEEEEvRNS_18TensorIteratorBaseERKT_EUlibE0_EEviT1_,"axG",@progbits,_ZN2at6native32elementwise_kernel_manual_unrollILi128ELi4EZNS0_15gpu_kernel_implINS0_11FillFunctorIiEEEEvRNS_18TensorIteratorBaseERKT_EUlibE0_EEviT1_,comdat
.Lfunc_end23:
	.size	_ZN2at6native32elementwise_kernel_manual_unrollILi128ELi4EZNS0_15gpu_kernel_implINS0_11FillFunctorIiEEEEvRNS_18TensorIteratorBaseERKT_EUlibE0_EEviT1_, .Lfunc_end23-_ZN2at6native32elementwise_kernel_manual_unrollILi128ELi4EZNS0_15gpu_kernel_implINS0_11FillFunctorIiEEEEvRNS_18TensorIteratorBaseERKT_EUlibE0_EEviT1_
                                        ; -- End function
	.set _ZN2at6native32elementwise_kernel_manual_unrollILi128ELi4EZNS0_15gpu_kernel_implINS0_11FillFunctorIiEEEEvRNS_18TensorIteratorBaseERKT_EUlibE0_EEviT1_.num_vgpr, 19
	.set _ZN2at6native32elementwise_kernel_manual_unrollILi128ELi4EZNS0_15gpu_kernel_implINS0_11FillFunctorIiEEEEvRNS_18TensorIteratorBaseERKT_EUlibE0_EEviT1_.num_agpr, 0
	.set _ZN2at6native32elementwise_kernel_manual_unrollILi128ELi4EZNS0_15gpu_kernel_implINS0_11FillFunctorIiEEEEvRNS_18TensorIteratorBaseERKT_EUlibE0_EEviT1_.numbered_sgpr, 96
	.set _ZN2at6native32elementwise_kernel_manual_unrollILi128ELi4EZNS0_15gpu_kernel_implINS0_11FillFunctorIiEEEEvRNS_18TensorIteratorBaseERKT_EUlibE0_EEviT1_.num_named_barrier, 0
	.set _ZN2at6native32elementwise_kernel_manual_unrollILi128ELi4EZNS0_15gpu_kernel_implINS0_11FillFunctorIiEEEEvRNS_18TensorIteratorBaseERKT_EUlibE0_EEviT1_.private_seg_size, 0
	.set _ZN2at6native32elementwise_kernel_manual_unrollILi128ELi4EZNS0_15gpu_kernel_implINS0_11FillFunctorIiEEEEvRNS_18TensorIteratorBaseERKT_EUlibE0_EEviT1_.uses_vcc, 1
	.set _ZN2at6native32elementwise_kernel_manual_unrollILi128ELi4EZNS0_15gpu_kernel_implINS0_11FillFunctorIiEEEEvRNS_18TensorIteratorBaseERKT_EUlibE0_EEviT1_.uses_flat_scratch, 0
	.set _ZN2at6native32elementwise_kernel_manual_unrollILi128ELi4EZNS0_15gpu_kernel_implINS0_11FillFunctorIiEEEEvRNS_18TensorIteratorBaseERKT_EUlibE0_EEviT1_.has_dyn_sized_stack, 0
	.set _ZN2at6native32elementwise_kernel_manual_unrollILi128ELi4EZNS0_15gpu_kernel_implINS0_11FillFunctorIiEEEEvRNS_18TensorIteratorBaseERKT_EUlibE0_EEviT1_.has_recursion, 0
	.set _ZN2at6native32elementwise_kernel_manual_unrollILi128ELi4EZNS0_15gpu_kernel_implINS0_11FillFunctorIiEEEEvRNS_18TensorIteratorBaseERKT_EUlibE0_EEviT1_.has_indirect_call, 0
	.section	.AMDGPU.csdata,"",@progbits
; Kernel info:
; codeLenInByte = 16888
; TotalNumSgprs: 100
; NumVgprs: 19
; ScratchSize: 0
; MemoryBound: 0
; FloatMode: 240
; IeeeMode: 1
; LDSByteSize: 0 bytes/workgroup (compile time only)
; SGPRBlocks: 12
; VGPRBlocks: 4
; NumSGPRsForWavesPerEU: 100
; NumVGPRsForWavesPerEU: 19
; Occupancy: 8
; WaveLimiterHint : 1
; COMPUTE_PGM_RSRC2:SCRATCH_EN: 0
; COMPUTE_PGM_RSRC2:USER_SGPR: 6
; COMPUTE_PGM_RSRC2:TRAP_HANDLER: 0
; COMPUTE_PGM_RSRC2:TGID_X_EN: 1
; COMPUTE_PGM_RSRC2:TGID_Y_EN: 0
; COMPUTE_PGM_RSRC2:TGID_Z_EN: 0
; COMPUTE_PGM_RSRC2:TIDIG_COMP_CNT: 0
	.section	.text._ZN2at6native29vectorized_elementwise_kernelILi16ENS0_11FillFunctorIlEESt5arrayIPcLm1EEEEviT0_T1_,"axG",@progbits,_ZN2at6native29vectorized_elementwise_kernelILi16ENS0_11FillFunctorIlEESt5arrayIPcLm1EEEEviT0_T1_,comdat
	.protected	_ZN2at6native29vectorized_elementwise_kernelILi16ENS0_11FillFunctorIlEESt5arrayIPcLm1EEEEviT0_T1_ ; -- Begin function _ZN2at6native29vectorized_elementwise_kernelILi16ENS0_11FillFunctorIlEESt5arrayIPcLm1EEEEviT0_T1_
	.globl	_ZN2at6native29vectorized_elementwise_kernelILi16ENS0_11FillFunctorIlEESt5arrayIPcLm1EEEEviT0_T1_
	.p2align	8
	.type	_ZN2at6native29vectorized_elementwise_kernelILi16ENS0_11FillFunctorIlEESt5arrayIPcLm1EEEEviT0_T1_,@function
_ZN2at6native29vectorized_elementwise_kernelILi16ENS0_11FillFunctorIlEESt5arrayIPcLm1EEEEviT0_T1_: ; @_ZN2at6native29vectorized_elementwise_kernelILi16ENS0_11FillFunctorIlEESt5arrayIPcLm1EEEEviT0_T1_
; %bb.0:
	s_load_dword s7, s[4:5], 0x0
	s_load_dwordx4 s[0:3], s[4:5], 0x8
	s_lshl_b32 s4, s6, 10
	s_waitcnt lgkmcnt(0)
	s_sub_i32 s8, s7, s4
	s_cmpk_gt_i32 s8, 0x3ff
	s_mov_b64 s[6:7], -1
	s_cbranch_scc0 .LBB24_2
; %bb.1:
	s_ashr_i32 s5, s4, 31
	s_lshl_b64 s[6:7], s[4:5], 3
	s_mov_b32 s12, s0
	s_add_u32 s6, s2, s6
	s_mov_b32 s13, s1
	s_mov_b32 s14, s0
	;; [unrolled: 1-line block ×3, first 2 shown]
	v_mov_b32_e32 v1, s12
	s_addc_u32 s7, s3, s7
	v_lshlrev_b32_e32 v5, 5, v0
	v_mov_b32_e32 v2, s13
	v_mov_b32_e32 v3, s14
	;; [unrolled: 1-line block ×3, first 2 shown]
	global_store_dwordx4 v5, v[1:4], s[6:7]
	global_store_dwordx4 v5, v[1:4], s[6:7] offset:16
	s_mov_b64 s[6:7], 0
.LBB24_2:
	s_andn2_b64 vcc, exec, s[6:7]
	s_cbranch_vccnz .LBB24_8
; %bb.3:
	v_or_b32_e32 v9, 0x100, v0
	v_mov_b32_e32 v1, s1
	v_mov_b32_e32 v10, s0
	v_cmp_gt_i32_e64 s[0:1], s8, v9
	v_or_b32_e32 v2, 0x200, v0
	v_cndmask_b32_e64 v6, 0, v1, s[0:1]
	v_cndmask_b32_e64 v5, 0, v10, s[0:1]
	v_cmp_gt_i32_e64 s[0:1], s8, v2
	v_or_b32_e32 v2, 0x300, v0
	v_cmp_gt_i32_e32 vcc, s8, v0
	v_cndmask_b32_e64 v4, 0, v1, s[0:1]
	v_cndmask_b32_e64 v3, 0, v10, s[0:1]
	v_cmp_gt_i32_e64 s[0:1], s8, v2
	v_cndmask_b32_e32 v8, 0, v1, vcc
	v_cndmask_b32_e32 v7, 0, v10, vcc
	v_cndmask_b32_e64 v2, 0, v1, s[0:1]
	v_cndmask_b32_e64 v1, 0, v10, s[0:1]
	s_and_saveexec_b64 s[0:1], vcc
	s_cbranch_execnz .LBB24_9
; %bb.4:
	s_or_b64 exec, exec, s[0:1]
	v_cmp_gt_i32_e32 vcc, s8, v0
	s_and_saveexec_b64 s[0:1], vcc
	s_cbranch_execnz .LBB24_10
.LBB24_5:
	s_or_b64 exec, exec, s[0:1]
	v_cmp_gt_i32_e32 vcc, s8, v0
	s_and_saveexec_b64 s[0:1], vcc
	s_cbranch_execnz .LBB24_11
.LBB24_6:
	s_or_b64 exec, exec, s[0:1]
	v_cmp_gt_i32_e32 vcc, s8, v0
	s_and_saveexec_b64 s[0:1], vcc
	s_cbranch_execz .LBB24_8
.LBB24_7:
	v_add_u32_e32 v3, s4, v0
	v_mov_b32_e32 v4, 0
	v_lshlrev_b64 v[3:4], 3, v[3:4]
	v_mov_b32_e32 v0, s3
	v_add_co_u32_e32 v3, vcc, s2, v3
	v_addc_co_u32_e32 v4, vcc, v0, v4, vcc
	global_store_dwordx2 v[3:4], v[1:2], off
.LBB24_8:
	s_endpgm
.LBB24_9:
	v_or_b32_e32 v10, s4, v0
	v_mov_b32_e32 v11, 0
	v_lshlrev_b64 v[10:11], 3, v[10:11]
	v_mov_b32_e32 v0, s3
	v_add_co_u32_e32 v10, vcc, s2, v10
	v_addc_co_u32_e32 v11, vcc, v0, v11, vcc
	v_mov_b32_e32 v0, v9
	global_store_dwordx2 v[10:11], v[7:8], off
	s_or_b64 exec, exec, s[0:1]
	v_cmp_gt_i32_e32 vcc, s8, v0
	s_and_saveexec_b64 s[0:1], vcc
	s_cbranch_execz .LBB24_5
.LBB24_10:
	v_add_u32_e32 v7, s4, v0
	v_mov_b32_e32 v8, 0
	v_lshlrev_b64 v[7:8], 3, v[7:8]
	v_mov_b32_e32 v9, s3
	v_add_co_u32_e32 v7, vcc, s2, v7
	v_addc_co_u32_e32 v8, vcc, v9, v8, vcc
	v_add_u32_e32 v0, 0x100, v0
	global_store_dwordx2 v[7:8], v[5:6], off
	s_or_b64 exec, exec, s[0:1]
	v_cmp_gt_i32_e32 vcc, s8, v0
	s_and_saveexec_b64 s[0:1], vcc
	s_cbranch_execz .LBB24_6
.LBB24_11:
	v_add_u32_e32 v5, s4, v0
	v_mov_b32_e32 v6, 0
	v_lshlrev_b64 v[5:6], 3, v[5:6]
	v_mov_b32_e32 v7, s3
	v_add_co_u32_e32 v5, vcc, s2, v5
	v_addc_co_u32_e32 v6, vcc, v7, v6, vcc
	v_add_u32_e32 v0, 0x100, v0
	global_store_dwordx2 v[5:6], v[3:4], off
	s_or_b64 exec, exec, s[0:1]
	v_cmp_gt_i32_e32 vcc, s8, v0
	s_and_saveexec_b64 s[0:1], vcc
	s_cbranch_execnz .LBB24_7
	s_branch .LBB24_8
	.section	.rodata,"a",@progbits
	.p2align	6, 0x0
	.amdhsa_kernel _ZN2at6native29vectorized_elementwise_kernelILi16ENS0_11FillFunctorIlEESt5arrayIPcLm1EEEEviT0_T1_
		.amdhsa_group_segment_fixed_size 0
		.amdhsa_private_segment_fixed_size 0
		.amdhsa_kernarg_size 24
		.amdhsa_user_sgpr_count 6
		.amdhsa_user_sgpr_private_segment_buffer 1
		.amdhsa_user_sgpr_dispatch_ptr 0
		.amdhsa_user_sgpr_queue_ptr 0
		.amdhsa_user_sgpr_kernarg_segment_ptr 1
		.amdhsa_user_sgpr_dispatch_id 0
		.amdhsa_user_sgpr_flat_scratch_init 0
		.amdhsa_user_sgpr_private_segment_size 0
		.amdhsa_uses_dynamic_stack 0
		.amdhsa_system_sgpr_private_segment_wavefront_offset 0
		.amdhsa_system_sgpr_workgroup_id_x 1
		.amdhsa_system_sgpr_workgroup_id_y 0
		.amdhsa_system_sgpr_workgroup_id_z 0
		.amdhsa_system_sgpr_workgroup_info 0
		.amdhsa_system_vgpr_workitem_id 0
		.amdhsa_next_free_vgpr 12
		.amdhsa_next_free_sgpr 16
		.amdhsa_reserve_vcc 1
		.amdhsa_reserve_flat_scratch 0
		.amdhsa_float_round_mode_32 0
		.amdhsa_float_round_mode_16_64 0
		.amdhsa_float_denorm_mode_32 3
		.amdhsa_float_denorm_mode_16_64 3
		.amdhsa_dx10_clamp 1
		.amdhsa_ieee_mode 1
		.amdhsa_fp16_overflow 0
		.amdhsa_exception_fp_ieee_invalid_op 0
		.amdhsa_exception_fp_denorm_src 0
		.amdhsa_exception_fp_ieee_div_zero 0
		.amdhsa_exception_fp_ieee_overflow 0
		.amdhsa_exception_fp_ieee_underflow 0
		.amdhsa_exception_fp_ieee_inexact 0
		.amdhsa_exception_int_div_zero 0
	.end_amdhsa_kernel
	.section	.text._ZN2at6native29vectorized_elementwise_kernelILi16ENS0_11FillFunctorIlEESt5arrayIPcLm1EEEEviT0_T1_,"axG",@progbits,_ZN2at6native29vectorized_elementwise_kernelILi16ENS0_11FillFunctorIlEESt5arrayIPcLm1EEEEviT0_T1_,comdat
.Lfunc_end24:
	.size	_ZN2at6native29vectorized_elementwise_kernelILi16ENS0_11FillFunctorIlEESt5arrayIPcLm1EEEEviT0_T1_, .Lfunc_end24-_ZN2at6native29vectorized_elementwise_kernelILi16ENS0_11FillFunctorIlEESt5arrayIPcLm1EEEEviT0_T1_
                                        ; -- End function
	.set _ZN2at6native29vectorized_elementwise_kernelILi16ENS0_11FillFunctorIlEESt5arrayIPcLm1EEEEviT0_T1_.num_vgpr, 12
	.set _ZN2at6native29vectorized_elementwise_kernelILi16ENS0_11FillFunctorIlEESt5arrayIPcLm1EEEEviT0_T1_.num_agpr, 0
	.set _ZN2at6native29vectorized_elementwise_kernelILi16ENS0_11FillFunctorIlEESt5arrayIPcLm1EEEEviT0_T1_.numbered_sgpr, 16
	.set _ZN2at6native29vectorized_elementwise_kernelILi16ENS0_11FillFunctorIlEESt5arrayIPcLm1EEEEviT0_T1_.num_named_barrier, 0
	.set _ZN2at6native29vectorized_elementwise_kernelILi16ENS0_11FillFunctorIlEESt5arrayIPcLm1EEEEviT0_T1_.private_seg_size, 0
	.set _ZN2at6native29vectorized_elementwise_kernelILi16ENS0_11FillFunctorIlEESt5arrayIPcLm1EEEEviT0_T1_.uses_vcc, 1
	.set _ZN2at6native29vectorized_elementwise_kernelILi16ENS0_11FillFunctorIlEESt5arrayIPcLm1EEEEviT0_T1_.uses_flat_scratch, 0
	.set _ZN2at6native29vectorized_elementwise_kernelILi16ENS0_11FillFunctorIlEESt5arrayIPcLm1EEEEviT0_T1_.has_dyn_sized_stack, 0
	.set _ZN2at6native29vectorized_elementwise_kernelILi16ENS0_11FillFunctorIlEESt5arrayIPcLm1EEEEviT0_T1_.has_recursion, 0
	.set _ZN2at6native29vectorized_elementwise_kernelILi16ENS0_11FillFunctorIlEESt5arrayIPcLm1EEEEviT0_T1_.has_indirect_call, 0
	.section	.AMDGPU.csdata,"",@progbits
; Kernel info:
; codeLenInByte = 512
; TotalNumSgprs: 20
; NumVgprs: 12
; ScratchSize: 0
; MemoryBound: 0
; FloatMode: 240
; IeeeMode: 1
; LDSByteSize: 0 bytes/workgroup (compile time only)
; SGPRBlocks: 2
; VGPRBlocks: 2
; NumSGPRsForWavesPerEU: 20
; NumVGPRsForWavesPerEU: 12
; Occupancy: 10
; WaveLimiterHint : 0
; COMPUTE_PGM_RSRC2:SCRATCH_EN: 0
; COMPUTE_PGM_RSRC2:USER_SGPR: 6
; COMPUTE_PGM_RSRC2:TRAP_HANDLER: 0
; COMPUTE_PGM_RSRC2:TGID_X_EN: 1
; COMPUTE_PGM_RSRC2:TGID_Y_EN: 0
; COMPUTE_PGM_RSRC2:TGID_Z_EN: 0
; COMPUTE_PGM_RSRC2:TIDIG_COMP_CNT: 0
	.section	.text._ZN2at6native29vectorized_elementwise_kernelILi8ENS0_11FillFunctorIlEESt5arrayIPcLm1EEEEviT0_T1_,"axG",@progbits,_ZN2at6native29vectorized_elementwise_kernelILi8ENS0_11FillFunctorIlEESt5arrayIPcLm1EEEEviT0_T1_,comdat
	.protected	_ZN2at6native29vectorized_elementwise_kernelILi8ENS0_11FillFunctorIlEESt5arrayIPcLm1EEEEviT0_T1_ ; -- Begin function _ZN2at6native29vectorized_elementwise_kernelILi8ENS0_11FillFunctorIlEESt5arrayIPcLm1EEEEviT0_T1_
	.globl	_ZN2at6native29vectorized_elementwise_kernelILi8ENS0_11FillFunctorIlEESt5arrayIPcLm1EEEEviT0_T1_
	.p2align	8
	.type	_ZN2at6native29vectorized_elementwise_kernelILi8ENS0_11FillFunctorIlEESt5arrayIPcLm1EEEEviT0_T1_,@function
_ZN2at6native29vectorized_elementwise_kernelILi8ENS0_11FillFunctorIlEESt5arrayIPcLm1EEEEviT0_T1_: ; @_ZN2at6native29vectorized_elementwise_kernelILi8ENS0_11FillFunctorIlEESt5arrayIPcLm1EEEEviT0_T1_
; %bb.0:
	s_load_dword s7, s[4:5], 0x0
	s_load_dwordx4 s[0:3], s[4:5], 0x8
	s_lshl_b32 s4, s6, 10
	s_waitcnt lgkmcnt(0)
	s_sub_i32 s8, s7, s4
	s_cmpk_gt_i32 s8, 0x3ff
	s_mov_b64 s[6:7], -1
	s_cbranch_scc0 .LBB25_2
; %bb.1:
	s_ashr_i32 s5, s4, 31
	s_lshl_b64 s[6:7], s[4:5], 3
	s_mov_b32 s12, s0
	s_add_u32 s6, s2, s6
	s_mov_b32 s13, s1
	s_mov_b32 s14, s0
	;; [unrolled: 1-line block ×3, first 2 shown]
	v_mov_b32_e32 v1, s12
	s_addc_u32 s7, s3, s7
	v_lshlrev_b32_e32 v5, 5, v0
	v_mov_b32_e32 v2, s13
	v_mov_b32_e32 v3, s14
	;; [unrolled: 1-line block ×3, first 2 shown]
	global_store_dwordx4 v5, v[1:4], s[6:7]
	global_store_dwordx4 v5, v[1:4], s[6:7] offset:16
	s_mov_b64 s[6:7], 0
.LBB25_2:
	s_andn2_b64 vcc, exec, s[6:7]
	s_cbranch_vccnz .LBB25_8
; %bb.3:
	v_or_b32_e32 v9, 0x100, v0
	v_mov_b32_e32 v1, s1
	v_mov_b32_e32 v10, s0
	v_cmp_gt_i32_e64 s[0:1], s8, v9
	v_or_b32_e32 v2, 0x200, v0
	v_cndmask_b32_e64 v6, 0, v1, s[0:1]
	v_cndmask_b32_e64 v5, 0, v10, s[0:1]
	v_cmp_gt_i32_e64 s[0:1], s8, v2
	v_or_b32_e32 v2, 0x300, v0
	v_cmp_gt_i32_e32 vcc, s8, v0
	v_cndmask_b32_e64 v4, 0, v1, s[0:1]
	v_cndmask_b32_e64 v3, 0, v10, s[0:1]
	v_cmp_gt_i32_e64 s[0:1], s8, v2
	v_cndmask_b32_e32 v8, 0, v1, vcc
	v_cndmask_b32_e32 v7, 0, v10, vcc
	v_cndmask_b32_e64 v2, 0, v1, s[0:1]
	v_cndmask_b32_e64 v1, 0, v10, s[0:1]
	s_and_saveexec_b64 s[0:1], vcc
	s_cbranch_execnz .LBB25_9
; %bb.4:
	s_or_b64 exec, exec, s[0:1]
	v_cmp_gt_i32_e32 vcc, s8, v0
	s_and_saveexec_b64 s[0:1], vcc
	s_cbranch_execnz .LBB25_10
.LBB25_5:
	s_or_b64 exec, exec, s[0:1]
	v_cmp_gt_i32_e32 vcc, s8, v0
	s_and_saveexec_b64 s[0:1], vcc
	s_cbranch_execnz .LBB25_11
.LBB25_6:
	s_or_b64 exec, exec, s[0:1]
	v_cmp_gt_i32_e32 vcc, s8, v0
	s_and_saveexec_b64 s[0:1], vcc
	s_cbranch_execz .LBB25_8
.LBB25_7:
	v_add_u32_e32 v3, s4, v0
	v_mov_b32_e32 v4, 0
	v_lshlrev_b64 v[3:4], 3, v[3:4]
	v_mov_b32_e32 v0, s3
	v_add_co_u32_e32 v3, vcc, s2, v3
	v_addc_co_u32_e32 v4, vcc, v0, v4, vcc
	global_store_dwordx2 v[3:4], v[1:2], off
.LBB25_8:
	s_endpgm
.LBB25_9:
	v_or_b32_e32 v10, s4, v0
	v_mov_b32_e32 v11, 0
	v_lshlrev_b64 v[10:11], 3, v[10:11]
	v_mov_b32_e32 v0, s3
	v_add_co_u32_e32 v10, vcc, s2, v10
	v_addc_co_u32_e32 v11, vcc, v0, v11, vcc
	v_mov_b32_e32 v0, v9
	global_store_dwordx2 v[10:11], v[7:8], off
	s_or_b64 exec, exec, s[0:1]
	v_cmp_gt_i32_e32 vcc, s8, v0
	s_and_saveexec_b64 s[0:1], vcc
	s_cbranch_execz .LBB25_5
.LBB25_10:
	v_add_u32_e32 v7, s4, v0
	v_mov_b32_e32 v8, 0
	v_lshlrev_b64 v[7:8], 3, v[7:8]
	v_mov_b32_e32 v9, s3
	v_add_co_u32_e32 v7, vcc, s2, v7
	v_addc_co_u32_e32 v8, vcc, v9, v8, vcc
	v_add_u32_e32 v0, 0x100, v0
	global_store_dwordx2 v[7:8], v[5:6], off
	s_or_b64 exec, exec, s[0:1]
	v_cmp_gt_i32_e32 vcc, s8, v0
	s_and_saveexec_b64 s[0:1], vcc
	s_cbranch_execz .LBB25_6
.LBB25_11:
	v_add_u32_e32 v5, s4, v0
	v_mov_b32_e32 v6, 0
	v_lshlrev_b64 v[5:6], 3, v[5:6]
	v_mov_b32_e32 v7, s3
	v_add_co_u32_e32 v5, vcc, s2, v5
	v_addc_co_u32_e32 v6, vcc, v7, v6, vcc
	v_add_u32_e32 v0, 0x100, v0
	global_store_dwordx2 v[5:6], v[3:4], off
	s_or_b64 exec, exec, s[0:1]
	v_cmp_gt_i32_e32 vcc, s8, v0
	s_and_saveexec_b64 s[0:1], vcc
	s_cbranch_execnz .LBB25_7
	s_branch .LBB25_8
	.section	.rodata,"a",@progbits
	.p2align	6, 0x0
	.amdhsa_kernel _ZN2at6native29vectorized_elementwise_kernelILi8ENS0_11FillFunctorIlEESt5arrayIPcLm1EEEEviT0_T1_
		.amdhsa_group_segment_fixed_size 0
		.amdhsa_private_segment_fixed_size 0
		.amdhsa_kernarg_size 24
		.amdhsa_user_sgpr_count 6
		.amdhsa_user_sgpr_private_segment_buffer 1
		.amdhsa_user_sgpr_dispatch_ptr 0
		.amdhsa_user_sgpr_queue_ptr 0
		.amdhsa_user_sgpr_kernarg_segment_ptr 1
		.amdhsa_user_sgpr_dispatch_id 0
		.amdhsa_user_sgpr_flat_scratch_init 0
		.amdhsa_user_sgpr_private_segment_size 0
		.amdhsa_uses_dynamic_stack 0
		.amdhsa_system_sgpr_private_segment_wavefront_offset 0
		.amdhsa_system_sgpr_workgroup_id_x 1
		.amdhsa_system_sgpr_workgroup_id_y 0
		.amdhsa_system_sgpr_workgroup_id_z 0
		.amdhsa_system_sgpr_workgroup_info 0
		.amdhsa_system_vgpr_workitem_id 0
		.amdhsa_next_free_vgpr 12
		.amdhsa_next_free_sgpr 16
		.amdhsa_reserve_vcc 1
		.amdhsa_reserve_flat_scratch 0
		.amdhsa_float_round_mode_32 0
		.amdhsa_float_round_mode_16_64 0
		.amdhsa_float_denorm_mode_32 3
		.amdhsa_float_denorm_mode_16_64 3
		.amdhsa_dx10_clamp 1
		.amdhsa_ieee_mode 1
		.amdhsa_fp16_overflow 0
		.amdhsa_exception_fp_ieee_invalid_op 0
		.amdhsa_exception_fp_denorm_src 0
		.amdhsa_exception_fp_ieee_div_zero 0
		.amdhsa_exception_fp_ieee_overflow 0
		.amdhsa_exception_fp_ieee_underflow 0
		.amdhsa_exception_fp_ieee_inexact 0
		.amdhsa_exception_int_div_zero 0
	.end_amdhsa_kernel
	.section	.text._ZN2at6native29vectorized_elementwise_kernelILi8ENS0_11FillFunctorIlEESt5arrayIPcLm1EEEEviT0_T1_,"axG",@progbits,_ZN2at6native29vectorized_elementwise_kernelILi8ENS0_11FillFunctorIlEESt5arrayIPcLm1EEEEviT0_T1_,comdat
.Lfunc_end25:
	.size	_ZN2at6native29vectorized_elementwise_kernelILi8ENS0_11FillFunctorIlEESt5arrayIPcLm1EEEEviT0_T1_, .Lfunc_end25-_ZN2at6native29vectorized_elementwise_kernelILi8ENS0_11FillFunctorIlEESt5arrayIPcLm1EEEEviT0_T1_
                                        ; -- End function
	.set _ZN2at6native29vectorized_elementwise_kernelILi8ENS0_11FillFunctorIlEESt5arrayIPcLm1EEEEviT0_T1_.num_vgpr, 12
	.set _ZN2at6native29vectorized_elementwise_kernelILi8ENS0_11FillFunctorIlEESt5arrayIPcLm1EEEEviT0_T1_.num_agpr, 0
	.set _ZN2at6native29vectorized_elementwise_kernelILi8ENS0_11FillFunctorIlEESt5arrayIPcLm1EEEEviT0_T1_.numbered_sgpr, 16
	.set _ZN2at6native29vectorized_elementwise_kernelILi8ENS0_11FillFunctorIlEESt5arrayIPcLm1EEEEviT0_T1_.num_named_barrier, 0
	.set _ZN2at6native29vectorized_elementwise_kernelILi8ENS0_11FillFunctorIlEESt5arrayIPcLm1EEEEviT0_T1_.private_seg_size, 0
	.set _ZN2at6native29vectorized_elementwise_kernelILi8ENS0_11FillFunctorIlEESt5arrayIPcLm1EEEEviT0_T1_.uses_vcc, 1
	.set _ZN2at6native29vectorized_elementwise_kernelILi8ENS0_11FillFunctorIlEESt5arrayIPcLm1EEEEviT0_T1_.uses_flat_scratch, 0
	.set _ZN2at6native29vectorized_elementwise_kernelILi8ENS0_11FillFunctorIlEESt5arrayIPcLm1EEEEviT0_T1_.has_dyn_sized_stack, 0
	.set _ZN2at6native29vectorized_elementwise_kernelILi8ENS0_11FillFunctorIlEESt5arrayIPcLm1EEEEviT0_T1_.has_recursion, 0
	.set _ZN2at6native29vectorized_elementwise_kernelILi8ENS0_11FillFunctorIlEESt5arrayIPcLm1EEEEviT0_T1_.has_indirect_call, 0
	.section	.AMDGPU.csdata,"",@progbits
; Kernel info:
; codeLenInByte = 512
; TotalNumSgprs: 20
; NumVgprs: 12
; ScratchSize: 0
; MemoryBound: 0
; FloatMode: 240
; IeeeMode: 1
; LDSByteSize: 0 bytes/workgroup (compile time only)
; SGPRBlocks: 2
; VGPRBlocks: 2
; NumSGPRsForWavesPerEU: 20
; NumVGPRsForWavesPerEU: 12
; Occupancy: 10
; WaveLimiterHint : 0
; COMPUTE_PGM_RSRC2:SCRATCH_EN: 0
; COMPUTE_PGM_RSRC2:USER_SGPR: 6
; COMPUTE_PGM_RSRC2:TRAP_HANDLER: 0
; COMPUTE_PGM_RSRC2:TGID_X_EN: 1
; COMPUTE_PGM_RSRC2:TGID_Y_EN: 0
; COMPUTE_PGM_RSRC2:TGID_Z_EN: 0
; COMPUTE_PGM_RSRC2:TIDIG_COMP_CNT: 0
	.section	.text._ZN2at6native29vectorized_elementwise_kernelILi4ENS0_11FillFunctorIlEESt5arrayIPcLm1EEEEviT0_T1_,"axG",@progbits,_ZN2at6native29vectorized_elementwise_kernelILi4ENS0_11FillFunctorIlEESt5arrayIPcLm1EEEEviT0_T1_,comdat
	.protected	_ZN2at6native29vectorized_elementwise_kernelILi4ENS0_11FillFunctorIlEESt5arrayIPcLm1EEEEviT0_T1_ ; -- Begin function _ZN2at6native29vectorized_elementwise_kernelILi4ENS0_11FillFunctorIlEESt5arrayIPcLm1EEEEviT0_T1_
	.globl	_ZN2at6native29vectorized_elementwise_kernelILi4ENS0_11FillFunctorIlEESt5arrayIPcLm1EEEEviT0_T1_
	.p2align	8
	.type	_ZN2at6native29vectorized_elementwise_kernelILi4ENS0_11FillFunctorIlEESt5arrayIPcLm1EEEEviT0_T1_,@function
_ZN2at6native29vectorized_elementwise_kernelILi4ENS0_11FillFunctorIlEESt5arrayIPcLm1EEEEviT0_T1_: ; @_ZN2at6native29vectorized_elementwise_kernelILi4ENS0_11FillFunctorIlEESt5arrayIPcLm1EEEEviT0_T1_
; %bb.0:
	s_load_dword s7, s[4:5], 0x0
	s_load_dwordx4 s[0:3], s[4:5], 0x8
	s_lshl_b32 s4, s6, 10
	s_waitcnt lgkmcnt(0)
	s_sub_i32 s8, s7, s4
	s_cmpk_gt_i32 s8, 0x3ff
	s_mov_b64 s[6:7], -1
	s_cbranch_scc0 .LBB26_2
; %bb.1:
	s_ashr_i32 s5, s4, 31
	s_lshl_b64 s[6:7], s[4:5], 3
	s_mov_b32 s12, s0
	s_add_u32 s6, s2, s6
	s_mov_b32 s13, s1
	s_mov_b32 s14, s0
	;; [unrolled: 1-line block ×3, first 2 shown]
	v_mov_b32_e32 v1, s12
	s_addc_u32 s7, s3, s7
	v_lshlrev_b32_e32 v5, 5, v0
	v_mov_b32_e32 v2, s13
	v_mov_b32_e32 v3, s14
	;; [unrolled: 1-line block ×3, first 2 shown]
	global_store_dwordx4 v5, v[1:4], s[6:7]
	global_store_dwordx4 v5, v[1:4], s[6:7] offset:16
	s_mov_b64 s[6:7], 0
.LBB26_2:
	s_andn2_b64 vcc, exec, s[6:7]
	s_cbranch_vccnz .LBB26_8
; %bb.3:
	v_or_b32_e32 v9, 0x100, v0
	v_mov_b32_e32 v1, s1
	v_mov_b32_e32 v10, s0
	v_cmp_gt_i32_e64 s[0:1], s8, v9
	v_or_b32_e32 v2, 0x200, v0
	v_cndmask_b32_e64 v6, 0, v1, s[0:1]
	v_cndmask_b32_e64 v5, 0, v10, s[0:1]
	v_cmp_gt_i32_e64 s[0:1], s8, v2
	v_or_b32_e32 v2, 0x300, v0
	v_cmp_gt_i32_e32 vcc, s8, v0
	v_cndmask_b32_e64 v4, 0, v1, s[0:1]
	v_cndmask_b32_e64 v3, 0, v10, s[0:1]
	v_cmp_gt_i32_e64 s[0:1], s8, v2
	v_cndmask_b32_e32 v8, 0, v1, vcc
	v_cndmask_b32_e32 v7, 0, v10, vcc
	v_cndmask_b32_e64 v2, 0, v1, s[0:1]
	v_cndmask_b32_e64 v1, 0, v10, s[0:1]
	s_and_saveexec_b64 s[0:1], vcc
	s_cbranch_execnz .LBB26_9
; %bb.4:
	s_or_b64 exec, exec, s[0:1]
	v_cmp_gt_i32_e32 vcc, s8, v0
	s_and_saveexec_b64 s[0:1], vcc
	s_cbranch_execnz .LBB26_10
.LBB26_5:
	s_or_b64 exec, exec, s[0:1]
	v_cmp_gt_i32_e32 vcc, s8, v0
	s_and_saveexec_b64 s[0:1], vcc
	s_cbranch_execnz .LBB26_11
.LBB26_6:
	s_or_b64 exec, exec, s[0:1]
	v_cmp_gt_i32_e32 vcc, s8, v0
	s_and_saveexec_b64 s[0:1], vcc
	s_cbranch_execz .LBB26_8
.LBB26_7:
	v_add_u32_e32 v3, s4, v0
	v_mov_b32_e32 v4, 0
	v_lshlrev_b64 v[3:4], 3, v[3:4]
	v_mov_b32_e32 v0, s3
	v_add_co_u32_e32 v3, vcc, s2, v3
	v_addc_co_u32_e32 v4, vcc, v0, v4, vcc
	global_store_dwordx2 v[3:4], v[1:2], off
.LBB26_8:
	s_endpgm
.LBB26_9:
	v_or_b32_e32 v10, s4, v0
	v_mov_b32_e32 v11, 0
	v_lshlrev_b64 v[10:11], 3, v[10:11]
	v_mov_b32_e32 v0, s3
	v_add_co_u32_e32 v10, vcc, s2, v10
	v_addc_co_u32_e32 v11, vcc, v0, v11, vcc
	v_mov_b32_e32 v0, v9
	global_store_dwordx2 v[10:11], v[7:8], off
	s_or_b64 exec, exec, s[0:1]
	v_cmp_gt_i32_e32 vcc, s8, v0
	s_and_saveexec_b64 s[0:1], vcc
	s_cbranch_execz .LBB26_5
.LBB26_10:
	v_add_u32_e32 v7, s4, v0
	v_mov_b32_e32 v8, 0
	v_lshlrev_b64 v[7:8], 3, v[7:8]
	v_mov_b32_e32 v9, s3
	v_add_co_u32_e32 v7, vcc, s2, v7
	v_addc_co_u32_e32 v8, vcc, v9, v8, vcc
	v_add_u32_e32 v0, 0x100, v0
	global_store_dwordx2 v[7:8], v[5:6], off
	s_or_b64 exec, exec, s[0:1]
	v_cmp_gt_i32_e32 vcc, s8, v0
	s_and_saveexec_b64 s[0:1], vcc
	s_cbranch_execz .LBB26_6
.LBB26_11:
	v_add_u32_e32 v5, s4, v0
	v_mov_b32_e32 v6, 0
	v_lshlrev_b64 v[5:6], 3, v[5:6]
	v_mov_b32_e32 v7, s3
	v_add_co_u32_e32 v5, vcc, s2, v5
	v_addc_co_u32_e32 v6, vcc, v7, v6, vcc
	v_add_u32_e32 v0, 0x100, v0
	global_store_dwordx2 v[5:6], v[3:4], off
	s_or_b64 exec, exec, s[0:1]
	v_cmp_gt_i32_e32 vcc, s8, v0
	s_and_saveexec_b64 s[0:1], vcc
	s_cbranch_execnz .LBB26_7
	s_branch .LBB26_8
	.section	.rodata,"a",@progbits
	.p2align	6, 0x0
	.amdhsa_kernel _ZN2at6native29vectorized_elementwise_kernelILi4ENS0_11FillFunctorIlEESt5arrayIPcLm1EEEEviT0_T1_
		.amdhsa_group_segment_fixed_size 0
		.amdhsa_private_segment_fixed_size 0
		.amdhsa_kernarg_size 24
		.amdhsa_user_sgpr_count 6
		.amdhsa_user_sgpr_private_segment_buffer 1
		.amdhsa_user_sgpr_dispatch_ptr 0
		.amdhsa_user_sgpr_queue_ptr 0
		.amdhsa_user_sgpr_kernarg_segment_ptr 1
		.amdhsa_user_sgpr_dispatch_id 0
		.amdhsa_user_sgpr_flat_scratch_init 0
		.amdhsa_user_sgpr_private_segment_size 0
		.amdhsa_uses_dynamic_stack 0
		.amdhsa_system_sgpr_private_segment_wavefront_offset 0
		.amdhsa_system_sgpr_workgroup_id_x 1
		.amdhsa_system_sgpr_workgroup_id_y 0
		.amdhsa_system_sgpr_workgroup_id_z 0
		.amdhsa_system_sgpr_workgroup_info 0
		.amdhsa_system_vgpr_workitem_id 0
		.amdhsa_next_free_vgpr 12
		.amdhsa_next_free_sgpr 16
		.amdhsa_reserve_vcc 1
		.amdhsa_reserve_flat_scratch 0
		.amdhsa_float_round_mode_32 0
		.amdhsa_float_round_mode_16_64 0
		.amdhsa_float_denorm_mode_32 3
		.amdhsa_float_denorm_mode_16_64 3
		.amdhsa_dx10_clamp 1
		.amdhsa_ieee_mode 1
		.amdhsa_fp16_overflow 0
		.amdhsa_exception_fp_ieee_invalid_op 0
		.amdhsa_exception_fp_denorm_src 0
		.amdhsa_exception_fp_ieee_div_zero 0
		.amdhsa_exception_fp_ieee_overflow 0
		.amdhsa_exception_fp_ieee_underflow 0
		.amdhsa_exception_fp_ieee_inexact 0
		.amdhsa_exception_int_div_zero 0
	.end_amdhsa_kernel
	.section	.text._ZN2at6native29vectorized_elementwise_kernelILi4ENS0_11FillFunctorIlEESt5arrayIPcLm1EEEEviT0_T1_,"axG",@progbits,_ZN2at6native29vectorized_elementwise_kernelILi4ENS0_11FillFunctorIlEESt5arrayIPcLm1EEEEviT0_T1_,comdat
.Lfunc_end26:
	.size	_ZN2at6native29vectorized_elementwise_kernelILi4ENS0_11FillFunctorIlEESt5arrayIPcLm1EEEEviT0_T1_, .Lfunc_end26-_ZN2at6native29vectorized_elementwise_kernelILi4ENS0_11FillFunctorIlEESt5arrayIPcLm1EEEEviT0_T1_
                                        ; -- End function
	.set _ZN2at6native29vectorized_elementwise_kernelILi4ENS0_11FillFunctorIlEESt5arrayIPcLm1EEEEviT0_T1_.num_vgpr, 12
	.set _ZN2at6native29vectorized_elementwise_kernelILi4ENS0_11FillFunctorIlEESt5arrayIPcLm1EEEEviT0_T1_.num_agpr, 0
	.set _ZN2at6native29vectorized_elementwise_kernelILi4ENS0_11FillFunctorIlEESt5arrayIPcLm1EEEEviT0_T1_.numbered_sgpr, 16
	.set _ZN2at6native29vectorized_elementwise_kernelILi4ENS0_11FillFunctorIlEESt5arrayIPcLm1EEEEviT0_T1_.num_named_barrier, 0
	.set _ZN2at6native29vectorized_elementwise_kernelILi4ENS0_11FillFunctorIlEESt5arrayIPcLm1EEEEviT0_T1_.private_seg_size, 0
	.set _ZN2at6native29vectorized_elementwise_kernelILi4ENS0_11FillFunctorIlEESt5arrayIPcLm1EEEEviT0_T1_.uses_vcc, 1
	.set _ZN2at6native29vectorized_elementwise_kernelILi4ENS0_11FillFunctorIlEESt5arrayIPcLm1EEEEviT0_T1_.uses_flat_scratch, 0
	.set _ZN2at6native29vectorized_elementwise_kernelILi4ENS0_11FillFunctorIlEESt5arrayIPcLm1EEEEviT0_T1_.has_dyn_sized_stack, 0
	.set _ZN2at6native29vectorized_elementwise_kernelILi4ENS0_11FillFunctorIlEESt5arrayIPcLm1EEEEviT0_T1_.has_recursion, 0
	.set _ZN2at6native29vectorized_elementwise_kernelILi4ENS0_11FillFunctorIlEESt5arrayIPcLm1EEEEviT0_T1_.has_indirect_call, 0
	.section	.AMDGPU.csdata,"",@progbits
; Kernel info:
; codeLenInByte = 512
; TotalNumSgprs: 20
; NumVgprs: 12
; ScratchSize: 0
; MemoryBound: 0
; FloatMode: 240
; IeeeMode: 1
; LDSByteSize: 0 bytes/workgroup (compile time only)
; SGPRBlocks: 2
; VGPRBlocks: 2
; NumSGPRsForWavesPerEU: 20
; NumVGPRsForWavesPerEU: 12
; Occupancy: 10
; WaveLimiterHint : 0
; COMPUTE_PGM_RSRC2:SCRATCH_EN: 0
; COMPUTE_PGM_RSRC2:USER_SGPR: 6
; COMPUTE_PGM_RSRC2:TRAP_HANDLER: 0
; COMPUTE_PGM_RSRC2:TGID_X_EN: 1
; COMPUTE_PGM_RSRC2:TGID_Y_EN: 0
; COMPUTE_PGM_RSRC2:TGID_Z_EN: 0
; COMPUTE_PGM_RSRC2:TIDIG_COMP_CNT: 0
	.section	.text._ZN2at6native29vectorized_elementwise_kernelILi2ENS0_11FillFunctorIlEESt5arrayIPcLm1EEEEviT0_T1_,"axG",@progbits,_ZN2at6native29vectorized_elementwise_kernelILi2ENS0_11FillFunctorIlEESt5arrayIPcLm1EEEEviT0_T1_,comdat
	.protected	_ZN2at6native29vectorized_elementwise_kernelILi2ENS0_11FillFunctorIlEESt5arrayIPcLm1EEEEviT0_T1_ ; -- Begin function _ZN2at6native29vectorized_elementwise_kernelILi2ENS0_11FillFunctorIlEESt5arrayIPcLm1EEEEviT0_T1_
	.globl	_ZN2at6native29vectorized_elementwise_kernelILi2ENS0_11FillFunctorIlEESt5arrayIPcLm1EEEEviT0_T1_
	.p2align	8
	.type	_ZN2at6native29vectorized_elementwise_kernelILi2ENS0_11FillFunctorIlEESt5arrayIPcLm1EEEEviT0_T1_,@function
_ZN2at6native29vectorized_elementwise_kernelILi2ENS0_11FillFunctorIlEESt5arrayIPcLm1EEEEviT0_T1_: ; @_ZN2at6native29vectorized_elementwise_kernelILi2ENS0_11FillFunctorIlEESt5arrayIPcLm1EEEEviT0_T1_
; %bb.0:
	s_load_dword s7, s[4:5], 0x0
	s_load_dwordx4 s[0:3], s[4:5], 0x8
	s_lshl_b32 s4, s6, 10
	s_waitcnt lgkmcnt(0)
	s_sub_i32 s8, s7, s4
	s_cmpk_gt_i32 s8, 0x3ff
	s_mov_b64 s[6:7], -1
	s_cbranch_scc0 .LBB27_2
; %bb.1:
	s_ashr_i32 s5, s4, 31
	s_lshl_b64 s[6:7], s[4:5], 3
	s_add_u32 s6, s2, s6
	s_addc_u32 s7, s3, s7
	v_lshlrev_b32_e32 v5, 4, v0
	v_mov_b32_e32 v1, s7
	v_add_co_u32_e32 v6, vcc, s6, v5
	s_mov_b32 s12, s0
	v_addc_co_u32_e32 v7, vcc, 0, v1, vcc
	s_mov_b32 s13, s1
	s_mov_b32 s14, s0
	;; [unrolled: 1-line block ×3, first 2 shown]
	v_mov_b32_e32 v1, s12
	v_mov_b32_e32 v2, s13
	;; [unrolled: 1-line block ×4, first 2 shown]
	global_store_dwordx4 v5, v[1:4], s[6:7]
	v_add_co_u32_e32 v5, vcc, 0x1000, v6
	v_addc_co_u32_e32 v6, vcc, 0, v7, vcc
	global_store_dwordx4 v[5:6], v[1:4], off
	s_mov_b64 s[6:7], 0
.LBB27_2:
	s_andn2_b64 vcc, exec, s[6:7]
	s_cbranch_vccnz .LBB27_8
; %bb.3:
	v_or_b32_e32 v9, 0x100, v0
	v_mov_b32_e32 v1, s1
	v_mov_b32_e32 v10, s0
	v_cmp_gt_i32_e64 s[0:1], s8, v9
	v_or_b32_e32 v2, 0x200, v0
	v_cndmask_b32_e64 v6, 0, v1, s[0:1]
	v_cndmask_b32_e64 v5, 0, v10, s[0:1]
	v_cmp_gt_i32_e64 s[0:1], s8, v2
	v_or_b32_e32 v2, 0x300, v0
	v_cmp_gt_i32_e32 vcc, s8, v0
	v_cndmask_b32_e64 v4, 0, v1, s[0:1]
	v_cndmask_b32_e64 v3, 0, v10, s[0:1]
	v_cmp_gt_i32_e64 s[0:1], s8, v2
	v_cndmask_b32_e32 v8, 0, v1, vcc
	v_cndmask_b32_e32 v7, 0, v10, vcc
	v_cndmask_b32_e64 v2, 0, v1, s[0:1]
	v_cndmask_b32_e64 v1, 0, v10, s[0:1]
	s_and_saveexec_b64 s[0:1], vcc
	s_cbranch_execnz .LBB27_9
; %bb.4:
	s_or_b64 exec, exec, s[0:1]
	v_cmp_gt_i32_e32 vcc, s8, v0
	s_and_saveexec_b64 s[0:1], vcc
	s_cbranch_execnz .LBB27_10
.LBB27_5:
	s_or_b64 exec, exec, s[0:1]
	v_cmp_gt_i32_e32 vcc, s8, v0
	s_and_saveexec_b64 s[0:1], vcc
	s_cbranch_execnz .LBB27_11
.LBB27_6:
	s_or_b64 exec, exec, s[0:1]
	v_cmp_gt_i32_e32 vcc, s8, v0
	s_and_saveexec_b64 s[0:1], vcc
	s_cbranch_execz .LBB27_8
.LBB27_7:
	v_add_u32_e32 v3, s4, v0
	v_mov_b32_e32 v4, 0
	v_lshlrev_b64 v[3:4], 3, v[3:4]
	v_mov_b32_e32 v0, s3
	v_add_co_u32_e32 v3, vcc, s2, v3
	v_addc_co_u32_e32 v4, vcc, v0, v4, vcc
	global_store_dwordx2 v[3:4], v[1:2], off
.LBB27_8:
	s_endpgm
.LBB27_9:
	v_or_b32_e32 v10, s4, v0
	v_mov_b32_e32 v11, 0
	v_lshlrev_b64 v[10:11], 3, v[10:11]
	v_mov_b32_e32 v0, s3
	v_add_co_u32_e32 v10, vcc, s2, v10
	v_addc_co_u32_e32 v11, vcc, v0, v11, vcc
	v_mov_b32_e32 v0, v9
	global_store_dwordx2 v[10:11], v[7:8], off
	s_or_b64 exec, exec, s[0:1]
	v_cmp_gt_i32_e32 vcc, s8, v0
	s_and_saveexec_b64 s[0:1], vcc
	s_cbranch_execz .LBB27_5
.LBB27_10:
	v_add_u32_e32 v7, s4, v0
	v_mov_b32_e32 v8, 0
	v_lshlrev_b64 v[7:8], 3, v[7:8]
	v_mov_b32_e32 v9, s3
	v_add_co_u32_e32 v7, vcc, s2, v7
	v_addc_co_u32_e32 v8, vcc, v9, v8, vcc
	v_add_u32_e32 v0, 0x100, v0
	global_store_dwordx2 v[7:8], v[5:6], off
	s_or_b64 exec, exec, s[0:1]
	v_cmp_gt_i32_e32 vcc, s8, v0
	s_and_saveexec_b64 s[0:1], vcc
	s_cbranch_execz .LBB27_6
.LBB27_11:
	v_add_u32_e32 v5, s4, v0
	v_mov_b32_e32 v6, 0
	v_lshlrev_b64 v[5:6], 3, v[5:6]
	v_mov_b32_e32 v7, s3
	v_add_co_u32_e32 v5, vcc, s2, v5
	v_addc_co_u32_e32 v6, vcc, v7, v6, vcc
	v_add_u32_e32 v0, 0x100, v0
	global_store_dwordx2 v[5:6], v[3:4], off
	s_or_b64 exec, exec, s[0:1]
	v_cmp_gt_i32_e32 vcc, s8, v0
	s_and_saveexec_b64 s[0:1], vcc
	s_cbranch_execnz .LBB27_7
	s_branch .LBB27_8
	.section	.rodata,"a",@progbits
	.p2align	6, 0x0
	.amdhsa_kernel _ZN2at6native29vectorized_elementwise_kernelILi2ENS0_11FillFunctorIlEESt5arrayIPcLm1EEEEviT0_T1_
		.amdhsa_group_segment_fixed_size 0
		.amdhsa_private_segment_fixed_size 0
		.amdhsa_kernarg_size 24
		.amdhsa_user_sgpr_count 6
		.amdhsa_user_sgpr_private_segment_buffer 1
		.amdhsa_user_sgpr_dispatch_ptr 0
		.amdhsa_user_sgpr_queue_ptr 0
		.amdhsa_user_sgpr_kernarg_segment_ptr 1
		.amdhsa_user_sgpr_dispatch_id 0
		.amdhsa_user_sgpr_flat_scratch_init 0
		.amdhsa_user_sgpr_private_segment_size 0
		.amdhsa_uses_dynamic_stack 0
		.amdhsa_system_sgpr_private_segment_wavefront_offset 0
		.amdhsa_system_sgpr_workgroup_id_x 1
		.amdhsa_system_sgpr_workgroup_id_y 0
		.amdhsa_system_sgpr_workgroup_id_z 0
		.amdhsa_system_sgpr_workgroup_info 0
		.amdhsa_system_vgpr_workitem_id 0
		.amdhsa_next_free_vgpr 12
		.amdhsa_next_free_sgpr 16
		.amdhsa_reserve_vcc 1
		.amdhsa_reserve_flat_scratch 0
		.amdhsa_float_round_mode_32 0
		.amdhsa_float_round_mode_16_64 0
		.amdhsa_float_denorm_mode_32 3
		.amdhsa_float_denorm_mode_16_64 3
		.amdhsa_dx10_clamp 1
		.amdhsa_ieee_mode 1
		.amdhsa_fp16_overflow 0
		.amdhsa_exception_fp_ieee_invalid_op 0
		.amdhsa_exception_fp_denorm_src 0
		.amdhsa_exception_fp_ieee_div_zero 0
		.amdhsa_exception_fp_ieee_overflow 0
		.amdhsa_exception_fp_ieee_underflow 0
		.amdhsa_exception_fp_ieee_inexact 0
		.amdhsa_exception_int_div_zero 0
	.end_amdhsa_kernel
	.section	.text._ZN2at6native29vectorized_elementwise_kernelILi2ENS0_11FillFunctorIlEESt5arrayIPcLm1EEEEviT0_T1_,"axG",@progbits,_ZN2at6native29vectorized_elementwise_kernelILi2ENS0_11FillFunctorIlEESt5arrayIPcLm1EEEEviT0_T1_,comdat
.Lfunc_end27:
	.size	_ZN2at6native29vectorized_elementwise_kernelILi2ENS0_11FillFunctorIlEESt5arrayIPcLm1EEEEviT0_T1_, .Lfunc_end27-_ZN2at6native29vectorized_elementwise_kernelILi2ENS0_11FillFunctorIlEESt5arrayIPcLm1EEEEviT0_T1_
                                        ; -- End function
	.set _ZN2at6native29vectorized_elementwise_kernelILi2ENS0_11FillFunctorIlEESt5arrayIPcLm1EEEEviT0_T1_.num_vgpr, 12
	.set _ZN2at6native29vectorized_elementwise_kernelILi2ENS0_11FillFunctorIlEESt5arrayIPcLm1EEEEviT0_T1_.num_agpr, 0
	.set _ZN2at6native29vectorized_elementwise_kernelILi2ENS0_11FillFunctorIlEESt5arrayIPcLm1EEEEviT0_T1_.numbered_sgpr, 16
	.set _ZN2at6native29vectorized_elementwise_kernelILi2ENS0_11FillFunctorIlEESt5arrayIPcLm1EEEEviT0_T1_.num_named_barrier, 0
	.set _ZN2at6native29vectorized_elementwise_kernelILi2ENS0_11FillFunctorIlEESt5arrayIPcLm1EEEEviT0_T1_.private_seg_size, 0
	.set _ZN2at6native29vectorized_elementwise_kernelILi2ENS0_11FillFunctorIlEESt5arrayIPcLm1EEEEviT0_T1_.uses_vcc, 1
	.set _ZN2at6native29vectorized_elementwise_kernelILi2ENS0_11FillFunctorIlEESt5arrayIPcLm1EEEEviT0_T1_.uses_flat_scratch, 0
	.set _ZN2at6native29vectorized_elementwise_kernelILi2ENS0_11FillFunctorIlEESt5arrayIPcLm1EEEEviT0_T1_.has_dyn_sized_stack, 0
	.set _ZN2at6native29vectorized_elementwise_kernelILi2ENS0_11FillFunctorIlEESt5arrayIPcLm1EEEEviT0_T1_.has_recursion, 0
	.set _ZN2at6native29vectorized_elementwise_kernelILi2ENS0_11FillFunctorIlEESt5arrayIPcLm1EEEEviT0_T1_.has_indirect_call, 0
	.section	.AMDGPU.csdata,"",@progbits
; Kernel info:
; codeLenInByte = 536
; TotalNumSgprs: 20
; NumVgprs: 12
; ScratchSize: 0
; MemoryBound: 0
; FloatMode: 240
; IeeeMode: 1
; LDSByteSize: 0 bytes/workgroup (compile time only)
; SGPRBlocks: 2
; VGPRBlocks: 2
; NumSGPRsForWavesPerEU: 20
; NumVGPRsForWavesPerEU: 12
; Occupancy: 10
; WaveLimiterHint : 1
; COMPUTE_PGM_RSRC2:SCRATCH_EN: 0
; COMPUTE_PGM_RSRC2:USER_SGPR: 6
; COMPUTE_PGM_RSRC2:TRAP_HANDLER: 0
; COMPUTE_PGM_RSRC2:TGID_X_EN: 1
; COMPUTE_PGM_RSRC2:TGID_Y_EN: 0
; COMPUTE_PGM_RSRC2:TGID_Z_EN: 0
; COMPUTE_PGM_RSRC2:TIDIG_COMP_CNT: 0
	.section	.text._ZN2at6native27unrolled_elementwise_kernelINS0_11FillFunctorIlEESt5arrayIPcLm1EELi4E23TrivialOffsetCalculatorILi0EjES7_ILi1EjENS0_6memory15LoadWithoutCastENSA_16StoreWithoutCastEEEviT_T0_T2_T3_T4_T5_,"axG",@progbits,_ZN2at6native27unrolled_elementwise_kernelINS0_11FillFunctorIlEESt5arrayIPcLm1EELi4E23TrivialOffsetCalculatorILi0EjES7_ILi1EjENS0_6memory15LoadWithoutCastENSA_16StoreWithoutCastEEEviT_T0_T2_T3_T4_T5_,comdat
	.protected	_ZN2at6native27unrolled_elementwise_kernelINS0_11FillFunctorIlEESt5arrayIPcLm1EELi4E23TrivialOffsetCalculatorILi0EjES7_ILi1EjENS0_6memory15LoadWithoutCastENSA_16StoreWithoutCastEEEviT_T0_T2_T3_T4_T5_ ; -- Begin function _ZN2at6native27unrolled_elementwise_kernelINS0_11FillFunctorIlEESt5arrayIPcLm1EELi4E23TrivialOffsetCalculatorILi0EjES7_ILi1EjENS0_6memory15LoadWithoutCastENSA_16StoreWithoutCastEEEviT_T0_T2_T3_T4_T5_
	.globl	_ZN2at6native27unrolled_elementwise_kernelINS0_11FillFunctorIlEESt5arrayIPcLm1EELi4E23TrivialOffsetCalculatorILi0EjES7_ILi1EjENS0_6memory15LoadWithoutCastENSA_16StoreWithoutCastEEEviT_T0_T2_T3_T4_T5_
	.p2align	8
	.type	_ZN2at6native27unrolled_elementwise_kernelINS0_11FillFunctorIlEESt5arrayIPcLm1EELi4E23TrivialOffsetCalculatorILi0EjES7_ILi1EjENS0_6memory15LoadWithoutCastENSA_16StoreWithoutCastEEEviT_T0_T2_T3_T4_T5_,@function
_ZN2at6native27unrolled_elementwise_kernelINS0_11FillFunctorIlEESt5arrayIPcLm1EELi4E23TrivialOffsetCalculatorILi0EjES7_ILi1EjENS0_6memory15LoadWithoutCastENSA_16StoreWithoutCastEEEviT_T0_T2_T3_T4_T5_: ; @_ZN2at6native27unrolled_elementwise_kernelINS0_11FillFunctorIlEESt5arrayIPcLm1EELi4E23TrivialOffsetCalculatorILi0EjES7_ILi1EjENS0_6memory15LoadWithoutCastENSA_16StoreWithoutCastEEEviT_T0_T2_T3_T4_T5_
; %bb.0:
	s_load_dword s7, s[4:5], 0x0
	s_load_dwordx4 s[0:3], s[4:5], 0x8
	s_lshl_b32 s4, s6, 10
	v_or_b32_e32 v9, 0x100, v0
	v_or_b32_e32 v2, 0x200, v0
	s_waitcnt lgkmcnt(0)
	s_sub_i32 s5, s7, s4
	v_mov_b32_e32 v1, s1
	v_mov_b32_e32 v10, s0
	v_cmp_gt_i32_e64 s[0:1], s5, v9
	v_cndmask_b32_e64 v6, 0, v1, s[0:1]
	v_cndmask_b32_e64 v5, 0, v10, s[0:1]
	v_cmp_gt_i32_e64 s[0:1], s5, v2
	v_or_b32_e32 v2, 0x300, v0
	v_cmp_gt_i32_e32 vcc, s5, v0
	v_cndmask_b32_e64 v4, 0, v1, s[0:1]
	v_cndmask_b32_e64 v3, 0, v10, s[0:1]
	v_cmp_gt_i32_e64 s[0:1], s5, v2
	v_cndmask_b32_e32 v8, 0, v1, vcc
	v_cndmask_b32_e32 v7, 0, v10, vcc
	v_cndmask_b32_e64 v2, 0, v1, s[0:1]
	v_cndmask_b32_e64 v1, 0, v10, s[0:1]
	s_and_saveexec_b64 s[0:1], vcc
	s_cbranch_execnz .LBB28_5
; %bb.1:
	s_or_b64 exec, exec, s[0:1]
	v_cmp_gt_i32_e32 vcc, s5, v0
	s_and_saveexec_b64 s[0:1], vcc
	s_cbranch_execnz .LBB28_6
.LBB28_2:
	s_or_b64 exec, exec, s[0:1]
	v_cmp_gt_i32_e32 vcc, s5, v0
	s_and_saveexec_b64 s[0:1], vcc
	s_cbranch_execnz .LBB28_7
.LBB28_3:
	s_or_b64 exec, exec, s[0:1]
	v_cmp_gt_i32_e32 vcc, s5, v0
	s_and_saveexec_b64 s[0:1], vcc
	s_cbranch_execnz .LBB28_8
.LBB28_4:
	s_endpgm
.LBB28_5:
	v_or_b32_e32 v10, s4, v0
	v_mov_b32_e32 v11, 0
	v_lshlrev_b64 v[10:11], 3, v[10:11]
	v_mov_b32_e32 v0, s3
	v_add_co_u32_e32 v10, vcc, s2, v10
	v_addc_co_u32_e32 v11, vcc, v0, v11, vcc
	v_mov_b32_e32 v0, v9
	global_store_dwordx2 v[10:11], v[7:8], off
	s_or_b64 exec, exec, s[0:1]
	v_cmp_gt_i32_e32 vcc, s5, v0
	s_and_saveexec_b64 s[0:1], vcc
	s_cbranch_execz .LBB28_2
.LBB28_6:
	v_add_u32_e32 v7, s4, v0
	v_mov_b32_e32 v8, 0
	v_lshlrev_b64 v[7:8], 3, v[7:8]
	v_add_u32_e32 v9, 0x100, v0
	v_mov_b32_e32 v0, s3
	v_add_co_u32_e32 v7, vcc, s2, v7
	v_addc_co_u32_e32 v8, vcc, v0, v8, vcc
	v_mov_b32_e32 v0, v9
	global_store_dwordx2 v[7:8], v[5:6], off
	s_or_b64 exec, exec, s[0:1]
	v_cmp_gt_i32_e32 vcc, s5, v0
	s_and_saveexec_b64 s[0:1], vcc
	s_cbranch_execz .LBB28_3
.LBB28_7:
	v_add_u32_e32 v5, s4, v0
	v_mov_b32_e32 v6, 0
	v_lshlrev_b64 v[5:6], 3, v[5:6]
	v_add_u32_e32 v7, 0x100, v0
	v_mov_b32_e32 v0, s3
	v_add_co_u32_e32 v5, vcc, s2, v5
	v_addc_co_u32_e32 v6, vcc, v0, v6, vcc
	v_mov_b32_e32 v0, v7
	global_store_dwordx2 v[5:6], v[3:4], off
	s_or_b64 exec, exec, s[0:1]
	v_cmp_gt_i32_e32 vcc, s5, v0
	s_and_saveexec_b64 s[0:1], vcc
	s_cbranch_execz .LBB28_4
.LBB28_8:
	v_add_u32_e32 v3, s4, v0
	v_mov_b32_e32 v4, 0
	v_lshlrev_b64 v[3:4], 3, v[3:4]
	v_mov_b32_e32 v0, s3
	v_add_co_u32_e32 v3, vcc, s2, v3
	v_addc_co_u32_e32 v4, vcc, v0, v4, vcc
	global_store_dwordx2 v[3:4], v[1:2], off
	s_endpgm
	.section	.rodata,"a",@progbits
	.p2align	6, 0x0
	.amdhsa_kernel _ZN2at6native27unrolled_elementwise_kernelINS0_11FillFunctorIlEESt5arrayIPcLm1EELi4E23TrivialOffsetCalculatorILi0EjES7_ILi1EjENS0_6memory15LoadWithoutCastENSA_16StoreWithoutCastEEEviT_T0_T2_T3_T4_T5_
		.amdhsa_group_segment_fixed_size 0
		.amdhsa_private_segment_fixed_size 0
		.amdhsa_kernarg_size 28
		.amdhsa_user_sgpr_count 6
		.amdhsa_user_sgpr_private_segment_buffer 1
		.amdhsa_user_sgpr_dispatch_ptr 0
		.amdhsa_user_sgpr_queue_ptr 0
		.amdhsa_user_sgpr_kernarg_segment_ptr 1
		.amdhsa_user_sgpr_dispatch_id 0
		.amdhsa_user_sgpr_flat_scratch_init 0
		.amdhsa_user_sgpr_private_segment_size 0
		.amdhsa_uses_dynamic_stack 0
		.amdhsa_system_sgpr_private_segment_wavefront_offset 0
		.amdhsa_system_sgpr_workgroup_id_x 1
		.amdhsa_system_sgpr_workgroup_id_y 0
		.amdhsa_system_sgpr_workgroup_id_z 0
		.amdhsa_system_sgpr_workgroup_info 0
		.amdhsa_system_vgpr_workitem_id 0
		.amdhsa_next_free_vgpr 12
		.amdhsa_next_free_sgpr 8
		.amdhsa_reserve_vcc 1
		.amdhsa_reserve_flat_scratch 0
		.amdhsa_float_round_mode_32 0
		.amdhsa_float_round_mode_16_64 0
		.amdhsa_float_denorm_mode_32 3
		.amdhsa_float_denorm_mode_16_64 3
		.amdhsa_dx10_clamp 1
		.amdhsa_ieee_mode 1
		.amdhsa_fp16_overflow 0
		.amdhsa_exception_fp_ieee_invalid_op 0
		.amdhsa_exception_fp_denorm_src 0
		.amdhsa_exception_fp_ieee_div_zero 0
		.amdhsa_exception_fp_ieee_overflow 0
		.amdhsa_exception_fp_ieee_underflow 0
		.amdhsa_exception_fp_ieee_inexact 0
		.amdhsa_exception_int_div_zero 0
	.end_amdhsa_kernel
	.section	.text._ZN2at6native27unrolled_elementwise_kernelINS0_11FillFunctorIlEESt5arrayIPcLm1EELi4E23TrivialOffsetCalculatorILi0EjES7_ILi1EjENS0_6memory15LoadWithoutCastENSA_16StoreWithoutCastEEEviT_T0_T2_T3_T4_T5_,"axG",@progbits,_ZN2at6native27unrolled_elementwise_kernelINS0_11FillFunctorIlEESt5arrayIPcLm1EELi4E23TrivialOffsetCalculatorILi0EjES7_ILi1EjENS0_6memory15LoadWithoutCastENSA_16StoreWithoutCastEEEviT_T0_T2_T3_T4_T5_,comdat
.Lfunc_end28:
	.size	_ZN2at6native27unrolled_elementwise_kernelINS0_11FillFunctorIlEESt5arrayIPcLm1EELi4E23TrivialOffsetCalculatorILi0EjES7_ILi1EjENS0_6memory15LoadWithoutCastENSA_16StoreWithoutCastEEEviT_T0_T2_T3_T4_T5_, .Lfunc_end28-_ZN2at6native27unrolled_elementwise_kernelINS0_11FillFunctorIlEESt5arrayIPcLm1EELi4E23TrivialOffsetCalculatorILi0EjES7_ILi1EjENS0_6memory15LoadWithoutCastENSA_16StoreWithoutCastEEEviT_T0_T2_T3_T4_T5_
                                        ; -- End function
	.set _ZN2at6native27unrolled_elementwise_kernelINS0_11FillFunctorIlEESt5arrayIPcLm1EELi4E23TrivialOffsetCalculatorILi0EjES7_ILi1EjENS0_6memory15LoadWithoutCastENSA_16StoreWithoutCastEEEviT_T0_T2_T3_T4_T5_.num_vgpr, 12
	.set _ZN2at6native27unrolled_elementwise_kernelINS0_11FillFunctorIlEESt5arrayIPcLm1EELi4E23TrivialOffsetCalculatorILi0EjES7_ILi1EjENS0_6memory15LoadWithoutCastENSA_16StoreWithoutCastEEEviT_T0_T2_T3_T4_T5_.num_agpr, 0
	.set _ZN2at6native27unrolled_elementwise_kernelINS0_11FillFunctorIlEESt5arrayIPcLm1EELi4E23TrivialOffsetCalculatorILi0EjES7_ILi1EjENS0_6memory15LoadWithoutCastENSA_16StoreWithoutCastEEEviT_T0_T2_T3_T4_T5_.numbered_sgpr, 8
	.set _ZN2at6native27unrolled_elementwise_kernelINS0_11FillFunctorIlEESt5arrayIPcLm1EELi4E23TrivialOffsetCalculatorILi0EjES7_ILi1EjENS0_6memory15LoadWithoutCastENSA_16StoreWithoutCastEEEviT_T0_T2_T3_T4_T5_.num_named_barrier, 0
	.set _ZN2at6native27unrolled_elementwise_kernelINS0_11FillFunctorIlEESt5arrayIPcLm1EELi4E23TrivialOffsetCalculatorILi0EjES7_ILi1EjENS0_6memory15LoadWithoutCastENSA_16StoreWithoutCastEEEviT_T0_T2_T3_T4_T5_.private_seg_size, 0
	.set _ZN2at6native27unrolled_elementwise_kernelINS0_11FillFunctorIlEESt5arrayIPcLm1EELi4E23TrivialOffsetCalculatorILi0EjES7_ILi1EjENS0_6memory15LoadWithoutCastENSA_16StoreWithoutCastEEEviT_T0_T2_T3_T4_T5_.uses_vcc, 1
	.set _ZN2at6native27unrolled_elementwise_kernelINS0_11FillFunctorIlEESt5arrayIPcLm1EELi4E23TrivialOffsetCalculatorILi0EjES7_ILi1EjENS0_6memory15LoadWithoutCastENSA_16StoreWithoutCastEEEviT_T0_T2_T3_T4_T5_.uses_flat_scratch, 0
	.set _ZN2at6native27unrolled_elementwise_kernelINS0_11FillFunctorIlEESt5arrayIPcLm1EELi4E23TrivialOffsetCalculatorILi0EjES7_ILi1EjENS0_6memory15LoadWithoutCastENSA_16StoreWithoutCastEEEviT_T0_T2_T3_T4_T5_.has_dyn_sized_stack, 0
	.set _ZN2at6native27unrolled_elementwise_kernelINS0_11FillFunctorIlEESt5arrayIPcLm1EELi4E23TrivialOffsetCalculatorILi0EjES7_ILi1EjENS0_6memory15LoadWithoutCastENSA_16StoreWithoutCastEEEviT_T0_T2_T3_T4_T5_.has_recursion, 0
	.set _ZN2at6native27unrolled_elementwise_kernelINS0_11FillFunctorIlEESt5arrayIPcLm1EELi4E23TrivialOffsetCalculatorILi0EjES7_ILi1EjENS0_6memory15LoadWithoutCastENSA_16StoreWithoutCastEEEviT_T0_T2_T3_T4_T5_.has_indirect_call, 0
	.section	.AMDGPU.csdata,"",@progbits
; Kernel info:
; codeLenInByte = 428
; TotalNumSgprs: 12
; NumVgprs: 12
; ScratchSize: 0
; MemoryBound: 0
; FloatMode: 240
; IeeeMode: 1
; LDSByteSize: 0 bytes/workgroup (compile time only)
; SGPRBlocks: 1
; VGPRBlocks: 2
; NumSGPRsForWavesPerEU: 12
; NumVGPRsForWavesPerEU: 12
; Occupancy: 10
; WaveLimiterHint : 0
; COMPUTE_PGM_RSRC2:SCRATCH_EN: 0
; COMPUTE_PGM_RSRC2:USER_SGPR: 6
; COMPUTE_PGM_RSRC2:TRAP_HANDLER: 0
; COMPUTE_PGM_RSRC2:TGID_X_EN: 1
; COMPUTE_PGM_RSRC2:TGID_Y_EN: 0
; COMPUTE_PGM_RSRC2:TGID_Z_EN: 0
; COMPUTE_PGM_RSRC2:TIDIG_COMP_CNT: 0
	.section	.text._ZN2at6native32elementwise_kernel_manual_unrollILi128ELi4EZNS0_22gpu_kernel_impl_nocastINS0_11FillFunctorIlEEEEvRNS_18TensorIteratorBaseERKT_EUlibE_EEviT1_,"axG",@progbits,_ZN2at6native32elementwise_kernel_manual_unrollILi128ELi4EZNS0_22gpu_kernel_impl_nocastINS0_11FillFunctorIlEEEEvRNS_18TensorIteratorBaseERKT_EUlibE_EEviT1_,comdat
	.protected	_ZN2at6native32elementwise_kernel_manual_unrollILi128ELi4EZNS0_22gpu_kernel_impl_nocastINS0_11FillFunctorIlEEEEvRNS_18TensorIteratorBaseERKT_EUlibE_EEviT1_ ; -- Begin function _ZN2at6native32elementwise_kernel_manual_unrollILi128ELi4EZNS0_22gpu_kernel_impl_nocastINS0_11FillFunctorIlEEEEvRNS_18TensorIteratorBaseERKT_EUlibE_EEviT1_
	.globl	_ZN2at6native32elementwise_kernel_manual_unrollILi128ELi4EZNS0_22gpu_kernel_impl_nocastINS0_11FillFunctorIlEEEEvRNS_18TensorIteratorBaseERKT_EUlibE_EEviT1_
	.p2align	8
	.type	_ZN2at6native32elementwise_kernel_manual_unrollILi128ELi4EZNS0_22gpu_kernel_impl_nocastINS0_11FillFunctorIlEEEEvRNS_18TensorIteratorBaseERKT_EUlibE_EEviT1_,@function
_ZN2at6native32elementwise_kernel_manual_unrollILi128ELi4EZNS0_22gpu_kernel_impl_nocastINS0_11FillFunctorIlEEEEvRNS_18TensorIteratorBaseERKT_EUlibE_EEviT1_: ; @_ZN2at6native32elementwise_kernel_manual_unrollILi128ELi4EZNS0_22gpu_kernel_impl_nocastINS0_11FillFunctorIlEEEEvRNS_18TensorIteratorBaseERKT_EUlibE_EEviT1_
; %bb.0:
	s_load_dword s49, s[4:5], 0x0
	s_load_dword s33, s[4:5], 0x8
	s_add_u32 s24, s4, 8
	s_addc_u32 s25, s5, 0
	v_lshl_or_b32 v3, s6, 9, v0
	v_or_b32_e32 v5, 0x180, v3
	s_waitcnt lgkmcnt(0)
	s_add_i32 s48, s33, -1
	s_cmp_gt_u32 s48, 1
	v_cmp_le_i32_e32 vcc, s49, v5
	s_cselect_b64 s[26:27], -1, 0
	s_and_saveexec_b64 s[0:1], vcc
	s_xor_b64 s[28:29], exec, s[0:1]
	s_cbranch_execz .LBB29_7
; %bb.1:
	s_load_dwordx4 s[12:15], s[24:25], 0x4
	s_load_dwordx2 s[34:35], s[24:25], 0x14
	s_load_dwordx2 s[30:31], s[24:25], 0xc4
	s_load_dwordx4 s[8:11], s[24:25], 0x108
	s_cmp_lg_u32 s33, 0
	s_cselect_b64 s[40:41], -1, 0
	s_add_u32 s38, s24, 0xc4
	s_addc_u32 s39, s25, 0
	s_min_u32 s50, s48, 15
	s_cmp_gt_u32 s33, 1
	s_cselect_b64 s[36:37], -1, 0
	v_cmp_gt_i32_e32 vcc, s49, v3
	s_and_saveexec_b64 s[42:43], vcc
	s_cbranch_execz .LBB29_14
; %bb.2:
	s_andn2_b64 vcc, exec, s[26:27]
	s_cbranch_vccnz .LBB29_21
; %bb.3:
	s_andn2_b64 vcc, exec, s[40:41]
	s_cbranch_vccnz .LBB29_73
; %bb.4:
	s_add_i32 s52, s50, 1
	s_cmp_eq_u32 s48, 2
	s_cbranch_scc1 .LBB29_75
; %bb.5:
	s_and_b32 s51, s52, 28
	s_mov_b32 s53, 0
	v_mov_b32_e32 v0, 0
	s_mov_b64 s[44:45], s[24:25]
	s_mov_b64 s[46:47], s[38:39]
	v_mov_b32_e32 v1, v3
.LBB29_6:                               ; =>This Inner Loop Header: Depth=1
	s_load_dwordx8 s[0:7], s[44:45], 0x4
	s_load_dwordx4 s[16:19], s[44:45], 0x24
	s_load_dwordx4 s[20:23], s[46:47], 0x0
	s_add_u32 s44, s44, 48
	s_addc_u32 s45, s45, 0
	s_waitcnt lgkmcnt(0)
	v_mul_hi_u32 v2, s1, v1
	s_add_i32 s53, s53, 4
	s_add_u32 s46, s46, 16
	s_addc_u32 s47, s47, 0
	v_add_u32_e32 v2, v1, v2
	v_lshrrev_b32_e32 v2, s2, v2
	v_mul_lo_u32 v4, v2, s0
	v_mul_hi_u32 v5, s4, v2
	s_cmp_lg_u32 s51, s53
	v_sub_u32_e32 v1, v1, v4
	v_add_u32_e32 v4, v2, v5
	v_lshrrev_b32_e32 v4, s5, v4
	v_mul_lo_u32 v5, v1, s20
	v_mul_hi_u32 v1, s7, v4
	v_mul_lo_u32 v7, v4, s3
	v_add_u32_e32 v1, v4, v1
	v_lshrrev_b32_e32 v6, s16, v1
	v_mul_hi_u32 v1, s18, v6
	v_sub_u32_e32 v2, v2, v7
	v_mul_lo_u32 v7, v6, s6
	v_mul_lo_u32 v2, v2, s21
	v_add_u32_e32 v1, v6, v1
	v_lshrrev_b32_e32 v1, s19, v1
	v_mul_lo_u32 v8, v1, s17
	v_sub_u32_e32 v4, v4, v7
	v_mul_lo_u32 v4, v4, s22
	v_add3_u32 v0, v5, v0, v2
	v_sub_u32_e32 v6, v6, v8
	v_mul_lo_u32 v6, v6, s23
	v_add3_u32 v0, v4, v0, v6
	s_cbranch_scc1 .LBB29_6
	s_branch .LBB29_76
.LBB29_7:
	s_andn2_saveexec_b64 s[0:1], s[28:29]
	s_cbranch_execz .LBB29_101
.LBB29_8:
	v_cndmask_b32_e64 v0, 0, 1, s[26:27]
	v_cmp_ne_u32_e64 s[0:1], 1, v0
	s_andn2_b64 vcc, exec, s[26:27]
	s_cbranch_vccnz .LBB29_20
; %bb.9:
	s_cmp_lg_u32 s33, 0
	s_mov_b32 s22, 0
	s_cbranch_scc0 .LBB29_23
; %bb.10:
	s_min_u32 s23, s48, 15
	s_add_i32 s23, s23, 1
	s_cmp_eq_u32 s48, 2
	s_cbranch_scc1 .LBB29_24
; %bb.11:
	s_and_b32 s22, s23, 28
	s_add_u32 s2, s24, 0xc4
	s_addc_u32 s3, s25, 0
	s_mov_b32 s26, 0
	v_mov_b32_e32 v0, 0
	s_mov_b64 s[20:21], s[24:25]
	v_mov_b32_e32 v1, v3
.LBB29_12:                              ; =>This Inner Loop Header: Depth=1
	s_waitcnt lgkmcnt(0)
	s_load_dwordx8 s[4:11], s[20:21], 0x4
	s_load_dwordx4 s[12:15], s[20:21], 0x24
	s_load_dwordx4 s[16:19], s[2:3], 0x0
	s_add_u32 s20, s20, 48
	s_addc_u32 s21, s21, 0
	s_waitcnt lgkmcnt(0)
	v_mul_hi_u32 v2, s5, v1
	s_add_i32 s26, s26, 4
	s_add_u32 s2, s2, 16
	s_addc_u32 s3, s3, 0
	v_add_u32_e32 v2, v1, v2
	v_lshrrev_b32_e32 v2, s6, v2
	v_mul_lo_u32 v4, v2, s4
	v_mul_hi_u32 v6, s8, v2
	s_cmp_lg_u32 s22, s26
	v_sub_u32_e32 v1, v1, v4
	v_add_u32_e32 v4, v2, v6
	v_lshrrev_b32_e32 v4, s9, v4
	v_mul_lo_u32 v6, v1, s16
	v_mul_hi_u32 v1, s11, v4
	v_mul_lo_u32 v8, v4, s7
	v_add_u32_e32 v1, v4, v1
	v_lshrrev_b32_e32 v7, s12, v1
	v_mul_hi_u32 v1, s14, v7
	v_sub_u32_e32 v2, v2, v8
	v_mul_lo_u32 v8, v7, s10
	v_mul_lo_u32 v2, v2, s17
	v_add_u32_e32 v1, v7, v1
	v_lshrrev_b32_e32 v1, s15, v1
	v_mul_lo_u32 v9, v1, s13
	v_sub_u32_e32 v4, v4, v8
	v_mul_lo_u32 v4, v4, s18
	v_add3_u32 v0, v6, v0, v2
	v_sub_u32_e32 v7, v7, v9
	v_mul_lo_u32 v7, v7, s19
	v_add3_u32 v0, v4, v0, v7
	s_cbranch_scc1 .LBB29_12
; %bb.13:
	s_and_b32 s6, s23, 3
	s_cmp_eq_u32 s6, 0
	s_cbranch_scc0 .LBB29_25
	s_branch .LBB29_27
.LBB29_14:
	s_or_b64 exec, exec, s[42:43]
	v_cmp_gt_i32_e32 vcc, s49, v3
	s_and_saveexec_b64 s[42:43], vcc
	s_cbranch_execz .LBB29_83
.LBB29_15:
	s_andn2_b64 vcc, exec, s[26:27]
	s_cbranch_vccnz .LBB29_22
; %bb.16:
	s_andn2_b64 vcc, exec, s[40:41]
	s_cbranch_vccnz .LBB29_74
; %bb.17:
	s_add_i32 s52, s50, 1
	s_cmp_eq_u32 s48, 2
	s_cbranch_scc1 .LBB29_91
; %bb.18:
	s_and_b32 s51, s52, 28
	s_mov_b32 s53, 0
	v_mov_b32_e32 v0, 0
	s_mov_b64 s[44:45], s[24:25]
	s_mov_b64 s[46:47], s[38:39]
	v_mov_b32_e32 v1, v3
.LBB29_19:                              ; =>This Inner Loop Header: Depth=1
	s_load_dwordx8 s[0:7], s[44:45], 0x4
	s_load_dwordx4 s[16:19], s[44:45], 0x24
	s_load_dwordx4 s[20:23], s[46:47], 0x0
	s_add_u32 s44, s44, 48
	s_addc_u32 s45, s45, 0
	s_waitcnt lgkmcnt(0)
	v_mul_hi_u32 v2, s1, v1
	s_add_i32 s53, s53, 4
	s_add_u32 s46, s46, 16
	s_addc_u32 s47, s47, 0
	v_add_u32_e32 v2, v1, v2
	v_lshrrev_b32_e32 v2, s2, v2
	v_mul_lo_u32 v4, v2, s0
	v_mul_hi_u32 v5, s4, v2
	s_cmp_eq_u32 s51, s53
	v_sub_u32_e32 v1, v1, v4
	v_add_u32_e32 v4, v2, v5
	v_lshrrev_b32_e32 v4, s5, v4
	v_mul_lo_u32 v5, v1, s20
	v_mul_hi_u32 v1, s7, v4
	v_mul_lo_u32 v7, v4, s3
	v_add_u32_e32 v1, v4, v1
	v_lshrrev_b32_e32 v6, s16, v1
	v_mul_hi_u32 v1, s18, v6
	v_sub_u32_e32 v2, v2, v7
	v_mul_lo_u32 v7, v6, s6
	v_mul_lo_u32 v2, v2, s21
	v_add_u32_e32 v1, v6, v1
	v_lshrrev_b32_e32 v1, s19, v1
	v_mul_lo_u32 v8, v1, s17
	v_sub_u32_e32 v4, v4, v7
	v_mul_lo_u32 v4, v4, s22
	v_add3_u32 v0, v5, v0, v2
	v_sub_u32_e32 v6, v6, v8
	v_mul_lo_u32 v6, v6, s23
	v_add3_u32 v0, v4, v0, v6
	s_cbranch_scc0 .LBB29_19
	s_branch .LBB29_92
.LBB29_20:
                                        ; implicit-def: $vgpr0
	s_branch .LBB29_28
.LBB29_21:
                                        ; implicit-def: $vgpr0
	s_branch .LBB29_80
.LBB29_22:
                                        ; implicit-def: $vgpr0
	s_branch .LBB29_96
.LBB29_23:
	v_mov_b32_e32 v0, 0
	s_branch .LBB29_27
.LBB29_24:
	v_mov_b32_e32 v0, 0
	v_mov_b32_e32 v1, v3
	s_and_b32 s6, s23, 3
	s_cmp_eq_u32 s6, 0
	s_cbranch_scc1 .LBB29_27
.LBB29_25:
	s_lshl_b32 s2, s22, 2
	s_add_u32 s2, s24, s2
	s_addc_u32 s3, s25, 0
	s_add_u32 s2, s2, 0xc4
	s_addc_u32 s3, s3, 0
	s_mul_i32 s4, s22, 12
	s_add_u32 s4, s24, s4
	s_addc_u32 s5, s25, 0
.LBB29_26:                              ; =>This Inner Loop Header: Depth=1
	s_waitcnt lgkmcnt(0)
	s_load_dwordx2 s[8:9], s[4:5], 0x4
	s_load_dword s7, s[4:5], 0xc
	s_add_u32 s4, s4, 12
	s_addc_u32 s5, s5, 0
	s_waitcnt lgkmcnt(0)
	v_mul_hi_u32 v2, s9, v1
	s_load_dword s9, s[2:3], 0x0
	s_add_u32 s2, s2, 4
	s_addc_u32 s3, s3, 0
	v_add_u32_e32 v2, v1, v2
	v_lshrrev_b32_e32 v2, s7, v2
	v_mul_lo_u32 v4, v2, s8
	s_add_i32 s6, s6, -1
	s_cmp_lg_u32 s6, 0
	v_sub_u32_e32 v1, v1, v4
	s_waitcnt lgkmcnt(0)
	v_mad_u64_u32 v[0:1], s[8:9], v1, s9, v[0:1]
	v_mov_b32_e32 v1, v2
	s_cbranch_scc1 .LBB29_26
.LBB29_27:
	s_cbranch_execnz .LBB29_30
.LBB29_28:
	s_load_dwordx4 s[4:7], s[24:25], 0x4
	s_load_dword s2, s[24:25], 0xc4
	s_cmp_lt_u32 s33, 2
	s_waitcnt lgkmcnt(0)
	v_mul_hi_u32 v0, s5, v3
	v_add_u32_e32 v0, v3, v0
	v_lshrrev_b32_e32 v1, s6, v0
	v_mul_lo_u32 v0, v1, s4
	v_sub_u32_e32 v0, v3, v0
	v_mul_lo_u32 v0, v0, s2
	s_cbranch_scc1 .LBB29_30
; %bb.29:
	s_load_dwordx4 s[4:7], s[24:25], 0x10
	s_load_dword s2, s[24:25], 0xc8
	s_waitcnt lgkmcnt(0)
	v_mul_hi_u32 v2, s5, v1
	v_add_u32_e32 v2, v1, v2
	v_lshrrev_b32_e32 v2, s6, v2
	v_mul_lo_u32 v2, v2, s4
	v_sub_u32_e32 v1, v1, v2
	v_mad_u64_u32 v[0:1], s[2:3], v1, s2, v[0:1]
.LBB29_30:
	s_and_b64 vcc, exec, s[0:1]
	v_add_u32_e32 v4, 0x80, v3
	s_cbranch_vccnz .LBB29_36
; %bb.31:
	s_cmp_lg_u32 s33, 0
	s_mov_b32 s22, 0
	s_cbranch_scc0 .LBB29_37
; %bb.32:
	s_min_u32 s23, s48, 15
	s_add_i32 s23, s23, 1
	s_cmp_eq_u32 s48, 2
	s_cbranch_scc1 .LBB29_38
; %bb.33:
	s_and_b32 s22, s23, 28
	s_add_u32 s2, s24, 0xc4
	s_addc_u32 s3, s25, 0
	s_mov_b32 s26, 0
	v_mov_b32_e32 v1, 0
	s_mov_b64 s[20:21], s[24:25]
	v_mov_b32_e32 v2, v4
.LBB29_34:                              ; =>This Inner Loop Header: Depth=1
	s_waitcnt lgkmcnt(0)
	s_load_dwordx8 s[4:11], s[20:21], 0x4
	s_load_dwordx4 s[12:15], s[20:21], 0x24
	s_load_dwordx4 s[16:19], s[2:3], 0x0
	s_add_u32 s20, s20, 48
	s_addc_u32 s21, s21, 0
	s_waitcnt lgkmcnt(0)
	v_mul_hi_u32 v6, s5, v2
	s_add_i32 s26, s26, 4
	s_add_u32 s2, s2, 16
	s_addc_u32 s3, s3, 0
	v_add_u32_e32 v6, v2, v6
	v_lshrrev_b32_e32 v6, s6, v6
	v_mul_lo_u32 v7, v6, s4
	v_mul_hi_u32 v8, s8, v6
	s_cmp_lg_u32 s22, s26
	v_sub_u32_e32 v2, v2, v7
	v_add_u32_e32 v7, v6, v8
	v_lshrrev_b32_e32 v7, s9, v7
	v_mul_lo_u32 v8, v2, s16
	v_mul_hi_u32 v2, s11, v7
	v_mul_lo_u32 v10, v7, s7
	v_add_u32_e32 v2, v7, v2
	v_lshrrev_b32_e32 v9, s12, v2
	v_mul_hi_u32 v2, s14, v9
	v_sub_u32_e32 v6, v6, v10
	v_mul_lo_u32 v10, v9, s10
	v_mul_lo_u32 v6, v6, s17
	v_add_u32_e32 v2, v9, v2
	v_lshrrev_b32_e32 v2, s15, v2
	v_mul_lo_u32 v11, v2, s13
	v_sub_u32_e32 v7, v7, v10
	v_mul_lo_u32 v7, v7, s18
	v_add3_u32 v1, v8, v1, v6
	v_sub_u32_e32 v9, v9, v11
	v_mul_lo_u32 v9, v9, s19
	v_add3_u32 v1, v7, v1, v9
	s_cbranch_scc1 .LBB29_34
; %bb.35:
	s_and_b32 s6, s23, 3
	s_cmp_eq_u32 s6, 0
	s_cbranch_scc0 .LBB29_39
	s_branch .LBB29_41
.LBB29_36:
                                        ; implicit-def: $vgpr1
	s_branch .LBB29_42
.LBB29_37:
	v_mov_b32_e32 v1, 0
	s_branch .LBB29_41
.LBB29_38:
	v_mov_b32_e32 v1, 0
	v_mov_b32_e32 v2, v4
	s_and_b32 s6, s23, 3
	s_cmp_eq_u32 s6, 0
	s_cbranch_scc1 .LBB29_41
.LBB29_39:
	s_lshl_b32 s2, s22, 2
	s_add_u32 s2, s24, s2
	s_addc_u32 s3, s25, 0
	s_add_u32 s2, s2, 0xc4
	s_addc_u32 s3, s3, 0
	s_mul_i32 s4, s22, 12
	s_add_u32 s4, s24, s4
	s_addc_u32 s5, s25, 0
.LBB29_40:                              ; =>This Inner Loop Header: Depth=1
	s_waitcnt lgkmcnt(0)
	s_load_dwordx2 s[8:9], s[4:5], 0x4
	s_load_dword s7, s[4:5], 0xc
	s_add_u32 s4, s4, 12
	s_addc_u32 s5, s5, 0
	s_waitcnt lgkmcnt(0)
	v_mul_hi_u32 v6, s9, v2
	s_load_dword s9, s[2:3], 0x0
	s_add_u32 s2, s2, 4
	s_addc_u32 s3, s3, 0
	v_add_u32_e32 v6, v2, v6
	v_lshrrev_b32_e32 v6, s7, v6
	v_mul_lo_u32 v7, v6, s8
	s_add_i32 s6, s6, -1
	s_cmp_lg_u32 s6, 0
	v_sub_u32_e32 v2, v2, v7
	s_waitcnt lgkmcnt(0)
	v_mad_u64_u32 v[1:2], s[8:9], v2, s9, v[1:2]
	v_mov_b32_e32 v2, v6
	s_cbranch_scc1 .LBB29_40
.LBB29_41:
	s_cbranch_execnz .LBB29_44
.LBB29_42:
	s_load_dwordx4 s[4:7], s[24:25], 0x4
	s_load_dword s2, s[24:25], 0xc4
	s_cmp_lt_u32 s33, 2
	s_waitcnt lgkmcnt(0)
	v_mul_hi_u32 v1, s5, v4
	v_add_u32_e32 v1, v4, v1
	v_lshrrev_b32_e32 v2, s6, v1
	v_mul_lo_u32 v1, v2, s4
	v_sub_u32_e32 v1, v4, v1
	v_mul_lo_u32 v1, v1, s2
	s_cbranch_scc1 .LBB29_44
; %bb.43:
	s_load_dwordx4 s[4:7], s[24:25], 0x10
	s_load_dword s2, s[24:25], 0xc8
	s_waitcnt lgkmcnt(0)
	v_mul_hi_u32 v4, s5, v2
	v_add_u32_e32 v4, v2, v4
	v_lshrrev_b32_e32 v4, s6, v4
	v_mul_lo_u32 v4, v4, s4
	v_sub_u32_e32 v2, v2, v4
	v_mad_u64_u32 v[1:2], s[2:3], v2, s2, v[1:2]
.LBB29_44:
	s_and_b64 vcc, exec, s[0:1]
	v_add_u32_e32 v4, 0x100, v3
	s_cbranch_vccnz .LBB29_50
; %bb.45:
	s_cmp_lg_u32 s33, 0
	s_mov_b32 s22, 0
	s_cbranch_scc0 .LBB29_51
; %bb.46:
	s_min_u32 s23, s48, 15
	s_add_i32 s23, s23, 1
	s_cmp_eq_u32 s48, 2
	s_cbranch_scc1 .LBB29_52
; %bb.47:
	s_and_b32 s22, s23, 28
	s_add_u32 s2, s24, 0xc4
	s_addc_u32 s3, s25, 0
	s_mov_b32 s26, 0
	v_mov_b32_e32 v2, 0
	s_mov_b64 s[20:21], s[24:25]
	v_mov_b32_e32 v3, v4
.LBB29_48:                              ; =>This Inner Loop Header: Depth=1
	s_waitcnt lgkmcnt(0)
	s_load_dwordx8 s[4:11], s[20:21], 0x4
	s_load_dwordx4 s[12:15], s[20:21], 0x24
	s_load_dwordx4 s[16:19], s[2:3], 0x0
	s_add_u32 s20, s20, 48
	s_addc_u32 s21, s21, 0
	s_waitcnt lgkmcnt(0)
	v_mul_hi_u32 v6, s5, v3
	s_add_i32 s26, s26, 4
	s_add_u32 s2, s2, 16
	s_addc_u32 s3, s3, 0
	v_add_u32_e32 v6, v3, v6
	v_lshrrev_b32_e32 v6, s6, v6
	v_mul_lo_u32 v7, v6, s4
	v_mul_hi_u32 v8, s8, v6
	s_cmp_lg_u32 s22, s26
	v_sub_u32_e32 v3, v3, v7
	v_add_u32_e32 v7, v6, v8
	v_lshrrev_b32_e32 v7, s9, v7
	v_mul_lo_u32 v8, v3, s16
	v_mul_hi_u32 v3, s11, v7
	v_mul_lo_u32 v10, v7, s7
	v_add_u32_e32 v3, v7, v3
	v_lshrrev_b32_e32 v9, s12, v3
	v_mul_hi_u32 v3, s14, v9
	v_sub_u32_e32 v6, v6, v10
	v_mul_lo_u32 v10, v9, s10
	v_mul_lo_u32 v6, v6, s17
	v_add_u32_e32 v3, v9, v3
	v_lshrrev_b32_e32 v3, s15, v3
	v_mul_lo_u32 v11, v3, s13
	v_sub_u32_e32 v7, v7, v10
	v_mul_lo_u32 v7, v7, s18
	v_add3_u32 v2, v8, v2, v6
	v_sub_u32_e32 v9, v9, v11
	v_mul_lo_u32 v9, v9, s19
	v_add3_u32 v2, v7, v2, v9
	s_cbranch_scc1 .LBB29_48
; %bb.49:
	s_and_b32 s6, s23, 3
	s_cmp_eq_u32 s6, 0
	s_cbranch_scc0 .LBB29_53
	s_branch .LBB29_55
.LBB29_50:
                                        ; implicit-def: $vgpr2
	s_branch .LBB29_56
.LBB29_51:
	v_mov_b32_e32 v2, 0
	s_branch .LBB29_55
.LBB29_52:
	v_mov_b32_e32 v2, 0
	v_mov_b32_e32 v3, v4
	s_and_b32 s6, s23, 3
	s_cmp_eq_u32 s6, 0
	s_cbranch_scc1 .LBB29_55
.LBB29_53:
	s_lshl_b32 s2, s22, 2
	s_add_u32 s2, s24, s2
	s_addc_u32 s3, s25, 0
	s_add_u32 s2, s2, 0xc4
	s_addc_u32 s3, s3, 0
	s_mul_i32 s4, s22, 12
	s_add_u32 s4, s24, s4
	s_addc_u32 s5, s25, 0
.LBB29_54:                              ; =>This Inner Loop Header: Depth=1
	s_waitcnt lgkmcnt(0)
	s_load_dwordx2 s[8:9], s[4:5], 0x4
	s_load_dword s7, s[4:5], 0xc
	s_add_u32 s4, s4, 12
	s_addc_u32 s5, s5, 0
	s_waitcnt lgkmcnt(0)
	v_mul_hi_u32 v6, s9, v3
	s_load_dword s9, s[2:3], 0x0
	s_add_u32 s2, s2, 4
	s_addc_u32 s3, s3, 0
	v_add_u32_e32 v6, v3, v6
	v_lshrrev_b32_e32 v6, s7, v6
	v_mul_lo_u32 v7, v6, s8
	s_add_i32 s6, s6, -1
	s_cmp_lg_u32 s6, 0
	v_sub_u32_e32 v3, v3, v7
	s_waitcnt lgkmcnt(0)
	v_mad_u64_u32 v[2:3], s[8:9], v3, s9, v[2:3]
	v_mov_b32_e32 v3, v6
	s_cbranch_scc1 .LBB29_54
.LBB29_55:
	s_cbranch_execnz .LBB29_58
.LBB29_56:
	s_load_dwordx4 s[4:7], s[24:25], 0x4
	s_load_dword s2, s[24:25], 0xc4
	s_cmp_lt_u32 s33, 2
	s_waitcnt lgkmcnt(0)
	v_mul_hi_u32 v2, s5, v4
	v_add_u32_e32 v2, v4, v2
	v_lshrrev_b32_e32 v3, s6, v2
	v_mul_lo_u32 v2, v3, s4
	v_sub_u32_e32 v2, v4, v2
	v_mul_lo_u32 v2, v2, s2
	s_cbranch_scc1 .LBB29_58
; %bb.57:
	s_load_dwordx4 s[4:7], s[24:25], 0x10
	s_load_dword s2, s[24:25], 0xc8
	s_waitcnt lgkmcnt(0)
	v_mul_hi_u32 v4, s5, v3
	v_add_u32_e32 v4, v3, v4
	v_lshrrev_b32_e32 v4, s6, v4
	v_mul_lo_u32 v4, v4, s4
	v_sub_u32_e32 v3, v3, v4
	v_mad_u64_u32 v[2:3], s[2:3], v3, s2, v[2:3]
.LBB29_58:
	s_and_b64 vcc, exec, s[0:1]
	s_cbranch_vccnz .LBB29_64
; %bb.59:
	s_cmp_lg_u32 s33, 0
	s_mov_b32 s20, 0
	s_cbranch_scc0 .LBB29_65
; %bb.60:
	s_min_u32 s21, s48, 15
	s_add_i32 s21, s21, 1
	s_cmp_eq_u32 s48, 2
	s_cbranch_scc1 .LBB29_66
; %bb.61:
	s_and_b32 s20, s21, 28
	s_add_u32 s16, s24, 0xc4
	s_addc_u32 s17, s25, 0
	s_mov_b32 s22, 0
	v_mov_b32_e32 v3, 0
	s_mov_b64 s[18:19], s[24:25]
	v_mov_b32_e32 v4, v5
.LBB29_62:                              ; =>This Inner Loop Header: Depth=1
	s_load_dwordx8 s[0:7], s[18:19], 0x4
	s_waitcnt lgkmcnt(0)
	s_load_dwordx4 s[8:11], s[18:19], 0x24
	s_load_dwordx4 s[12:15], s[16:17], 0x0
	s_add_u32 s18, s18, 48
	s_addc_u32 s19, s19, 0
	v_mul_hi_u32 v6, s1, v4
	s_add_i32 s22, s22, 4
	s_add_u32 s16, s16, 16
	s_addc_u32 s17, s17, 0
	v_add_u32_e32 v6, v4, v6
	v_lshrrev_b32_e32 v6, s2, v6
	v_mul_lo_u32 v7, v6, s0
	v_mul_hi_u32 v8, s4, v6
	s_cmp_lg_u32 s20, s22
	v_sub_u32_e32 v4, v4, v7
	v_add_u32_e32 v7, v6, v8
	v_lshrrev_b32_e32 v7, s5, v7
	s_waitcnt lgkmcnt(0)
	v_mul_lo_u32 v8, v4, s12
	v_mul_hi_u32 v4, s7, v7
	v_mul_lo_u32 v10, v7, s3
	v_add_u32_e32 v4, v7, v4
	v_lshrrev_b32_e32 v9, s8, v4
	v_mul_hi_u32 v4, s10, v9
	v_sub_u32_e32 v6, v6, v10
	v_mul_lo_u32 v10, v9, s6
	v_mul_lo_u32 v6, v6, s13
	v_add_u32_e32 v4, v9, v4
	v_lshrrev_b32_e32 v4, s11, v4
	v_mul_lo_u32 v11, v4, s9
	v_sub_u32_e32 v7, v7, v10
	v_mul_lo_u32 v7, v7, s14
	v_add3_u32 v3, v8, v3, v6
	v_sub_u32_e32 v9, v9, v11
	v_mul_lo_u32 v9, v9, s15
	v_add3_u32 v3, v7, v3, v9
	s_cbranch_scc1 .LBB29_62
; %bb.63:
	s_and_b32 s4, s21, 3
	s_cmp_eq_u32 s4, 0
	s_cbranch_scc0 .LBB29_67
	s_branch .LBB29_69
.LBB29_64:
                                        ; implicit-def: $vgpr3
	s_branch .LBB29_70
.LBB29_65:
	v_mov_b32_e32 v3, 0
	s_branch .LBB29_69
.LBB29_66:
	v_mov_b32_e32 v3, 0
	v_mov_b32_e32 v4, v5
	s_and_b32 s4, s21, 3
	s_cmp_eq_u32 s4, 0
	s_cbranch_scc1 .LBB29_69
.LBB29_67:
	s_lshl_b32 s0, s20, 2
	s_add_u32 s0, s24, s0
	s_addc_u32 s1, s25, 0
	s_add_u32 s0, s0, 0xc4
	s_addc_u32 s1, s1, 0
	s_mul_i32 s2, s20, 12
	s_add_u32 s2, s24, s2
	s_addc_u32 s3, s25, 0
.LBB29_68:                              ; =>This Inner Loop Header: Depth=1
	s_load_dwordx2 s[6:7], s[2:3], 0x4
	s_load_dword s5, s[2:3], 0xc
	s_add_u32 s2, s2, 12
	s_addc_u32 s3, s3, 0
	s_waitcnt lgkmcnt(0)
	v_mul_hi_u32 v6, s7, v4
	s_load_dword s7, s[0:1], 0x0
	s_add_u32 s0, s0, 4
	s_addc_u32 s1, s1, 0
	v_add_u32_e32 v6, v4, v6
	v_lshrrev_b32_e32 v6, s5, v6
	v_mul_lo_u32 v7, v6, s6
	s_add_i32 s4, s4, -1
	s_cmp_lg_u32 s4, 0
	v_sub_u32_e32 v4, v4, v7
	s_waitcnt lgkmcnt(0)
	v_mad_u64_u32 v[3:4], s[6:7], v4, s7, v[3:4]
	v_mov_b32_e32 v4, v6
	s_cbranch_scc1 .LBB29_68
.LBB29_69:
	s_cbranch_execnz .LBB29_72
.LBB29_70:
	s_load_dwordx4 s[0:3], s[24:25], 0x4
	s_waitcnt lgkmcnt(0)
	s_load_dword s3, s[24:25], 0xc4
	s_cmp_lt_u32 s33, 2
	v_mul_hi_u32 v3, s1, v5
	v_add_u32_e32 v3, v5, v3
	v_lshrrev_b32_e32 v4, s2, v3
	v_mul_lo_u32 v3, v4, s0
	v_sub_u32_e32 v3, v5, v3
	s_waitcnt lgkmcnt(0)
	v_mul_lo_u32 v3, v3, s3
	s_cbranch_scc1 .LBB29_72
; %bb.71:
	s_load_dwordx4 s[0:3], s[24:25], 0x10
	s_waitcnt lgkmcnt(0)
	s_load_dword s3, s[24:25], 0xc8
	v_mul_hi_u32 v5, s1, v4
	v_add_u32_e32 v5, v4, v5
	v_lshrrev_b32_e32 v5, s2, v5
	v_mul_lo_u32 v5, v5, s0
	v_sub_u32_e32 v4, v4, v5
	s_waitcnt lgkmcnt(0)
	v_mad_u64_u32 v[3:4], s[0:1], v4, s3, v[3:4]
.LBB29_72:
	s_load_dwordx4 s[0:3], s[24:25], 0x108
	s_waitcnt lgkmcnt(0)
	v_mov_b32_e32 v5, s3
	v_mov_b32_e32 v4, s2
	s_nop 0
	global_store_dwordx2 v0, v[4:5], s[0:1]
	global_store_dwordx2 v1, v[4:5], s[0:1]
	;; [unrolled: 1-line block ×4, first 2 shown]
	s_endpgm
.LBB29_73:
	v_mov_b32_e32 v0, 0
	s_branch .LBB29_79
.LBB29_74:
	v_mov_b32_e32 v0, 0
	s_branch .LBB29_95
.LBB29_75:
	v_mov_b32_e32 v0, 0
	s_mov_b32 s51, 0
	v_mov_b32_e32 v1, v3
.LBB29_76:
	s_and_b32 s4, s52, 3
	s_cmp_eq_u32 s4, 0
	s_cbranch_scc1 .LBB29_79
; %bb.77:
	s_lshl_b32 s0, s51, 2
	s_add_u32 s0, s24, s0
	s_addc_u32 s1, s25, 0
	s_add_u32 s0, s0, 0xc4
	s_addc_u32 s1, s1, 0
	s_mul_i32 s2, s51, 12
	s_add_u32 s2, s24, s2
	s_addc_u32 s3, s25, 0
.LBB29_78:                              ; =>This Inner Loop Header: Depth=1
	s_load_dwordx2 s[6:7], s[2:3], 0x4
	s_load_dword s5, s[2:3], 0xc
	s_add_u32 s2, s2, 12
	s_addc_u32 s3, s3, 0
	s_waitcnt lgkmcnt(0)
	v_mul_hi_u32 v2, s7, v1
	s_load_dword s7, s[0:1], 0x0
	s_add_u32 s0, s0, 4
	s_addc_u32 s1, s1, 0
	v_add_u32_e32 v2, v1, v2
	v_lshrrev_b32_e32 v2, s5, v2
	v_mul_lo_u32 v4, v2, s6
	s_add_i32 s4, s4, -1
	s_cmp_lg_u32 s4, 0
	v_sub_u32_e32 v1, v1, v4
	s_waitcnt lgkmcnt(0)
	v_mad_u64_u32 v[0:1], s[6:7], v1, s7, v[0:1]
	v_mov_b32_e32 v1, v2
	s_cbranch_scc1 .LBB29_78
.LBB29_79:
	s_cbranch_execnz .LBB29_82
.LBB29_80:
	s_waitcnt lgkmcnt(0)
	v_mul_hi_u32 v0, s13, v3
	s_andn2_b64 vcc, exec, s[36:37]
	v_add_u32_e32 v0, v3, v0
	v_lshrrev_b32_e32 v1, s14, v0
	v_mul_lo_u32 v0, v1, s12
	v_sub_u32_e32 v0, v3, v0
	v_mul_lo_u32 v0, v0, s30
	s_cbranch_vccnz .LBB29_82
; %bb.81:
	v_mul_hi_u32 v2, s34, v1
	v_add_u32_e32 v2, v1, v2
	v_lshrrev_b32_e32 v2, s35, v2
	v_mul_lo_u32 v2, v2, s15
	v_sub_u32_e32 v1, v1, v2
	v_mad_u64_u32 v[0:1], s[0:1], v1, s31, v[0:1]
.LBB29_82:
	s_waitcnt lgkmcnt(0)
	v_mov_b32_e32 v1, s10
	v_mov_b32_e32 v2, s11
	v_add_u32_e32 v3, 0x80, v3
	global_store_dwordx2 v0, v[1:2], s[8:9]
	s_or_b64 exec, exec, s[42:43]
	v_cmp_gt_i32_e32 vcc, s49, v3
	s_and_saveexec_b64 s[42:43], vcc
	s_cbranch_execnz .LBB29_15
.LBB29_83:
	s_or_b64 exec, exec, s[42:43]
	v_cmp_gt_i32_e32 vcc, s49, v3
	s_and_saveexec_b64 s[42:43], vcc
	s_cbranch_execz .LBB29_99
.LBB29_84:
	s_andn2_b64 vcc, exec, s[26:27]
	s_cbranch_vccnz .LBB29_89
; %bb.85:
	s_andn2_b64 vcc, exec, s[40:41]
	s_cbranch_vccnz .LBB29_90
; %bb.86:
	s_add_i32 s52, s50, 1
	s_cmp_eq_u32 s48, 2
	s_cbranch_scc1 .LBB29_102
; %bb.87:
	s_and_b32 s51, s52, 28
	s_mov_b32 s53, 0
	v_mov_b32_e32 v0, 0
	s_mov_b64 s[44:45], s[24:25]
	s_mov_b64 s[46:47], s[38:39]
	v_mov_b32_e32 v1, v3
.LBB29_88:                              ; =>This Inner Loop Header: Depth=1
	s_load_dwordx8 s[0:7], s[44:45], 0x4
	s_load_dwordx4 s[16:19], s[44:45], 0x24
	s_load_dwordx4 s[20:23], s[46:47], 0x0
	s_add_u32 s44, s44, 48
	s_addc_u32 s45, s45, 0
	s_waitcnt lgkmcnt(0)
	v_mul_hi_u32 v2, s1, v1
	s_add_i32 s53, s53, 4
	s_add_u32 s46, s46, 16
	s_addc_u32 s47, s47, 0
	v_add_u32_e32 v2, v1, v2
	v_lshrrev_b32_e32 v2, s2, v2
	v_mul_lo_u32 v4, v2, s0
	v_mul_hi_u32 v5, s4, v2
	s_cmp_eq_u32 s51, s53
	v_sub_u32_e32 v1, v1, v4
	v_add_u32_e32 v4, v2, v5
	v_lshrrev_b32_e32 v4, s5, v4
	v_mul_lo_u32 v5, v1, s20
	v_mul_hi_u32 v1, s7, v4
	v_mul_lo_u32 v7, v4, s3
	v_add_u32_e32 v1, v4, v1
	v_lshrrev_b32_e32 v6, s16, v1
	v_mul_hi_u32 v1, s18, v6
	v_sub_u32_e32 v2, v2, v7
	v_mul_lo_u32 v7, v6, s6
	v_mul_lo_u32 v2, v2, s21
	v_add_u32_e32 v1, v6, v1
	v_lshrrev_b32_e32 v1, s19, v1
	v_mul_lo_u32 v8, v1, s17
	v_sub_u32_e32 v4, v4, v7
	v_mul_lo_u32 v4, v4, s22
	v_add3_u32 v0, v5, v0, v2
	v_sub_u32_e32 v6, v6, v8
	v_mul_lo_u32 v6, v6, s23
	v_add3_u32 v0, v4, v0, v6
	s_cbranch_scc0 .LBB29_88
	s_branch .LBB29_103
.LBB29_89:
                                        ; implicit-def: $vgpr0
	s_branch .LBB29_107
.LBB29_90:
	v_mov_b32_e32 v0, 0
	s_branch .LBB29_106
.LBB29_91:
	v_mov_b32_e32 v0, 0
	s_mov_b32 s51, 0
	v_mov_b32_e32 v1, v3
.LBB29_92:
	s_and_b32 s4, s52, 3
	s_cmp_eq_u32 s4, 0
	s_cbranch_scc1 .LBB29_95
; %bb.93:
	s_lshl_b32 s0, s51, 2
	s_add_u32 s0, s24, s0
	s_addc_u32 s1, s25, 0
	s_add_u32 s0, s0, 0xc4
	s_addc_u32 s1, s1, 0
	s_mul_i32 s2, s51, 12
	s_add_u32 s2, s24, s2
	s_addc_u32 s3, s25, 0
.LBB29_94:                              ; =>This Inner Loop Header: Depth=1
	s_load_dwordx2 s[6:7], s[2:3], 0x4
	s_load_dword s5, s[2:3], 0xc
	s_add_u32 s2, s2, 12
	s_addc_u32 s3, s3, 0
	s_waitcnt lgkmcnt(0)
	v_mul_hi_u32 v2, s7, v1
	s_load_dword s7, s[0:1], 0x0
	s_add_u32 s0, s0, 4
	s_addc_u32 s1, s1, 0
	v_add_u32_e32 v2, v1, v2
	v_lshrrev_b32_e32 v2, s5, v2
	v_mul_lo_u32 v4, v2, s6
	s_add_i32 s4, s4, -1
	s_cmp_lg_u32 s4, 0
	v_sub_u32_e32 v1, v1, v4
	s_waitcnt lgkmcnt(0)
	v_mad_u64_u32 v[0:1], s[6:7], v1, s7, v[0:1]
	v_mov_b32_e32 v1, v2
	s_cbranch_scc1 .LBB29_94
.LBB29_95:
	s_cbranch_execnz .LBB29_98
.LBB29_96:
	s_waitcnt lgkmcnt(0)
	v_mul_hi_u32 v0, s13, v3
	s_andn2_b64 vcc, exec, s[36:37]
	v_add_u32_e32 v0, v3, v0
	v_lshrrev_b32_e32 v1, s14, v0
	v_mul_lo_u32 v0, v1, s12
	v_sub_u32_e32 v0, v3, v0
	v_mul_lo_u32 v0, v0, s30
	s_cbranch_vccnz .LBB29_98
; %bb.97:
	v_mul_hi_u32 v2, s34, v1
	v_add_u32_e32 v2, v1, v2
	v_lshrrev_b32_e32 v2, s35, v2
	v_mul_lo_u32 v2, v2, s15
	v_sub_u32_e32 v1, v1, v2
	v_mad_u64_u32 v[0:1], s[0:1], v1, s31, v[0:1]
.LBB29_98:
	s_waitcnt lgkmcnt(0)
	v_mov_b32_e32 v1, s10
	v_mov_b32_e32 v2, s11
	v_add_u32_e32 v3, 0x80, v3
	global_store_dwordx2 v0, v[1:2], s[8:9]
	s_or_b64 exec, exec, s[42:43]
	v_cmp_gt_i32_e32 vcc, s49, v3
	s_and_saveexec_b64 s[42:43], vcc
	s_cbranch_execnz .LBB29_84
.LBB29_99:
	s_or_b64 exec, exec, s[42:43]
	v_cmp_gt_i32_e32 vcc, s49, v3
	s_and_saveexec_b64 s[42:43], vcc
	s_cbranch_execnz .LBB29_110
.LBB29_100:
	s_or_b64 exec, exec, s[42:43]
                                        ; implicit-def: $vgpr5
                                        ; implicit-def: $vgpr3
	s_andn2_saveexec_b64 s[0:1], s[28:29]
	s_cbranch_execnz .LBB29_8
.LBB29_101:
	s_endpgm
.LBB29_102:
	v_mov_b32_e32 v0, 0
	s_mov_b32 s51, 0
	v_mov_b32_e32 v1, v3
.LBB29_103:
	s_and_b32 s4, s52, 3
	s_cmp_eq_u32 s4, 0
	s_cbranch_scc1 .LBB29_106
; %bb.104:
	s_lshl_b32 s0, s51, 2
	s_add_u32 s0, s24, s0
	s_addc_u32 s1, s25, 0
	s_add_u32 s0, s0, 0xc4
	s_addc_u32 s1, s1, 0
	s_mul_i32 s2, s51, 12
	s_add_u32 s2, s24, s2
	s_addc_u32 s3, s25, 0
.LBB29_105:                             ; =>This Inner Loop Header: Depth=1
	s_load_dwordx2 s[6:7], s[2:3], 0x4
	s_load_dword s5, s[2:3], 0xc
	s_add_u32 s2, s2, 12
	s_addc_u32 s3, s3, 0
	s_waitcnt lgkmcnt(0)
	v_mul_hi_u32 v2, s7, v1
	s_load_dword s7, s[0:1], 0x0
	s_add_u32 s0, s0, 4
	s_addc_u32 s1, s1, 0
	v_add_u32_e32 v2, v1, v2
	v_lshrrev_b32_e32 v2, s5, v2
	v_mul_lo_u32 v4, v2, s6
	s_add_i32 s4, s4, -1
	s_cmp_lg_u32 s4, 0
	v_sub_u32_e32 v1, v1, v4
	s_waitcnt lgkmcnt(0)
	v_mad_u64_u32 v[0:1], s[6:7], v1, s7, v[0:1]
	v_mov_b32_e32 v1, v2
	s_cbranch_scc1 .LBB29_105
.LBB29_106:
	s_cbranch_execnz .LBB29_109
.LBB29_107:
	s_waitcnt lgkmcnt(0)
	v_mul_hi_u32 v0, s13, v3
	s_andn2_b64 vcc, exec, s[36:37]
	v_add_u32_e32 v0, v3, v0
	v_lshrrev_b32_e32 v1, s14, v0
	v_mul_lo_u32 v0, v1, s12
	v_sub_u32_e32 v0, v3, v0
	v_mul_lo_u32 v0, v0, s30
	s_cbranch_vccnz .LBB29_109
; %bb.108:
	v_mul_hi_u32 v2, s34, v1
	v_add_u32_e32 v2, v1, v2
	v_lshrrev_b32_e32 v2, s35, v2
	v_mul_lo_u32 v2, v2, s15
	v_sub_u32_e32 v1, v1, v2
	v_mad_u64_u32 v[0:1], s[0:1], v1, s31, v[0:1]
.LBB29_109:
	s_waitcnt lgkmcnt(0)
	v_mov_b32_e32 v1, s10
	v_mov_b32_e32 v2, s11
	v_add_u32_e32 v3, 0x80, v3
	global_store_dwordx2 v0, v[1:2], s[8:9]
	s_or_b64 exec, exec, s[42:43]
	v_cmp_gt_i32_e32 vcc, s49, v3
	s_and_saveexec_b64 s[42:43], vcc
	s_cbranch_execz .LBB29_100
.LBB29_110:
	s_andn2_b64 vcc, exec, s[26:27]
	s_cbranch_vccnz .LBB29_115
; %bb.111:
	s_andn2_b64 vcc, exec, s[40:41]
	s_cbranch_vccnz .LBB29_116
; %bb.112:
	s_add_i32 s50, s50, 1
	s_cmp_eq_u32 s48, 2
	s_cbranch_scc1 .LBB29_117
; %bb.113:
	s_and_b32 s44, s50, 28
	s_mov_b32 s45, 0
	v_mov_b32_e32 v0, 0
	s_mov_b64 s[40:41], s[24:25]
	v_mov_b32_e32 v1, v3
.LBB29_114:                             ; =>This Inner Loop Header: Depth=1
	s_load_dwordx8 s[0:7], s[40:41], 0x4
	s_load_dwordx4 s[16:19], s[40:41], 0x24
	s_load_dwordx4 s[20:23], s[38:39], 0x0
	s_add_u32 s40, s40, 48
	s_addc_u32 s41, s41, 0
	s_waitcnt lgkmcnt(0)
	v_mul_hi_u32 v2, s1, v1
	s_add_i32 s45, s45, 4
	s_add_u32 s38, s38, 16
	s_addc_u32 s39, s39, 0
	v_add_u32_e32 v2, v1, v2
	v_lshrrev_b32_e32 v2, s2, v2
	v_mul_lo_u32 v4, v2, s0
	v_mul_hi_u32 v5, s4, v2
	s_cmp_eq_u32 s44, s45
	v_sub_u32_e32 v1, v1, v4
	v_add_u32_e32 v4, v2, v5
	v_lshrrev_b32_e32 v4, s5, v4
	v_mul_lo_u32 v5, v1, s20
	v_mul_hi_u32 v1, s7, v4
	v_mul_lo_u32 v7, v4, s3
	v_add_u32_e32 v1, v4, v1
	v_lshrrev_b32_e32 v6, s16, v1
	v_mul_hi_u32 v1, s18, v6
	v_sub_u32_e32 v2, v2, v7
	v_mul_lo_u32 v7, v6, s6
	v_mul_lo_u32 v2, v2, s21
	v_add_u32_e32 v1, v6, v1
	v_lshrrev_b32_e32 v1, s19, v1
	v_mul_lo_u32 v8, v1, s17
	v_sub_u32_e32 v4, v4, v7
	v_mul_lo_u32 v4, v4, s22
	v_add3_u32 v0, v5, v0, v2
	v_sub_u32_e32 v6, v6, v8
	v_mul_lo_u32 v6, v6, s23
	v_add3_u32 v0, v4, v0, v6
	s_cbranch_scc0 .LBB29_114
	s_branch .LBB29_118
.LBB29_115:
                                        ; implicit-def: $vgpr0
	s_branch .LBB29_122
.LBB29_116:
	v_mov_b32_e32 v0, 0
	s_branch .LBB29_121
.LBB29_117:
	v_mov_b32_e32 v0, 0
	s_mov_b32 s44, 0
	v_mov_b32_e32 v1, v3
.LBB29_118:
	s_and_b32 s4, s50, 3
	s_cmp_eq_u32 s4, 0
	s_cbranch_scc1 .LBB29_121
; %bb.119:
	s_lshl_b32 s0, s44, 2
	s_add_u32 s0, s24, s0
	s_addc_u32 s1, s25, 0
	s_add_u32 s0, s0, 0xc4
	s_addc_u32 s1, s1, 0
	s_mul_i32 s2, s44, 12
	s_add_u32 s2, s24, s2
	s_addc_u32 s3, s25, 0
.LBB29_120:                             ; =>This Inner Loop Header: Depth=1
	s_load_dwordx2 s[6:7], s[2:3], 0x4
	s_load_dword s5, s[2:3], 0xc
	s_add_u32 s2, s2, 12
	s_addc_u32 s3, s3, 0
	s_waitcnt lgkmcnt(0)
	v_mul_hi_u32 v2, s7, v1
	s_load_dword s7, s[0:1], 0x0
	s_add_u32 s0, s0, 4
	s_addc_u32 s1, s1, 0
	v_add_u32_e32 v2, v1, v2
	v_lshrrev_b32_e32 v2, s5, v2
	v_mul_lo_u32 v4, v2, s6
	s_add_i32 s4, s4, -1
	s_cmp_lg_u32 s4, 0
	v_sub_u32_e32 v1, v1, v4
	s_waitcnt lgkmcnt(0)
	v_mad_u64_u32 v[0:1], s[6:7], v1, s7, v[0:1]
	v_mov_b32_e32 v1, v2
	s_cbranch_scc1 .LBB29_120
.LBB29_121:
	s_cbranch_execnz .LBB29_124
.LBB29_122:
	s_waitcnt lgkmcnt(0)
	v_mul_hi_u32 v0, s13, v3
	s_andn2_b64 vcc, exec, s[36:37]
	v_add_u32_e32 v0, v3, v0
	v_lshrrev_b32_e32 v1, s14, v0
	v_mul_lo_u32 v0, v1, s12
	v_sub_u32_e32 v0, v3, v0
	v_mul_lo_u32 v0, v0, s30
	s_cbranch_vccnz .LBB29_124
; %bb.123:
	v_mul_hi_u32 v2, s34, v1
	v_add_u32_e32 v2, v1, v2
	v_lshrrev_b32_e32 v2, s35, v2
	v_mul_lo_u32 v2, v2, s15
	v_sub_u32_e32 v1, v1, v2
	v_mad_u64_u32 v[0:1], s[0:1], v1, s31, v[0:1]
.LBB29_124:
	s_waitcnt lgkmcnt(0)
	v_mov_b32_e32 v1, s10
	v_mov_b32_e32 v2, s11
	global_store_dwordx2 v0, v[1:2], s[8:9]
	s_or_b64 exec, exec, s[42:43]
                                        ; implicit-def: $vgpr5
                                        ; implicit-def: $vgpr3
	s_andn2_saveexec_b64 s[0:1], s[28:29]
	s_cbranch_execz .LBB29_101
	s_branch .LBB29_8
	.section	.rodata,"a",@progbits
	.p2align	6, 0x0
	.amdhsa_kernel _ZN2at6native32elementwise_kernel_manual_unrollILi128ELi4EZNS0_22gpu_kernel_impl_nocastINS0_11FillFunctorIlEEEEvRNS_18TensorIteratorBaseERKT_EUlibE_EEviT1_
		.amdhsa_group_segment_fixed_size 0
		.amdhsa_private_segment_fixed_size 0
		.amdhsa_kernarg_size 288
		.amdhsa_user_sgpr_count 6
		.amdhsa_user_sgpr_private_segment_buffer 1
		.amdhsa_user_sgpr_dispatch_ptr 0
		.amdhsa_user_sgpr_queue_ptr 0
		.amdhsa_user_sgpr_kernarg_segment_ptr 1
		.amdhsa_user_sgpr_dispatch_id 0
		.amdhsa_user_sgpr_flat_scratch_init 0
		.amdhsa_user_sgpr_private_segment_size 0
		.amdhsa_uses_dynamic_stack 0
		.amdhsa_system_sgpr_private_segment_wavefront_offset 0
		.amdhsa_system_sgpr_workgroup_id_x 1
		.amdhsa_system_sgpr_workgroup_id_y 0
		.amdhsa_system_sgpr_workgroup_id_z 0
		.amdhsa_system_sgpr_workgroup_info 0
		.amdhsa_system_vgpr_workitem_id 0
		.amdhsa_next_free_vgpr 12
		.amdhsa_next_free_sgpr 54
		.amdhsa_reserve_vcc 1
		.amdhsa_reserve_flat_scratch 0
		.amdhsa_float_round_mode_32 0
		.amdhsa_float_round_mode_16_64 0
		.amdhsa_float_denorm_mode_32 3
		.amdhsa_float_denorm_mode_16_64 3
		.amdhsa_dx10_clamp 1
		.amdhsa_ieee_mode 1
		.amdhsa_fp16_overflow 0
		.amdhsa_exception_fp_ieee_invalid_op 0
		.amdhsa_exception_fp_denorm_src 0
		.amdhsa_exception_fp_ieee_div_zero 0
		.amdhsa_exception_fp_ieee_overflow 0
		.amdhsa_exception_fp_ieee_underflow 0
		.amdhsa_exception_fp_ieee_inexact 0
		.amdhsa_exception_int_div_zero 0
	.end_amdhsa_kernel
	.section	.text._ZN2at6native32elementwise_kernel_manual_unrollILi128ELi4EZNS0_22gpu_kernel_impl_nocastINS0_11FillFunctorIlEEEEvRNS_18TensorIteratorBaseERKT_EUlibE_EEviT1_,"axG",@progbits,_ZN2at6native32elementwise_kernel_manual_unrollILi128ELi4EZNS0_22gpu_kernel_impl_nocastINS0_11FillFunctorIlEEEEvRNS_18TensorIteratorBaseERKT_EUlibE_EEviT1_,comdat
.Lfunc_end29:
	.size	_ZN2at6native32elementwise_kernel_manual_unrollILi128ELi4EZNS0_22gpu_kernel_impl_nocastINS0_11FillFunctorIlEEEEvRNS_18TensorIteratorBaseERKT_EUlibE_EEviT1_, .Lfunc_end29-_ZN2at6native32elementwise_kernel_manual_unrollILi128ELi4EZNS0_22gpu_kernel_impl_nocastINS0_11FillFunctorIlEEEEvRNS_18TensorIteratorBaseERKT_EUlibE_EEviT1_
                                        ; -- End function
	.set _ZN2at6native32elementwise_kernel_manual_unrollILi128ELi4EZNS0_22gpu_kernel_impl_nocastINS0_11FillFunctorIlEEEEvRNS_18TensorIteratorBaseERKT_EUlibE_EEviT1_.num_vgpr, 12
	.set _ZN2at6native32elementwise_kernel_manual_unrollILi128ELi4EZNS0_22gpu_kernel_impl_nocastINS0_11FillFunctorIlEEEEvRNS_18TensorIteratorBaseERKT_EUlibE_EEviT1_.num_agpr, 0
	.set _ZN2at6native32elementwise_kernel_manual_unrollILi128ELi4EZNS0_22gpu_kernel_impl_nocastINS0_11FillFunctorIlEEEEvRNS_18TensorIteratorBaseERKT_EUlibE_EEviT1_.numbered_sgpr, 54
	.set _ZN2at6native32elementwise_kernel_manual_unrollILi128ELi4EZNS0_22gpu_kernel_impl_nocastINS0_11FillFunctorIlEEEEvRNS_18TensorIteratorBaseERKT_EUlibE_EEviT1_.num_named_barrier, 0
	.set _ZN2at6native32elementwise_kernel_manual_unrollILi128ELi4EZNS0_22gpu_kernel_impl_nocastINS0_11FillFunctorIlEEEEvRNS_18TensorIteratorBaseERKT_EUlibE_EEviT1_.private_seg_size, 0
	.set _ZN2at6native32elementwise_kernel_manual_unrollILi128ELi4EZNS0_22gpu_kernel_impl_nocastINS0_11FillFunctorIlEEEEvRNS_18TensorIteratorBaseERKT_EUlibE_EEviT1_.uses_vcc, 1
	.set _ZN2at6native32elementwise_kernel_manual_unrollILi128ELi4EZNS0_22gpu_kernel_impl_nocastINS0_11FillFunctorIlEEEEvRNS_18TensorIteratorBaseERKT_EUlibE_EEviT1_.uses_flat_scratch, 0
	.set _ZN2at6native32elementwise_kernel_manual_unrollILi128ELi4EZNS0_22gpu_kernel_impl_nocastINS0_11FillFunctorIlEEEEvRNS_18TensorIteratorBaseERKT_EUlibE_EEviT1_.has_dyn_sized_stack, 0
	.set _ZN2at6native32elementwise_kernel_manual_unrollILi128ELi4EZNS0_22gpu_kernel_impl_nocastINS0_11FillFunctorIlEEEEvRNS_18TensorIteratorBaseERKT_EUlibE_EEviT1_.has_recursion, 0
	.set _ZN2at6native32elementwise_kernel_manual_unrollILi128ELi4EZNS0_22gpu_kernel_impl_nocastINS0_11FillFunctorIlEEEEvRNS_18TensorIteratorBaseERKT_EUlibE_EEviT1_.has_indirect_call, 0
	.section	.AMDGPU.csdata,"",@progbits
; Kernel info:
; codeLenInByte = 5008
; TotalNumSgprs: 58
; NumVgprs: 12
; ScratchSize: 0
; MemoryBound: 0
; FloatMode: 240
; IeeeMode: 1
; LDSByteSize: 0 bytes/workgroup (compile time only)
; SGPRBlocks: 7
; VGPRBlocks: 2
; NumSGPRsForWavesPerEU: 58
; NumVGPRsForWavesPerEU: 12
; Occupancy: 10
; WaveLimiterHint : 1
; COMPUTE_PGM_RSRC2:SCRATCH_EN: 0
; COMPUTE_PGM_RSRC2:USER_SGPR: 6
; COMPUTE_PGM_RSRC2:TRAP_HANDLER: 0
; COMPUTE_PGM_RSRC2:TGID_X_EN: 1
; COMPUTE_PGM_RSRC2:TGID_Y_EN: 0
; COMPUTE_PGM_RSRC2:TGID_Z_EN: 0
; COMPUTE_PGM_RSRC2:TIDIG_COMP_CNT: 0
	.section	.text._ZN2at6native32elementwise_kernel_manual_unrollILi128ELi4EZNS0_15gpu_kernel_implINS0_11FillFunctorIlEEEEvRNS_18TensorIteratorBaseERKT_EUlibE_EEviT1_,"axG",@progbits,_ZN2at6native32elementwise_kernel_manual_unrollILi128ELi4EZNS0_15gpu_kernel_implINS0_11FillFunctorIlEEEEvRNS_18TensorIteratorBaseERKT_EUlibE_EEviT1_,comdat
	.protected	_ZN2at6native32elementwise_kernel_manual_unrollILi128ELi4EZNS0_15gpu_kernel_implINS0_11FillFunctorIlEEEEvRNS_18TensorIteratorBaseERKT_EUlibE_EEviT1_ ; -- Begin function _ZN2at6native32elementwise_kernel_manual_unrollILi128ELi4EZNS0_15gpu_kernel_implINS0_11FillFunctorIlEEEEvRNS_18TensorIteratorBaseERKT_EUlibE_EEviT1_
	.globl	_ZN2at6native32elementwise_kernel_manual_unrollILi128ELi4EZNS0_15gpu_kernel_implINS0_11FillFunctorIlEEEEvRNS_18TensorIteratorBaseERKT_EUlibE_EEviT1_
	.p2align	8
	.type	_ZN2at6native32elementwise_kernel_manual_unrollILi128ELi4EZNS0_15gpu_kernel_implINS0_11FillFunctorIlEEEEvRNS_18TensorIteratorBaseERKT_EUlibE_EEviT1_,@function
_ZN2at6native32elementwise_kernel_manual_unrollILi128ELi4EZNS0_15gpu_kernel_implINS0_11FillFunctorIlEEEEvRNS_18TensorIteratorBaseERKT_EUlibE_EEviT1_: ; @_ZN2at6native32elementwise_kernel_manual_unrollILi128ELi4EZNS0_15gpu_kernel_implINS0_11FillFunctorIlEEEEvRNS_18TensorIteratorBaseERKT_EUlibE_EEviT1_
; %bb.0:
	v_lshl_or_b32 v15, s6, 9, v0
	s_load_dword s48, s[4:5], 0x0
	s_load_dwordx2 s[10:11], s[4:5], 0x8
	s_load_dword s33, s[4:5], 0x10
	s_load_dwordx2 s[8:9], s[4:5], 0x18
	s_load_dword s52, s[4:5], 0x20
	v_or_b32_e32 v0, 0x180, v15
	s_waitcnt lgkmcnt(0)
	v_cmp_le_i32_e32 vcc, s48, v0
	s_mov_b64 s[6:7], 0
	s_mov_b64 s[0:1], 0
	s_and_saveexec_b64 s[2:3], vcc
	s_xor_b64 s[12:13], exec, s[2:3]
	s_cbranch_execz .LBB30_404
; %bb.1:
	s_xor_b32 s1, s8, s9
	s_flbit_i32 s0, s9
	s_ashr_i32 s1, s1, 31
	s_add_i32 s0, s0, -1
	s_add_i32 s1, s1, 32
	s_min_u32 s2, s0, s1
	s_lshl_b64 s[0:1], s[8:9], s2
	s_min_u32 s0, s0, 1
	s_or_b32 s0, s1, s0
	v_cvt_f32_i32_e32 v0, s0
	s_sub_i32 s0, 32, s2
	s_mov_b64 s[38:39], 0
	s_mov_b64 s[36:37], -1
	v_ldexp_f32 v4, v0, s0
	v_and_b32_e32 v2, 0x400000, v4
	v_bfe_u32 v1, v4, 23, 8
	s_movk_i32 s0, 0xff
	v_cmp_ne_u32_e32 vcc, 0, v2
	v_and_b32_e32 v2, 0x3fffff, v4
	v_cmp_eq_u32_e64 s[4:5], s0, v1
	v_or_b32_e32 v1, v1, v2
	v_cmp_ne_u32_e64 s[0:1], 0, v1
	v_readfirstlane_b32 s16, v4
	s_and_b64 s[0:1], vcc, s[0:1]
	s_and_b32 s30, s16, 0x7fffffff
	s_cmp_lt_u32 s30, 0x43800000
	s_cselect_b64 s[26:27], -1, 0
	s_cmp_gt_u32 s30, 0x3bffffff
	v_cndmask_b32_e64 v1, 0, 1, s[0:1]
	s_cselect_b64 s[2:3], -1, 0
	s_bfe_u32 s0, s16, 0x10014
	s_add_i32 s17, s16, s0
	s_add_i32 s0, s17, 0x487ffff
	s_lshr_b32 s60, s0, 20
	s_mov_b32 s0, 0x46000000
	v_add_f32_e64 v13, |v4|, s0
	v_readfirstlane_b32 s0, v13
	s_and_b32 s0, s0, 0xff
	s_cmp_lg_u32 s0, 0
	s_cselect_b64 s[28:29], -1, 0
	s_cmp_gt_u32 s30, 0x477fffff
	s_cselect_b64 s[14:15], -1, 0
	s_cmp_lt_u32 s30, 0x47800000
	s_movk_i32 s0, 0x80
	s_cselect_b64 s[22:23], -1, 0
	s_cmp_gt_u32 s30, 0x37ffffff
	v_and_b32_sdwa v10, v4, s0 dst_sel:DWORD dst_unused:UNUSED_PAD src0_sel:BYTE_3 src1_sel:DWORD
	s_cselect_b64 s[0:1], -1, 0
	s_bfe_u32 s18, s16, 0x10015
	s_add_i32 s31, s16, s18
	s_add_i32 s16, s31, 0x88fffff
	s_lshr_b32 s56, s16, 21
	s_mov_b32 s16, 0x42800000
	v_add_f32_e64 v12, |v4|, s16
	v_readfirstlane_b32 s16, v12
	s_and_b32 s16, s16, 0xff
	s_cmp_lg_u32 s16, 0
	s_cselect_b64 s[24:25], -1, 0
	s_cmp_gt_u32 s30, 0x43efffff
	s_cselect_b64 s[18:19], -1, 0
	s_cmp_lt_u32 s30, 0x3c800000
	s_cselect_b64 s[20:21], -1, 0
	s_add_i32 s17, s17, 0x407ffff
	s_lshr_b32 s16, s17, 20
	s_and_b32 s17, s17, 0xff00000
	s_cmp_lg_u32 s17, 0x7f00000
	v_lshrrev_b32_e32 v0, 23, v4
	s_cselect_b32 s54, s16, 0x7e
	s_mov_b32 s16, 0x46800000
	v_add_u32_e32 v14, v0, v1
	v_add_f32_e64 v0, |v4|, s16
	v_readfirstlane_b32 s55, v0
	v_cvt_f64_i32_e32 v[0:1], s9
	s_cmp_lt_u32 s30, 0x38800000
	s_cselect_b64 s[16:17], -1, 0
	s_add_i32 s31, s31, 0x80fffff
	s_lshr_b32 s53, s31, 21
	s_cmp_gt_u32 s30, 0x7f800000
	s_movk_i32 s30, 0x7f
	v_ldexp_f64 v[0:1], v[0:1], 32
	s_cselect_b32 s58, s30, 0x7e
	s_mov_b32 s30, 0x43000000
	v_add_f32_e64 v2, |v4|, s30
	v_readfirstlane_b32 s57, v2
	v_bfe_u32 v2, v4, 16, 1
	v_add_u32_e32 v5, v4, v2
	v_cvt_f64_u32_e32 v[2:3], s8
	s_movk_i32 s30, 0x7c
	v_cvt_f16_f32_e32 v8, v4
	s_cselect_b32 s59, 0x7f, s30
	v_add_f64 v[0:1], v[0:1], v[2:3]
	s_cmp_lg_u64 s[8:9], 0
	v_add_u32_e32 v5, 0x7fff, v5
	s_cselect_b64 s[30:31], -1, 0
	v_lshrrev_b32_e32 v11, 16, v5
	v_cndmask_b32_e64 v9, 0, 1, s[30:31]
	v_cmp_gt_i32_e32 vcc, s48, v15
	s_mov_b64 s[30:31], 0
	s_and_saveexec_b64 s[34:35], vcc
	s_cbranch_execz .LBB30_100
; %bb.2:
	v_mul_lo_u32 v2, v15, s33
	v_mov_b32_e32 v3, s11
	s_and_b32 s42, s52, 0xff
	s_cmp_lt_i32 s42, 11
	v_ashrrev_i32_e32 v5, 31, v2
	v_add_co_u32_e32 v6, vcc, s10, v2
	v_addc_co_u32_e32 v7, vcc, v3, v5, vcc
	s_cbranch_scc1 .LBB30_9
; %bb.3:
	s_and_b32 s43, 0xffff, s42
	s_cmp_gt_i32 s43, 25
	s_cbranch_scc0 .LBB30_12
; %bb.4:
	s_cmp_gt_i32 s43, 28
	s_cbranch_scc0 .LBB30_13
; %bb.5:
	;; [unrolled: 3-line block ×4, first 2 shown]
	s_mov_b64 s[40:41], 0
	s_mov_b64 s[30:31], -1
	s_cmp_eq_u32 s43, 46
	s_mov_b64 s[36:37], 0
	s_cbranch_scc0 .LBB30_16
; %bb.8:
	global_store_dword v[6:7], v11, off
	s_mov_b64 s[36:37], -1
	s_mov_b64 s[30:31], 0
	s_branch .LBB30_16
.LBB30_9:
	s_mov_b64 s[36:37], 0
	s_cbranch_execnz .LBB30_60
.LBB30_10:
	s_andn2_b64 vcc, exec, s[36:37]
	s_cbranch_vccnz .LBB30_98
.LBB30_11:
	v_add_u32_e32 v15, 0x80, v15
	s_mov_b64 s[36:37], -1
	s_branch .LBB30_99
.LBB30_12:
	s_mov_b64 s[36:37], 0
	s_cbranch_execnz .LBB30_38
	s_branch .LBB30_59
.LBB30_13:
	s_mov_b64 s[40:41], -1
	s_mov_b64 s[36:37], 0
	s_branch .LBB30_24
.LBB30_14:
	s_mov_b64 s[40:41], -1
	s_mov_b64 s[36:37], 0
	s_branch .LBB30_20
.LBB30_15:
	s_mov_b64 s[40:41], -1
	s_mov_b64 s[36:37], 0
.LBB30_16:
	s_and_b64 vcc, exec, s[40:41]
	s_cbranch_vccz .LBB30_19
; %bb.17:
	s_cmp_eq_u32 s43, 44
	s_mov_b64 s[30:31], -1
	s_cbranch_scc0 .LBB30_19
; %bb.18:
	v_mov_b32_e32 v2, 0xffff
	v_cndmask_b32_e64 v2, v14, v2, s[4:5]
	global_store_byte v[6:7], v2, off
	s_mov_b64 s[36:37], -1
	s_mov_b64 s[30:31], 0
.LBB30_19:
	s_mov_b64 s[40:41], 0
.LBB30_20:
	s_and_b64 vcc, exec, s[40:41]
	s_cbranch_vccz .LBB30_23
; %bb.21:
	s_cmp_eq_u32 s43, 29
	s_mov_b64 s[30:31], -1
	s_cbranch_scc0 .LBB30_23
; %bb.22:
	v_mov_b32_e32 v2, s8
	v_mov_b32_e32 v3, s9
	global_store_dwordx2 v[6:7], v[2:3], off
	s_mov_b64 s[36:37], -1
	s_mov_b64 s[30:31], 0
.LBB30_23:
	s_mov_b64 s[40:41], 0
.LBB30_24:
	s_and_b64 vcc, exec, s[40:41]
	s_cbranch_vccz .LBB30_37
; %bb.25:
	s_cmp_lt_i32 s43, 27
	s_mov_b64 s[36:37], -1
	s_cbranch_scc1 .LBB30_31
; %bb.26:
	s_cmp_gt_i32 s43, 27
	s_cbranch_scc0 .LBB30_28
; %bb.27:
	v_mov_b32_e32 v2, s8
	s_mov_b64 s[36:37], 0
	global_store_dword v[6:7], v2, off
.LBB30_28:
	s_andn2_b64 vcc, exec, s[36:37]
	s_cbranch_vccnz .LBB30_30
; %bb.29:
	v_mov_b32_e32 v2, s8
	global_store_short v[6:7], v2, off
.LBB30_30:
	s_mov_b64 s[36:37], 0
.LBB30_31:
	s_andn2_b64 vcc, exec, s[36:37]
	s_cbranch_vccnz .LBB30_36
; %bb.32:
	s_andn2_b64 vcc, exec, s[26:27]
	v_mov_b32_e32 v2, 0x80
	s_cbranch_vccnz .LBB30_35
; %bb.33:
	s_or_b64 s[36:37], s[2:3], s[28:29]
	s_andn2_b64 vcc, exec, s[36:37]
	v_mov_b32_e32 v2, 0
	s_cbranch_vccnz .LBB30_35
; %bb.34:
	v_mov_b32_e32 v2, s60
	v_cndmask_b32_e64 v2, v13, v2, s[2:3]
	v_or_b32_e32 v2, v2, v10
.LBB30_35:
	global_store_byte v[6:7], v2, off
.LBB30_36:
	s_mov_b64 s[36:37], -1
.LBB30_37:
	s_branch .LBB30_59
.LBB30_38:
	s_cmp_gt_i32 s43, 22
	s_mov_b64 s[40:41], -1
	s_cbranch_scc0 .LBB30_51
; %bb.39:
	s_cmp_lt_i32 s43, 24
	s_mov_b64 s[36:37], -1
	s_cbranch_scc1 .LBB30_48
; %bb.40:
	s_cmp_gt_i32 s43, 24
	s_cbranch_scc0 .LBB30_45
; %bb.41:
	s_andn2_b64 vcc, exec, s[22:23]
	v_mov_b32_e32 v2, 0x80
	s_cbranch_vccnz .LBB30_44
; %bb.42:
	s_or_b64 s[36:37], s[0:1], s[24:25]
	s_andn2_b64 vcc, exec, s[36:37]
	v_mov_b32_e32 v2, 0
	s_cbranch_vccnz .LBB30_44
; %bb.43:
	v_mov_b32_e32 v2, s56
	v_cndmask_b32_e64 v2, v12, v2, s[0:1]
	v_or_b32_e32 v2, v2, v10
.LBB30_44:
	s_mov_b64 s[36:37], 0
	global_store_byte v[6:7], v2, off
.LBB30_45:
	s_and_b64 vcc, exec, s[36:37]
	s_cbranch_vccz .LBB30_47
; %bb.46:
	s_and_b64 s[36:37], s[20:21], exec
	s_cselect_b32 s40, s55, s54
	s_and_b64 s[36:37], s[18:19], exec
	s_cselect_b32 s36, s58, s40
	v_or_b32_e32 v2, s36, v10
	global_store_byte v[6:7], v2, off
.LBB30_47:
	s_mov_b64 s[36:37], 0
.LBB30_48:
	s_andn2_b64 vcc, exec, s[36:37]
	s_cbranch_vccnz .LBB30_50
; %bb.49:
	s_and_b64 s[36:37], s[16:17], exec
	s_cselect_b32 s40, s57, s53
	s_and_b64 s[36:37], s[14:15], exec
	s_cselect_b32 s36, s59, s40
	v_or_b32_e32 v2, s36, v10
	global_store_byte v[6:7], v2, off
.LBB30_50:
	s_mov_b64 s[40:41], 0
	s_mov_b64 s[36:37], -1
.LBB30_51:
	s_andn2_b64 vcc, exec, s[40:41]
	s_cbranch_vccnz .LBB30_59
; %bb.52:
	s_cmp_gt_i32 s43, 14
	s_mov_b64 s[40:41], -1
	s_cbranch_scc0 .LBB30_56
; %bb.53:
	s_cmp_eq_u32 s43, 15
	s_mov_b64 s[30:31], -1
	s_cbranch_scc0 .LBB30_55
; %bb.54:
	global_store_short v[6:7], v11, off
	s_mov_b64 s[36:37], -1
	s_mov_b64 s[30:31], 0
.LBB30_55:
	s_mov_b64 s[40:41], 0
.LBB30_56:
	s_and_b64 vcc, exec, s[40:41]
	s_cbranch_vccz .LBB30_59
; %bb.57:
	s_cmp_eq_u32 s43, 11
	s_mov_b64 s[30:31], -1
	s_cbranch_scc0 .LBB30_59
; %bb.58:
	s_mov_b64 s[36:37], -1
	s_mov_b64 s[30:31], 0
	global_store_byte v[6:7], v9, off
.LBB30_59:
	s_branch .LBB30_10
.LBB30_60:
	s_and_b32 s40, 0xffff, s42
	s_cmp_lt_i32 s40, 5
	s_mov_b64 s[36:37], -1
	s_cbranch_scc1 .LBB30_81
; %bb.61:
	s_cmp_lt_i32 s40, 8
	s_cbranch_scc1 .LBB30_71
; %bb.62:
	s_cmp_lt_i32 s40, 9
	s_cbranch_scc1 .LBB30_68
; %bb.63:
	s_cmp_gt_i32 s40, 9
	s_cbranch_scc0 .LBB30_65
; %bb.64:
	v_mov_b32_e32 v2, 0
	v_mov_b32_e32 v3, v2
	global_store_dwordx4 v[6:7], v[0:3], off
	s_mov_b64 s[36:37], 0
.LBB30_65:
	s_andn2_b64 vcc, exec, s[36:37]
	s_cbranch_vccnz .LBB30_67
; %bb.66:
	v_mov_b32_e32 v5, 0
	global_store_dwordx2 v[6:7], v[4:5], off
.LBB30_67:
	s_mov_b64 s[36:37], 0
.LBB30_68:
	s_andn2_b64 vcc, exec, s[36:37]
	s_cbranch_vccnz .LBB30_70
; %bb.69:
	global_store_dword v[6:7], v8, off
.LBB30_70:
	s_mov_b64 s[36:37], 0
.LBB30_71:
	s_andn2_b64 vcc, exec, s[36:37]
	s_cbranch_vccnz .LBB30_80
; %bb.72:
	s_cmp_lt_i32 s40, 6
	s_mov_b64 s[36:37], -1
	s_cbranch_scc1 .LBB30_78
; %bb.73:
	s_cmp_gt_i32 s40, 6
	s_cbranch_scc0 .LBB30_75
; %bb.74:
	global_store_dwordx2 v[6:7], v[0:1], off
	s_mov_b64 s[36:37], 0
.LBB30_75:
	s_andn2_b64 vcc, exec, s[36:37]
	s_cbranch_vccnz .LBB30_77
; %bb.76:
	global_store_dword v[6:7], v4, off
.LBB30_77:
	s_mov_b64 s[36:37], 0
.LBB30_78:
	s_andn2_b64 vcc, exec, s[36:37]
	s_cbranch_vccnz .LBB30_80
; %bb.79:
	global_store_short v[6:7], v8, off
.LBB30_80:
	s_mov_b64 s[36:37], 0
.LBB30_81:
	s_andn2_b64 vcc, exec, s[36:37]
	s_cbranch_vccnz .LBB30_97
; %bb.82:
	s_cmp_lt_i32 s40, 2
	s_mov_b64 s[36:37], -1
	s_cbranch_scc1 .LBB30_92
; %bb.83:
	s_cmp_lt_i32 s40, 3
	s_cbranch_scc1 .LBB30_89
; %bb.84:
	s_cmp_gt_i32 s40, 3
	s_cbranch_scc0 .LBB30_86
; %bb.85:
	v_mov_b32_e32 v2, s8
	v_mov_b32_e32 v3, s9
	global_store_dwordx2 v[6:7], v[2:3], off
	s_mov_b64 s[36:37], 0
.LBB30_86:
	s_andn2_b64 vcc, exec, s[36:37]
	s_cbranch_vccnz .LBB30_88
; %bb.87:
	v_mov_b32_e32 v2, s8
	global_store_dword v[6:7], v2, off
.LBB30_88:
	s_mov_b64 s[36:37], 0
.LBB30_89:
	s_andn2_b64 vcc, exec, s[36:37]
	s_cbranch_vccnz .LBB30_91
; %bb.90:
	v_mov_b32_e32 v2, s8
	global_store_short v[6:7], v2, off
.LBB30_91:
	s_mov_b64 s[36:37], 0
.LBB30_92:
	s_andn2_b64 vcc, exec, s[36:37]
	s_cbranch_vccnz .LBB30_97
; %bb.93:
	s_cmp_gt_i32 s40, 0
	s_mov_b64 s[36:37], -1
	s_cbranch_scc0 .LBB30_95
; %bb.94:
	v_mov_b32_e32 v2, s8
	global_store_byte v[6:7], v2, off
	s_mov_b64 s[36:37], 0
.LBB30_95:
	s_andn2_b64 vcc, exec, s[36:37]
	s_cbranch_vccnz .LBB30_97
; %bb.96:
	v_mov_b32_e32 v2, s8
	global_store_byte v[6:7], v2, off
.LBB30_97:
	s_branch .LBB30_11
.LBB30_98:
	s_mov_b64 s[36:37], 0
                                        ; implicit-def: $vgpr15
.LBB30_99:
	s_and_b64 s[30:31], s[30:31], exec
	s_orn2_b64 s[36:37], s[36:37], exec
.LBB30_100:
	s_or_b64 exec, exec, s[34:35]
	s_mov_b64 s[40:41], 0
                                        ; implicit-def: $sgpr61
                                        ; implicit-def: $vgpr6_vgpr7
	s_and_saveexec_b64 s[34:35], s[36:37]
	s_cbranch_execz .LBB30_109
; %bb.101:
	v_cmp_gt_i32_e32 vcc, s48, v15
	s_mov_b64 s[42:43], -1
	s_mov_b64 s[36:37], s[30:31]
	s_and_saveexec_b64 s[38:39], vcc
	s_cbranch_execz .LBB30_204
; %bb.102:
	v_mul_lo_u32 v2, v15, s33
	v_mov_b32_e32 v3, s11
	s_and_b32 s44, s52, 0xff
	s_cmp_lt_i32 s44, 11
	v_ashrrev_i32_e32 v5, 31, v2
	v_add_co_u32_e32 v6, vcc, s10, v2
	v_addc_co_u32_e32 v7, vcc, v3, v5, vcc
	s_cbranch_scc1 .LBB30_112
; %bb.103:
	s_and_b32 s45, 0xffff, s44
	s_cmp_gt_i32 s45, 25
	s_cbranch_scc0 .LBB30_115
; %bb.104:
	s_cmp_gt_i32 s45, 28
	s_cbranch_scc0 .LBB30_116
; %bb.105:
	;; [unrolled: 3-line block ×4, first 2 shown]
	s_mov_b64 s[42:43], 0
	s_mov_b64 s[36:37], -1
	s_cmp_eq_u32 s45, 46
	s_cbranch_scc0 .LBB30_119
; %bb.108:
	global_store_dword v[6:7], v11, off
	s_mov_b64 s[40:41], -1
	s_mov_b64 s[36:37], 0
	s_branch .LBB30_119
.LBB30_109:
	s_or_b64 exec, exec, s[34:35]
	s_mov_b64 s[0:1], 0
	s_and_saveexec_b64 s[2:3], s[30:31]
	s_cbranch_execnz .LBB30_364
.LBB30_110:
	s_or_b64 exec, exec, s[2:3]
	s_and_saveexec_b64 s[2:3], s[38:39]
	s_xor_b64 s[2:3], exec, s[2:3]
	s_cbranch_execz .LBB30_365
.LBB30_111:
	global_store_byte v[6:7], v9, off
	s_or_b64 exec, exec, s[2:3]
	s_and_saveexec_b64 s[2:3], s[40:41]
	s_xor_b64 s[2:3], exec, s[2:3]
	s_cbranch_execz .LBB30_403
	s_branch .LBB30_366
.LBB30_112:
	s_mov_b64 s[36:37], s[30:31]
	s_and_b64 vcc, exec, s[42:43]
	s_cbranch_vccnz .LBB30_164
.LBB30_113:
	s_andn2_b64 vcc, exec, s[40:41]
	s_cbranch_vccnz .LBB30_202
.LBB30_114:
	v_add_u32_e32 v15, 0x80, v15
	s_mov_b64 s[40:41], -1
	s_branch .LBB30_203
.LBB30_115:
	s_mov_b64 s[36:37], s[30:31]
	s_branch .LBB30_141
.LBB30_116:
	s_mov_b64 s[36:37], s[30:31]
	s_branch .LBB30_127
.LBB30_117:
	s_mov_b64 s[36:37], s[30:31]
	s_branch .LBB30_123
.LBB30_118:
	s_mov_b64 s[36:37], s[30:31]
.LBB30_119:
	s_and_b64 vcc, exec, s[42:43]
	s_cbranch_vccz .LBB30_122
; %bb.120:
	s_cmp_eq_u32 s45, 44
	s_mov_b64 s[36:37], -1
	s_cbranch_scc0 .LBB30_122
; %bb.121:
	v_mov_b32_e32 v2, 0xffff
	v_cndmask_b32_e64 v2, v14, v2, s[4:5]
	s_mov_b64 s[40:41], -1
	s_mov_b64 s[36:37], 0
	global_store_byte v[6:7], v2, off
.LBB30_122:
	s_mov_b64 s[42:43], 0
.LBB30_123:
	s_and_b64 vcc, exec, s[42:43]
	s_cbranch_vccz .LBB30_126
; %bb.124:
	s_cmp_eq_u32 s45, 29
	s_mov_b64 s[36:37], -1
	s_cbranch_scc0 .LBB30_126
; %bb.125:
	v_mov_b32_e32 v2, s8
	v_mov_b32_e32 v3, s9
	global_store_dwordx2 v[6:7], v[2:3], off
	s_mov_b64 s[40:41], -1
	s_mov_b64 s[36:37], 0
.LBB30_126:
	s_mov_b64 s[42:43], 0
.LBB30_127:
	s_and_b64 vcc, exec, s[42:43]
	s_cbranch_vccz .LBB30_140
; %bb.128:
	s_cmp_lt_i32 s45, 27
	s_mov_b64 s[40:41], -1
	s_cbranch_scc1 .LBB30_134
; %bb.129:
	s_cmp_gt_i32 s45, 27
	s_cbranch_scc0 .LBB30_131
; %bb.130:
	v_mov_b32_e32 v2, s8
	s_mov_b64 s[40:41], 0
	global_store_dword v[6:7], v2, off
.LBB30_131:
	s_andn2_b64 vcc, exec, s[40:41]
	s_cbranch_vccnz .LBB30_133
; %bb.132:
	v_mov_b32_e32 v2, s8
	global_store_short v[6:7], v2, off
.LBB30_133:
	s_mov_b64 s[40:41], 0
.LBB30_134:
	s_andn2_b64 vcc, exec, s[40:41]
	s_cbranch_vccnz .LBB30_139
; %bb.135:
	s_andn2_b64 vcc, exec, s[26:27]
	v_mov_b32_e32 v2, 0x80
	s_cbranch_vccnz .LBB30_138
; %bb.136:
	s_or_b64 s[40:41], s[2:3], s[28:29]
	s_andn2_b64 vcc, exec, s[40:41]
	v_mov_b32_e32 v2, 0
	s_cbranch_vccnz .LBB30_138
; %bb.137:
	v_mov_b32_e32 v2, s60
	v_cndmask_b32_e64 v2, v13, v2, s[2:3]
	v_or_b32_e32 v2, v2, v10
.LBB30_138:
	global_store_byte v[6:7], v2, off
.LBB30_139:
	s_mov_b64 s[40:41], -1
.LBB30_140:
	s_mov_b64 s[42:43], 0
.LBB30_141:
	s_and_b64 vcc, exec, s[42:43]
	s_cbranch_vccz .LBB30_163
; %bb.142:
	s_cmp_gt_i32 s45, 22
	s_mov_b64 s[42:43], -1
	s_cbranch_scc0 .LBB30_155
; %bb.143:
	s_cmp_lt_i32 s45, 24
	s_mov_b64 s[40:41], -1
	s_cbranch_scc1 .LBB30_152
; %bb.144:
	s_cmp_gt_i32 s45, 24
	s_cbranch_scc0 .LBB30_149
; %bb.145:
	s_andn2_b64 vcc, exec, s[22:23]
	v_mov_b32_e32 v2, 0x80
	s_cbranch_vccnz .LBB30_148
; %bb.146:
	s_or_b64 s[40:41], s[0:1], s[24:25]
	s_andn2_b64 vcc, exec, s[40:41]
	v_mov_b32_e32 v2, 0
	s_cbranch_vccnz .LBB30_148
; %bb.147:
	v_mov_b32_e32 v2, s56
	v_cndmask_b32_e64 v2, v12, v2, s[0:1]
	v_or_b32_e32 v2, v2, v10
.LBB30_148:
	s_mov_b64 s[40:41], 0
	global_store_byte v[6:7], v2, off
.LBB30_149:
	s_and_b64 vcc, exec, s[40:41]
	s_cbranch_vccz .LBB30_151
; %bb.150:
	s_and_b64 s[40:41], s[20:21], exec
	s_cselect_b32 s42, s55, s54
	s_and_b64 s[40:41], s[18:19], exec
	s_cselect_b32 s40, s58, s42
	v_or_b32_e32 v2, s40, v10
	global_store_byte v[6:7], v2, off
.LBB30_151:
	s_mov_b64 s[40:41], 0
.LBB30_152:
	s_andn2_b64 vcc, exec, s[40:41]
	s_cbranch_vccnz .LBB30_154
; %bb.153:
	s_and_b64 s[40:41], s[16:17], exec
	s_cselect_b32 s42, s57, s53
	s_and_b64 s[40:41], s[14:15], exec
	s_cselect_b32 s40, s59, s42
	v_or_b32_e32 v2, s40, v10
	global_store_byte v[6:7], v2, off
.LBB30_154:
	s_mov_b64 s[42:43], 0
	s_mov_b64 s[40:41], -1
.LBB30_155:
	s_andn2_b64 vcc, exec, s[42:43]
	s_cbranch_vccnz .LBB30_163
; %bb.156:
	s_cmp_gt_i32 s45, 14
	s_mov_b64 s[42:43], -1
	s_cbranch_scc0 .LBB30_160
; %bb.157:
	s_cmp_eq_u32 s45, 15
	s_mov_b64 s[36:37], -1
	s_cbranch_scc0 .LBB30_159
; %bb.158:
	global_store_short v[6:7], v11, off
	s_mov_b64 s[40:41], -1
	s_mov_b64 s[36:37], 0
.LBB30_159:
	s_mov_b64 s[42:43], 0
.LBB30_160:
	s_and_b64 vcc, exec, s[42:43]
	s_cbranch_vccz .LBB30_163
; %bb.161:
	s_cmp_eq_u32 s45, 11
	s_mov_b64 s[36:37], -1
	s_cbranch_scc0 .LBB30_163
; %bb.162:
	s_mov_b64 s[40:41], -1
	s_mov_b64 s[36:37], 0
	global_store_byte v[6:7], v9, off
.LBB30_163:
	s_branch .LBB30_113
.LBB30_164:
	s_and_b32 s42, 0xffff, s44
	s_cmp_lt_i32 s42, 5
	s_mov_b64 s[40:41], -1
	s_cbranch_scc1 .LBB30_185
; %bb.165:
	s_cmp_lt_i32 s42, 8
	s_cbranch_scc1 .LBB30_175
; %bb.166:
	s_cmp_lt_i32 s42, 9
	s_cbranch_scc1 .LBB30_172
; %bb.167:
	s_cmp_gt_i32 s42, 9
	s_cbranch_scc0 .LBB30_169
; %bb.168:
	v_mov_b32_e32 v2, 0
	v_mov_b32_e32 v3, v2
	s_mov_b64 s[40:41], 0
	global_store_dwordx4 v[6:7], v[0:3], off
.LBB30_169:
	s_andn2_b64 vcc, exec, s[40:41]
	s_cbranch_vccnz .LBB30_171
; %bb.170:
	v_mov_b32_e32 v5, 0
	global_store_dwordx2 v[6:7], v[4:5], off
.LBB30_171:
	s_mov_b64 s[40:41], 0
.LBB30_172:
	s_andn2_b64 vcc, exec, s[40:41]
	s_cbranch_vccnz .LBB30_174
; %bb.173:
	global_store_dword v[6:7], v8, off
.LBB30_174:
	s_mov_b64 s[40:41], 0
.LBB30_175:
	s_andn2_b64 vcc, exec, s[40:41]
	s_cbranch_vccnz .LBB30_184
; %bb.176:
	s_cmp_lt_i32 s42, 6
	s_mov_b64 s[40:41], -1
	s_cbranch_scc1 .LBB30_182
; %bb.177:
	s_cmp_gt_i32 s42, 6
	s_cbranch_scc0 .LBB30_179
; %bb.178:
	s_mov_b64 s[40:41], 0
	global_store_dwordx2 v[6:7], v[0:1], off
.LBB30_179:
	s_andn2_b64 vcc, exec, s[40:41]
	s_cbranch_vccnz .LBB30_181
; %bb.180:
	global_store_dword v[6:7], v4, off
.LBB30_181:
	s_mov_b64 s[40:41], 0
.LBB30_182:
	s_andn2_b64 vcc, exec, s[40:41]
	s_cbranch_vccnz .LBB30_184
; %bb.183:
	global_store_short v[6:7], v8, off
.LBB30_184:
	s_mov_b64 s[40:41], 0
.LBB30_185:
	s_andn2_b64 vcc, exec, s[40:41]
	s_cbranch_vccnz .LBB30_201
; %bb.186:
	s_cmp_lt_i32 s42, 2
	s_mov_b64 s[40:41], -1
	s_cbranch_scc1 .LBB30_196
; %bb.187:
	s_cmp_lt_i32 s42, 3
	s_cbranch_scc1 .LBB30_193
; %bb.188:
	s_cmp_gt_i32 s42, 3
	s_cbranch_scc0 .LBB30_190
; %bb.189:
	v_mov_b32_e32 v2, s8
	v_mov_b32_e32 v3, s9
	s_mov_b64 s[40:41], 0
	global_store_dwordx2 v[6:7], v[2:3], off
.LBB30_190:
	s_andn2_b64 vcc, exec, s[40:41]
	s_cbranch_vccnz .LBB30_192
; %bb.191:
	v_mov_b32_e32 v2, s8
	global_store_dword v[6:7], v2, off
.LBB30_192:
	s_mov_b64 s[40:41], 0
.LBB30_193:
	s_andn2_b64 vcc, exec, s[40:41]
	s_cbranch_vccnz .LBB30_195
; %bb.194:
	v_mov_b32_e32 v2, s8
	global_store_short v[6:7], v2, off
.LBB30_195:
	s_mov_b64 s[40:41], 0
.LBB30_196:
	s_andn2_b64 vcc, exec, s[40:41]
	s_cbranch_vccnz .LBB30_201
; %bb.197:
	s_cmp_gt_i32 s42, 0
	s_mov_b64 s[40:41], -1
	s_cbranch_scc0 .LBB30_199
; %bb.198:
	v_mov_b32_e32 v2, s8
	s_mov_b64 s[40:41], 0
	global_store_byte v[6:7], v2, off
.LBB30_199:
	s_andn2_b64 vcc, exec, s[40:41]
	s_cbranch_vccnz .LBB30_201
; %bb.200:
	v_mov_b32_e32 v2, s8
	global_store_byte v[6:7], v2, off
.LBB30_201:
	s_branch .LBB30_114
.LBB30_202:
	s_mov_b64 s[40:41], 0
                                        ; implicit-def: $vgpr15
.LBB30_203:
	s_andn2_b64 s[42:43], s[30:31], exec
	s_and_b64 s[36:37], s[36:37], exec
	s_or_b64 s[36:37], s[42:43], s[36:37]
	s_orn2_b64 s[42:43], s[40:41], exec
.LBB30_204:
	s_or_b64 exec, exec, s[38:39]
	s_mov_b64 s[44:45], 0
	s_mov_b64 s[40:41], 0
                                        ; implicit-def: $sgpr61
                                        ; implicit-def: $vgpr6_vgpr7
	s_and_saveexec_b64 s[38:39], s[42:43]
	s_cbranch_execz .LBB30_363
; %bb.205:
	v_cmp_gt_i32_e32 vcc, s48, v15
	s_mov_b64 s[46:47], -1
	s_mov_b64 s[42:43], s[36:37]
	s_and_saveexec_b64 s[40:41], vcc
	s_cbranch_execz .LBB30_306
; %bb.206:
	v_mul_lo_u32 v2, v15, s33
	v_mov_b32_e32 v3, s11
	s_and_b32 s49, s52, 0xff
	s_cmp_lt_i32 s49, 11
	v_ashrrev_i32_e32 v5, 31, v2
	v_add_co_u32_e32 v6, vcc, s10, v2
	v_addc_co_u32_e32 v7, vcc, v3, v5, vcc
	s_cbranch_scc1 .LBB30_213
; %bb.207:
	s_and_b32 s50, 0xffff, s49
	s_cmp_gt_i32 s50, 25
	s_cbranch_scc0 .LBB30_214
; %bb.208:
	s_cmp_gt_i32 s50, 28
	s_cbranch_scc0 .LBB30_215
; %bb.209:
	;; [unrolled: 3-line block ×4, first 2 shown]
	s_mov_b64 s[46:47], 0
	s_mov_b64 s[42:43], -1
	s_cmp_eq_u32 s50, 46
	s_cbranch_scc0 .LBB30_218
; %bb.212:
	global_store_dword v[6:7], v11, off
	s_mov_b64 s[44:45], -1
	s_mov_b64 s[42:43], 0
	s_branch .LBB30_218
.LBB30_213:
	s_mov_b64 s[42:43], s[36:37]
	s_branch .LBB30_263
.LBB30_214:
	s_mov_b64 s[42:43], s[36:37]
	s_branch .LBB30_240
.LBB30_215:
	s_mov_b64 s[42:43], s[36:37]
	s_branch .LBB30_226
.LBB30_216:
	s_mov_b64 s[42:43], s[36:37]
	s_branch .LBB30_222
.LBB30_217:
	s_mov_b64 s[42:43], s[36:37]
.LBB30_218:
	s_and_b64 vcc, exec, s[46:47]
	s_cbranch_vccz .LBB30_221
; %bb.219:
	s_cmp_eq_u32 s50, 44
	s_mov_b64 s[42:43], -1
	s_cbranch_scc0 .LBB30_221
; %bb.220:
	v_mov_b32_e32 v2, 0xffff
	v_cndmask_b32_e64 v2, v14, v2, s[4:5]
	s_mov_b64 s[44:45], -1
	s_mov_b64 s[42:43], 0
	global_store_byte v[6:7], v2, off
.LBB30_221:
	s_mov_b64 s[46:47], 0
.LBB30_222:
	s_and_b64 vcc, exec, s[46:47]
	s_cbranch_vccz .LBB30_225
; %bb.223:
	s_cmp_eq_u32 s50, 29
	s_mov_b64 s[42:43], -1
	s_cbranch_scc0 .LBB30_225
; %bb.224:
	v_mov_b32_e32 v2, s8
	v_mov_b32_e32 v3, s9
	global_store_dwordx2 v[6:7], v[2:3], off
	s_mov_b64 s[44:45], -1
	s_mov_b64 s[42:43], 0
.LBB30_225:
	s_mov_b64 s[46:47], 0
.LBB30_226:
	s_and_b64 vcc, exec, s[46:47]
	s_cbranch_vccz .LBB30_239
; %bb.227:
	s_cmp_lt_i32 s50, 27
	s_mov_b64 s[44:45], -1
	s_cbranch_scc1 .LBB30_233
; %bb.228:
	s_cmp_gt_i32 s50, 27
	s_cbranch_scc0 .LBB30_230
; %bb.229:
	v_mov_b32_e32 v2, s8
	s_mov_b64 s[44:45], 0
	global_store_dword v[6:7], v2, off
.LBB30_230:
	s_andn2_b64 vcc, exec, s[44:45]
	s_cbranch_vccnz .LBB30_232
; %bb.231:
	v_mov_b32_e32 v2, s8
	global_store_short v[6:7], v2, off
.LBB30_232:
	s_mov_b64 s[44:45], 0
.LBB30_233:
	s_andn2_b64 vcc, exec, s[44:45]
	s_cbranch_vccnz .LBB30_238
; %bb.234:
	s_andn2_b64 vcc, exec, s[26:27]
	v_mov_b32_e32 v2, 0x80
	s_cbranch_vccnz .LBB30_237
; %bb.235:
	s_or_b64 s[44:45], s[2:3], s[28:29]
	s_andn2_b64 vcc, exec, s[44:45]
	v_mov_b32_e32 v2, 0
	s_cbranch_vccnz .LBB30_237
; %bb.236:
	v_mov_b32_e32 v2, s60
	v_cndmask_b32_e64 v2, v13, v2, s[2:3]
	v_or_b32_e32 v2, v2, v10
.LBB30_237:
	global_store_byte v[6:7], v2, off
.LBB30_238:
	s_mov_b64 s[44:45], -1
.LBB30_239:
	s_mov_b64 s[46:47], 0
.LBB30_240:
	s_and_b64 vcc, exec, s[46:47]
	s_cbranch_vccz .LBB30_262
; %bb.241:
	s_cmp_gt_i32 s50, 22
	s_mov_b64 s[46:47], -1
	s_cbranch_scc0 .LBB30_254
; %bb.242:
	s_cmp_lt_i32 s50, 24
	s_mov_b64 s[44:45], -1
	s_cbranch_scc1 .LBB30_251
; %bb.243:
	s_cmp_gt_i32 s50, 24
	s_cbranch_scc0 .LBB30_248
; %bb.244:
	s_andn2_b64 vcc, exec, s[22:23]
	v_mov_b32_e32 v2, 0x80
	s_cbranch_vccnz .LBB30_247
; %bb.245:
	s_or_b64 s[44:45], s[0:1], s[24:25]
	s_andn2_b64 vcc, exec, s[44:45]
	v_mov_b32_e32 v2, 0
	s_cbranch_vccnz .LBB30_247
; %bb.246:
	v_mov_b32_e32 v2, s56
	v_cndmask_b32_e64 v2, v12, v2, s[0:1]
	v_or_b32_e32 v2, v2, v10
.LBB30_247:
	s_mov_b64 s[44:45], 0
	global_store_byte v[6:7], v2, off
.LBB30_248:
	s_and_b64 vcc, exec, s[44:45]
	s_cbranch_vccz .LBB30_250
; %bb.249:
	s_and_b64 s[44:45], s[20:21], exec
	s_cselect_b32 s46, s55, s54
	s_and_b64 s[44:45], s[18:19], exec
	s_cselect_b32 s44, s58, s46
	v_or_b32_e32 v2, s44, v10
	global_store_byte v[6:7], v2, off
.LBB30_250:
	s_mov_b64 s[44:45], 0
.LBB30_251:
	s_andn2_b64 vcc, exec, s[44:45]
	s_cbranch_vccnz .LBB30_253
; %bb.252:
	s_and_b64 s[44:45], s[16:17], exec
	s_cselect_b32 s46, s57, s53
	s_and_b64 s[44:45], s[14:15], exec
	s_cselect_b32 s44, s59, s46
	v_or_b32_e32 v2, s44, v10
	global_store_byte v[6:7], v2, off
.LBB30_253:
	s_mov_b64 s[46:47], 0
	s_mov_b64 s[44:45], -1
.LBB30_254:
	s_andn2_b64 vcc, exec, s[46:47]
	s_cbranch_vccnz .LBB30_262
; %bb.255:
	s_cmp_gt_i32 s50, 14
	s_mov_b64 s[46:47], -1
	s_cbranch_scc0 .LBB30_259
; %bb.256:
	s_cmp_eq_u32 s50, 15
	s_mov_b64 s[42:43], -1
	s_cbranch_scc0 .LBB30_258
; %bb.257:
	global_store_short v[6:7], v11, off
	s_mov_b64 s[44:45], -1
	s_mov_b64 s[42:43], 0
.LBB30_258:
	s_mov_b64 s[46:47], 0
.LBB30_259:
	s_and_b64 vcc, exec, s[46:47]
	s_cbranch_vccz .LBB30_262
; %bb.260:
	s_cmp_eq_u32 s50, 11
	s_mov_b64 s[42:43], -1
	s_cbranch_scc0 .LBB30_262
; %bb.261:
	s_mov_b64 s[44:45], -1
	s_mov_b64 s[42:43], 0
	global_store_byte v[6:7], v9, off
.LBB30_262:
	s_mov_b64 s[46:47], 0
.LBB30_263:
	s_and_b64 vcc, exec, s[46:47]
	s_cbranch_vccz .LBB30_302
; %bb.264:
	s_and_b32 s46, 0xffff, s49
	s_cmp_lt_i32 s46, 5
	s_mov_b64 s[44:45], -1
	s_cbranch_scc1 .LBB30_285
; %bb.265:
	s_cmp_lt_i32 s46, 8
	s_cbranch_scc1 .LBB30_275
; %bb.266:
	s_cmp_lt_i32 s46, 9
	s_cbranch_scc1 .LBB30_272
; %bb.267:
	s_cmp_gt_i32 s46, 9
	s_cbranch_scc0 .LBB30_269
; %bb.268:
	v_mov_b32_e32 v2, 0
	v_mov_b32_e32 v3, v2
	s_mov_b64 s[44:45], 0
	global_store_dwordx4 v[6:7], v[0:3], off
.LBB30_269:
	s_andn2_b64 vcc, exec, s[44:45]
	s_cbranch_vccnz .LBB30_271
; %bb.270:
	v_mov_b32_e32 v5, 0
	global_store_dwordx2 v[6:7], v[4:5], off
.LBB30_271:
	s_mov_b64 s[44:45], 0
.LBB30_272:
	s_andn2_b64 vcc, exec, s[44:45]
	s_cbranch_vccnz .LBB30_274
; %bb.273:
	global_store_dword v[6:7], v8, off
.LBB30_274:
	s_mov_b64 s[44:45], 0
.LBB30_275:
	s_andn2_b64 vcc, exec, s[44:45]
	s_cbranch_vccnz .LBB30_284
; %bb.276:
	s_cmp_lt_i32 s46, 6
	s_mov_b64 s[44:45], -1
	s_cbranch_scc1 .LBB30_282
; %bb.277:
	s_cmp_gt_i32 s46, 6
	s_cbranch_scc0 .LBB30_279
; %bb.278:
	s_mov_b64 s[44:45], 0
	global_store_dwordx2 v[6:7], v[0:1], off
.LBB30_279:
	s_andn2_b64 vcc, exec, s[44:45]
	s_cbranch_vccnz .LBB30_281
; %bb.280:
	global_store_dword v[6:7], v4, off
.LBB30_281:
	s_mov_b64 s[44:45], 0
.LBB30_282:
	s_andn2_b64 vcc, exec, s[44:45]
	s_cbranch_vccnz .LBB30_284
; %bb.283:
	global_store_short v[6:7], v8, off
.LBB30_284:
	s_mov_b64 s[44:45], 0
.LBB30_285:
	s_andn2_b64 vcc, exec, s[44:45]
	s_cbranch_vccnz .LBB30_301
; %bb.286:
	s_cmp_lt_i32 s46, 2
	s_mov_b64 s[44:45], -1
	s_cbranch_scc1 .LBB30_296
; %bb.287:
	s_cmp_lt_i32 s46, 3
	s_cbranch_scc1 .LBB30_293
; %bb.288:
	s_cmp_gt_i32 s46, 3
	s_cbranch_scc0 .LBB30_290
; %bb.289:
	v_mov_b32_e32 v2, s8
	v_mov_b32_e32 v3, s9
	s_mov_b64 s[44:45], 0
	global_store_dwordx2 v[6:7], v[2:3], off
.LBB30_290:
	s_andn2_b64 vcc, exec, s[44:45]
	s_cbranch_vccnz .LBB30_292
; %bb.291:
	v_mov_b32_e32 v2, s8
	global_store_dword v[6:7], v2, off
.LBB30_292:
	s_mov_b64 s[44:45], 0
.LBB30_293:
	s_andn2_b64 vcc, exec, s[44:45]
	s_cbranch_vccnz .LBB30_295
; %bb.294:
	v_mov_b32_e32 v2, s8
	global_store_short v[6:7], v2, off
.LBB30_295:
	s_mov_b64 s[44:45], 0
.LBB30_296:
	s_andn2_b64 vcc, exec, s[44:45]
	s_cbranch_vccnz .LBB30_301
; %bb.297:
	s_cmp_gt_i32 s46, 0
	s_mov_b64 s[44:45], -1
	s_cbranch_scc0 .LBB30_299
; %bb.298:
	v_mov_b32_e32 v2, s8
	s_mov_b64 s[44:45], 0
	global_store_byte v[6:7], v2, off
.LBB30_299:
	s_andn2_b64 vcc, exec, s[44:45]
	s_cbranch_vccnz .LBB30_301
; %bb.300:
	v_mov_b32_e32 v2, s8
	global_store_byte v[6:7], v2, off
.LBB30_301:
	s_mov_b64 s[44:45], -1
.LBB30_302:
	s_andn2_b64 vcc, exec, s[44:45]
	s_cbranch_vccnz .LBB30_304
; %bb.303:
	v_add_u32_e32 v15, 0x80, v15
	s_mov_b64 s[44:45], -1
	s_branch .LBB30_305
.LBB30_304:
	s_mov_b64 s[44:45], 0
                                        ; implicit-def: $vgpr15
.LBB30_305:
	s_andn2_b64 s[46:47], s[36:37], exec
	s_and_b64 s[42:43], s[42:43], exec
	s_or_b64 s[42:43], s[46:47], s[42:43]
	s_orn2_b64 s[46:47], s[44:45], exec
.LBB30_306:
	s_or_b64 exec, exec, s[40:41]
	s_mov_b64 s[44:45], 0
	s_mov_b64 s[50:51], 0
                                        ; implicit-def: $sgpr61
                                        ; implicit-def: $vgpr6_vgpr7
	s_and_saveexec_b64 s[40:41], s[46:47]
	s_cbranch_execz .LBB30_362
; %bb.307:
	v_cmp_gt_i32_e32 vcc, s48, v15
	s_mov_b64 s[48:49], 0
	s_mov_b64 s[46:47], s[42:43]
                                        ; implicit-def: $sgpr61
                                        ; implicit-def: $vgpr6_vgpr7
	s_and_saveexec_b64 s[44:45], vcc
	s_cbranch_execz .LBB30_361
; %bb.308:
	v_mul_lo_u32 v2, v15, s33
	v_mov_b32_e32 v3, s11
	s_and_b32 s61, s52, 0xff
	s_cmp_lt_i32 s61, 11
	v_ashrrev_i32_e32 v5, 31, v2
	v_add_co_u32_e32 v6, vcc, s10, v2
	v_addc_co_u32_e32 v7, vcc, v3, v5, vcc
	s_cbranch_scc1 .LBB30_358
; %bb.309:
	s_and_b32 s50, 0xffff, s61
	s_mov_b64 s[48:49], -1
	s_cmp_gt_i32 s50, 25
	s_mov_b64 s[46:47], s[42:43]
	s_cbranch_scc0 .LBB30_337
; %bb.310:
	s_cmp_gt_i32 s50, 28
	s_mov_b64 s[46:47], s[42:43]
	s_cbranch_scc0 .LBB30_324
; %bb.311:
	;; [unrolled: 4-line block ×4, first 2 shown]
	s_cmp_eq_u32 s50, 46
	s_mov_b64 s[46:47], -1
	s_cbranch_scc0 .LBB30_315
; %bb.314:
	global_store_dword v[6:7], v11, off
	s_mov_b64 s[46:47], 0
.LBB30_315:
	s_mov_b64 s[48:49], 0
.LBB30_316:
	s_and_b64 vcc, exec, s[48:49]
	s_cbranch_vccz .LBB30_319
; %bb.317:
	s_cmp_eq_u32 s50, 44
	s_mov_b64 s[46:47], -1
	s_cbranch_scc0 .LBB30_319
; %bb.318:
	v_mov_b32_e32 v2, 0xffff
	v_cndmask_b32_e64 v2, v14, v2, s[4:5]
	global_store_byte v[6:7], v2, off
	s_mov_b64 s[46:47], 0
.LBB30_319:
	s_mov_b64 s[48:49], 0
.LBB30_320:
	s_and_b64 vcc, exec, s[48:49]
	s_cbranch_vccz .LBB30_323
; %bb.321:
	s_cmp_eq_u32 s50, 29
	s_mov_b64 s[46:47], -1
	s_cbranch_scc0 .LBB30_323
; %bb.322:
	v_mov_b32_e32 v2, s8
	v_mov_b32_e32 v3, s9
	global_store_dwordx2 v[6:7], v[2:3], off
	s_mov_b64 s[46:47], 0
.LBB30_323:
	s_mov_b64 s[48:49], 0
.LBB30_324:
	s_and_b64 vcc, exec, s[48:49]
	s_cbranch_vccz .LBB30_336
; %bb.325:
	s_cmp_lt_i32 s50, 27
	s_mov_b64 s[4:5], -1
	s_cbranch_scc1 .LBB30_331
; %bb.326:
	s_cmp_gt_i32 s50, 27
	s_cbranch_scc0 .LBB30_328
; %bb.327:
	v_mov_b32_e32 v2, s8
	s_mov_b64 s[4:5], 0
	global_store_dword v[6:7], v2, off
.LBB30_328:
	s_andn2_b64 vcc, exec, s[4:5]
	s_cbranch_vccnz .LBB30_330
; %bb.329:
	v_mov_b32_e32 v2, s8
	global_store_short v[6:7], v2, off
.LBB30_330:
	s_mov_b64 s[4:5], 0
.LBB30_331:
	s_andn2_b64 vcc, exec, s[4:5]
	s_cbranch_vccnz .LBB30_336
; %bb.332:
	s_andn2_b64 vcc, exec, s[26:27]
	v_mov_b32_e32 v2, 0x80
	s_cbranch_vccnz .LBB30_335
; %bb.333:
	s_or_b64 s[4:5], s[2:3], s[28:29]
	s_andn2_b64 vcc, exec, s[4:5]
	v_mov_b32_e32 v2, 0
	s_cbranch_vccnz .LBB30_335
; %bb.334:
	v_mov_b32_e32 v2, s60
	v_cndmask_b32_e64 v2, v13, v2, s[2:3]
	v_or_b32_e32 v2, v2, v10
.LBB30_335:
	global_store_byte v[6:7], v2, off
.LBB30_336:
	s_mov_b64 s[48:49], 0
.LBB30_337:
	s_mov_b64 s[2:3], 0
	s_and_b64 vcc, exec, s[48:49]
	s_cbranch_vccz .LBB30_359
; %bb.338:
	s_cmp_gt_i32 s50, 22
	s_mov_b64 s[4:5], -1
	s_cbranch_scc0 .LBB30_351
; %bb.339:
	s_cmp_lt_i32 s50, 24
	s_cbranch_scc1 .LBB30_348
; %bb.340:
	s_cmp_gt_i32 s50, 24
	s_cbranch_scc0 .LBB30_345
; %bb.341:
	s_andn2_b64 vcc, exec, s[22:23]
	v_mov_b32_e32 v2, 0x80
	s_cbranch_vccnz .LBB30_344
; %bb.342:
	s_or_b64 s[4:5], s[0:1], s[24:25]
	s_andn2_b64 vcc, exec, s[4:5]
	v_mov_b32_e32 v2, 0
	s_cbranch_vccnz .LBB30_344
; %bb.343:
	v_mov_b32_e32 v2, s56
	v_cndmask_b32_e64 v2, v12, v2, s[0:1]
	v_or_b32_e32 v2, v2, v10
.LBB30_344:
	s_mov_b64 s[4:5], 0
	global_store_byte v[6:7], v2, off
.LBB30_345:
	s_and_b64 vcc, exec, s[4:5]
	s_cbranch_vccz .LBB30_347
; %bb.346:
	s_and_b64 s[0:1], s[20:21], exec
	s_cselect_b32 s4, s55, s54
	s_and_b64 s[0:1], s[18:19], exec
	s_cselect_b32 s0, s58, s4
	v_or_b32_e32 v2, s0, v10
	global_store_byte v[6:7], v2, off
.LBB30_347:
	s_mov_b64 s[4:5], 0
.LBB30_348:
	s_andn2_b64 vcc, exec, s[4:5]
	s_cbranch_vccnz .LBB30_350
; %bb.349:
	s_and_b64 s[0:1], s[16:17], exec
	s_cselect_b32 s4, s57, s53
	s_and_b64 s[0:1], s[14:15], exec
	s_cselect_b32 s0, s59, s4
	v_or_b32_e32 v2, s0, v10
	global_store_byte v[6:7], v2, off
.LBB30_350:
	s_mov_b64 s[4:5], 0
.LBB30_351:
	s_andn2_b64 vcc, exec, s[4:5]
	s_mov_b64 s[0:1], 0
	s_cbranch_vccnz .LBB30_360
; %bb.352:
	s_cmp_gt_i32 s50, 14
	s_mov_b64 s[4:5], -1
	s_cbranch_scc0 .LBB30_356
; %bb.353:
	s_cmp_eq_u32 s50, 15
	s_mov_b64 s[46:47], -1
	s_cbranch_scc0 .LBB30_355
; %bb.354:
	global_store_short v[6:7], v11, off
	s_mov_b64 s[46:47], 0
.LBB30_355:
	s_mov_b64 s[4:5], 0
.LBB30_356:
	s_and_b64 vcc, exec, s[4:5]
	s_cbranch_vccz .LBB30_360
; %bb.357:
	s_cmp_lg_u32 s50, 11
	s_cselect_b64 s[4:5], -1, 0
	s_andn2_b64 s[14:15], s[46:47], exec
	s_and_b64 s[4:5], s[4:5], exec
	s_mov_b64 s[0:1], -1
	s_or_b64 s[46:47], s[14:15], s[4:5]
	s_branch .LBB30_360
.LBB30_358:
	s_mov_b64 s[0:1], 0
	s_mov_b64 s[2:3], -1
	s_mov_b64 s[46:47], s[42:43]
	s_branch .LBB30_360
.LBB30_359:
	s_mov_b64 s[0:1], 0
.LBB30_360:
	s_and_b64 s[50:51], s[2:3], exec
	s_and_b64 s[48:49], s[0:1], exec
	s_andn2_b64 s[0:1], s[42:43], exec
	s_and_b64 s[2:3], s[46:47], exec
	s_or_b64 s[46:47], s[0:1], s[2:3]
.LBB30_361:
	s_or_b64 exec, exec, s[44:45]
	s_andn2_b64 s[0:1], s[42:43], exec
	s_and_b64 s[2:3], s[46:47], exec
	s_and_b64 s[50:51], s[50:51], exec
	;; [unrolled: 1-line block ×3, first 2 shown]
	s_or_b64 s[42:43], s[0:1], s[2:3]
.LBB30_362:
	s_or_b64 exec, exec, s[40:41]
	s_andn2_b64 s[0:1], s[36:37], exec
	s_and_b64 s[2:3], s[42:43], exec
	s_and_b64 s[40:41], s[50:51], exec
	;; [unrolled: 1-line block ×3, first 2 shown]
	s_or_b64 s[36:37], s[0:1], s[2:3]
.LBB30_363:
	s_or_b64 exec, exec, s[38:39]
	s_andn2_b64 s[0:1], s[30:31], exec
	s_and_b64 s[2:3], s[36:37], exec
	s_and_b64 s[40:41], s[40:41], exec
	;; [unrolled: 1-line block ×3, first 2 shown]
	s_or_b64 s[30:31], s[0:1], s[2:3]
	s_or_b64 exec, exec, s[34:35]
	s_mov_b64 s[0:1], 0
	s_and_saveexec_b64 s[2:3], s[30:31]
	s_cbranch_execz .LBB30_110
.LBB30_364:
	s_mov_b64 s[0:1], exec
	s_andn2_b64 s[38:39], s[38:39], exec
	s_trap 2
	s_or_b64 exec, exec, s[2:3]
	s_and_saveexec_b64 s[2:3], s[38:39]
	s_xor_b64 s[2:3], exec, s[2:3]
	s_cbranch_execnz .LBB30_111
.LBB30_365:
	s_or_b64 exec, exec, s[2:3]
	s_and_saveexec_b64 s[2:3], s[40:41]
	s_xor_b64 s[2:3], exec, s[2:3]
	s_cbranch_execz .LBB30_403
.LBB30_366:
	s_sext_i32_i16 s14, s61
	s_cmp_lt_i32 s14, 5
	s_mov_b64 s[4:5], -1
	s_cbranch_scc1 .LBB30_387
; %bb.367:
	s_cmp_lt_i32 s14, 8
	s_cbranch_scc1 .LBB30_377
; %bb.368:
	s_cmp_lt_i32 s14, 9
	s_cbranch_scc1 .LBB30_374
; %bb.369:
	s_cmp_gt_i32 s14, 9
	s_cbranch_scc0 .LBB30_371
; %bb.370:
	v_mov_b32_e32 v2, 0
	v_mov_b32_e32 v3, v2
	s_mov_b64 s[4:5], 0
	global_store_dwordx4 v[6:7], v[0:3], off
.LBB30_371:
	s_andn2_b64 vcc, exec, s[4:5]
	s_cbranch_vccnz .LBB30_373
; %bb.372:
	v_mov_b32_e32 v5, 0
	global_store_dwordx2 v[6:7], v[4:5], off
.LBB30_373:
	s_mov_b64 s[4:5], 0
.LBB30_374:
	s_andn2_b64 vcc, exec, s[4:5]
	s_cbranch_vccnz .LBB30_376
; %bb.375:
	global_store_dword v[6:7], v8, off
.LBB30_376:
	s_mov_b64 s[4:5], 0
.LBB30_377:
	s_andn2_b64 vcc, exec, s[4:5]
	s_cbranch_vccnz .LBB30_386
; %bb.378:
	s_sext_i32_i16 s14, s61
	s_cmp_lt_i32 s14, 6
	s_mov_b64 s[4:5], -1
	s_cbranch_scc1 .LBB30_384
; %bb.379:
	s_cmp_gt_i32 s14, 6
	s_cbranch_scc0 .LBB30_381
; %bb.380:
	s_mov_b64 s[4:5], 0
	global_store_dwordx2 v[6:7], v[0:1], off
.LBB30_381:
	s_andn2_b64 vcc, exec, s[4:5]
	s_cbranch_vccnz .LBB30_383
; %bb.382:
	global_store_dword v[6:7], v4, off
.LBB30_383:
	s_mov_b64 s[4:5], 0
.LBB30_384:
	s_andn2_b64 vcc, exec, s[4:5]
	s_cbranch_vccnz .LBB30_386
; %bb.385:
	global_store_short v[6:7], v8, off
.LBB30_386:
	s_mov_b64 s[4:5], 0
.LBB30_387:
	s_andn2_b64 vcc, exec, s[4:5]
	s_cbranch_vccnz .LBB30_403
; %bb.388:
	s_sext_i32_i16 s14, s61
	s_cmp_lt_i32 s14, 2
	s_mov_b64 s[4:5], -1
	s_cbranch_scc1 .LBB30_398
; %bb.389:
	s_cmp_lt_i32 s14, 3
	s_cbranch_scc1 .LBB30_395
; %bb.390:
	s_cmp_gt_i32 s14, 3
	s_cbranch_scc0 .LBB30_392
; %bb.391:
	v_mov_b32_e32 v0, s8
	v_mov_b32_e32 v1, s9
	s_mov_b64 s[4:5], 0
	global_store_dwordx2 v[6:7], v[0:1], off
.LBB30_392:
	s_andn2_b64 vcc, exec, s[4:5]
	s_cbranch_vccnz .LBB30_394
; %bb.393:
	v_mov_b32_e32 v0, s8
	global_store_dword v[6:7], v0, off
.LBB30_394:
	s_mov_b64 s[4:5], 0
.LBB30_395:
	s_andn2_b64 vcc, exec, s[4:5]
	s_cbranch_vccnz .LBB30_397
; %bb.396:
	v_mov_b32_e32 v0, s8
	global_store_short v[6:7], v0, off
.LBB30_397:
	s_mov_b64 s[4:5], 0
.LBB30_398:
	s_andn2_b64 vcc, exec, s[4:5]
	s_cbranch_vccnz .LBB30_403
; %bb.399:
	s_sext_i32_i16 s4, s61
	s_cmp_gt_i32 s4, 0
	s_mov_b64 s[4:5], -1
	s_cbranch_scc0 .LBB30_401
; %bb.400:
	v_mov_b32_e32 v0, s8
	s_mov_b64 s[4:5], 0
	global_store_byte v[6:7], v0, off
.LBB30_401:
	s_andn2_b64 vcc, exec, s[4:5]
	s_cbranch_vccnz .LBB30_403
; %bb.402:
	v_mov_b32_e32 v0, s8
	global_store_byte v[6:7], v0, off
.LBB30_403:
	s_or_b64 exec, exec, s[2:3]
	s_and_b64 s[0:1], s[0:1], exec
                                        ; implicit-def: $vgpr15
.LBB30_404:
	s_or_saveexec_b64 s[2:3], s[12:13]
	s_mov_b64 s[12:13], 0
                                        ; implicit-def: $sgpr18
                                        ; implicit-def: $vgpr0_vgpr1
	s_xor_b64 exec, exec, s[2:3]
	s_cbranch_execz .LBB30_433
; %bb.405:
	v_mul_lo_u32 v2, s33, v15
	v_mov_b32_e32 v1, s11
	s_and_b32 s18, s52, 0xff
	s_cmp_lt_i32 s18, 11
	v_ashrrev_i32_e32 v3, 31, v2
	v_add_co_u32_e32 v0, vcc, s10, v2
	v_addc_co_u32_e32 v1, vcc, v1, v3, vcc
	s_cbranch_scc1 .LBB30_436
; %bb.406:
	s_and_b32 s16, 0xffff, s18
	s_mov_b64 s[14:15], -1
	s_cmp_gt_i32 s16, 25
	s_mov_b64 s[4:5], 0
	s_cbranch_scc0 .LBB30_446
; %bb.407:
	s_cmp_gt_i32 s16, 28
	s_cbranch_scc0 .LBB30_422
; %bb.408:
	s_cmp_gt_i32 s16, 43
	;; [unrolled: 3-line block ×3, first 2 shown]
	s_cbranch_scc0 .LBB30_412
; %bb.410:
	s_mov_b64 s[4:5], -1
	s_mov_b64 s[14:15], 0
	s_cmp_eq_u32 s16, 46
	s_cbranch_scc0 .LBB30_412
; %bb.411:
	s_xor_b32 s5, s8, s9
	s_flbit_i32 s4, s9
	s_ashr_i32 s5, s5, 31
	s_add_i32 s4, s4, -1
	s_add_i32 s5, s5, 32
	s_min_u32 s12, s4, s5
	s_lshl_b64 s[4:5], s[8:9], s12
	s_min_u32 s4, s4, 1
	s_or_b32 s4, s5, s4
	v_cvt_f32_i32_e32 v3, s4
	s_sub_i32 s4, 32, s12
	s_mov_b64 s[12:13], -1
	v_ldexp_f32 v3, v3, s4
	v_bfe_u32 v4, v3, 16, 1
	v_add_u32_e32 v3, v3, v4
	v_add_u32_e32 v3, 0x7fff, v3
	v_lshrrev_b32_e32 v3, 16, v3
	global_store_dword v[0:1], v3, off
	s_mov_b64 s[4:5], 0
.LBB30_412:
	s_and_b64 vcc, exec, s[14:15]
	s_cbranch_vccz .LBB30_417
; %bb.413:
	s_cmp_eq_u32 s16, 44
	s_mov_b64 s[4:5], -1
	s_cbranch_scc0 .LBB30_417
; %bb.414:
	s_xor_b32 s5, s8, s9
	s_flbit_i32 s4, s9
	s_ashr_i32 s5, s5, 31
	s_add_i32 s4, s4, -1
	s_add_i32 s5, s5, 32
	s_min_u32 s12, s4, s5
	s_lshl_b64 s[4:5], s[8:9], s12
	s_min_u32 s4, s4, 1
	s_or_b32 s4, s5, s4
	v_cvt_f32_i32_e32 v3, s4
	s_sub_i32 s4, 32, s12
	v_mov_b32_e32 v4, 0xff
	v_ldexp_f32 v3, v3, s4
	v_readfirstlane_b32 s4, v3
	s_bfe_u32 s5, s4, 0x80017
	s_cmpk_eq_i32 s5, 0xff
	s_cbranch_scc1 .LBB30_416
; %bb.415:
	s_bitcmp1_b32 s4, 22
	s_cselect_b64 s[12:13], -1, 0
	s_and_b32 s4, s4, 0x3fffff
	s_or_b32 s4, s5, s4
	s_cmp_lg_u32 s4, 0
	s_cselect_b64 s[4:5], -1, 0
	s_and_b64 s[4:5], s[12:13], s[4:5]
	v_lshrrev_b32_e32 v3, 23, v3
	v_cndmask_b32_e64 v4, 0, 1, s[4:5]
	v_add_u32_e32 v4, v3, v4
.LBB30_416:
	s_mov_b64 s[4:5], 0
	s_mov_b64 s[12:13], -1
	global_store_byte v[0:1], v4, off
.LBB30_417:
	s_mov_b64 s[14:15], 0
.LBB30_418:
	s_and_b64 vcc, exec, s[14:15]
	s_cbranch_vccz .LBB30_421
; %bb.419:
	s_cmp_eq_u32 s16, 29
	s_mov_b64 s[4:5], -1
	s_cbranch_scc0 .LBB30_421
; %bb.420:
	v_mov_b32_e32 v3, s8
	v_mov_b32_e32 v4, s9
	global_store_dwordx2 v[0:1], v[3:4], off
	s_mov_b64 s[4:5], 0
	s_mov_b64 s[12:13], -1
.LBB30_421:
	s_mov_b64 s[14:15], 0
.LBB30_422:
	s_and_b64 vcc, exec, s[14:15]
	s_cbranch_vccz .LBB30_445
; %bb.423:
	s_cmp_lt_i32 s16, 27
	s_mov_b64 s[12:13], -1
	s_cbranch_scc1 .LBB30_429
; %bb.424:
	s_cmp_gt_i32 s16, 27
	s_cbranch_scc0 .LBB30_426
; %bb.425:
	v_mov_b32_e32 v3, s8
	s_mov_b64 s[12:13], 0
	global_store_dword v[0:1], v3, off
.LBB30_426:
	s_andn2_b64 vcc, exec, s[12:13]
	s_cbranch_vccnz .LBB30_428
; %bb.427:
	v_mov_b32_e32 v3, s8
	global_store_short v[0:1], v3, off
.LBB30_428:
	s_mov_b64 s[12:13], 0
.LBB30_429:
	s_andn2_b64 vcc, exec, s[12:13]
	s_cbranch_vccnz .LBB30_444
; %bb.430:
	s_xor_b32 s13, s8, s9
	s_flbit_i32 s12, s9
	s_ashr_i32 s13, s13, 31
	s_add_i32 s12, s12, -1
	s_add_i32 s13, s13, 32
	s_min_u32 s14, s12, s13
	s_lshl_b64 s[12:13], s[8:9], s14
	s_min_u32 s12, s12, 1
	s_or_b32 s12, s13, s12
	v_cvt_f32_i32_e32 v3, s12
	s_sub_i32 s12, 32, s14
	v_mov_b32_e32 v4, 0x80
	v_ldexp_f32 v3, v3, s12
	v_readfirstlane_b32 s17, v3
	s_and_b32 s12, s17, 0x7fffffff
	s_cmp_gt_u32 s12, 0x437fffff
	s_cbranch_scc1 .LBB30_443
; %bb.431:
	s_cmp_gt_u32 s12, 0x3bffffff
	s_cbranch_scc0 .LBB30_438
; %bb.432:
	s_bfe_u32 s12, s17, 0x10014
	s_add_i32 s12, s17, s12
	s_add_i32 s12, s12, 0x487ffff
	s_lshr_b32 s19, s12, 20
	s_mov_b64 s[14:15], 0
	s_mov_b64 s[12:13], -1
	s_branch .LBB30_439
.LBB30_433:
	s_or_b64 exec, exec, s[2:3]
	s_and_saveexec_b64 s[2:3], s[0:1]
	s_cbranch_execz .LBB30_834
.LBB30_434:
	; divergent unreachable
	s_or_b64 exec, exec, s[2:3]
	s_and_saveexec_b64 s[0:1], s[6:7]
	s_xor_b64 s[0:1], exec, s[0:1]
	s_cbranch_execnz .LBB30_835
.LBB30_435:
	s_or_b64 exec, exec, s[0:1]
	s_and_saveexec_b64 s[0:1], s[12:13]
	s_cbranch_execnz .LBB30_836
	s_branch .LBB30_873
.LBB30_436:
	s_mov_b64 s[4:5], s[0:1]
	s_cbranch_execnz .LBB30_496
.LBB30_437:
	s_andn2_b64 vcc, exec, s[12:13]
	s_cbranch_vccz .LBB30_534
	s_branch .LBB30_832
.LBB30_438:
	s_mov_b64 s[14:15], -1
	s_mov_b64 s[12:13], 0
                                        ; implicit-def: $sgpr19
.LBB30_439:
	s_andn2_b64 vcc, exec, s[14:15]
	v_mov_b32_e32 v3, s19
	s_cbranch_vccnz .LBB30_441
; %bb.440:
	v_mov_b32_e32 v3, 0x46000000
	v_add_f32_e64 v3, |s17|, v3
	v_and_b32_e32 v3, 0xff, v3
	v_cmp_ne_u32_e64 s[12:13], 0, v3
.LBB30_441:
	s_andn2_b64 vcc, exec, s[12:13]
	v_mov_b32_e32 v4, 0
	s_cbranch_vccnz .LBB30_443
; %bb.442:
	s_lshr_b32 s12, s17, 24
	s_and_b32 s12, s12, 0x80
	v_or_b32_e32 v4, s12, v3
.LBB30_443:
	global_store_byte v[0:1], v4, off
.LBB30_444:
	s_mov_b64 s[12:13], -1
.LBB30_445:
	s_mov_b64 s[14:15], 0
.LBB30_446:
	s_and_b64 vcc, exec, s[14:15]
	s_cbranch_vccz .LBB30_492
; %bb.447:
	s_cmp_gt_i32 s16, 22
	s_mov_b64 s[6:7], -1
	s_cbranch_scc0 .LBB30_485
; %bb.448:
	s_cmp_lt_i32 s16, 24
	s_cbranch_scc1 .LBB30_472
; %bb.449:
	s_cmp_gt_i32 s16, 24
	s_cbranch_scc0 .LBB30_459
; %bb.450:
	s_xor_b32 s7, s8, s9
	s_flbit_i32 s6, s9
	s_ashr_i32 s7, s7, 31
	s_add_i32 s6, s6, -1
	s_add_i32 s7, s7, 32
	s_min_u32 s12, s6, s7
	s_lshl_b64 s[6:7], s[8:9], s12
	s_min_u32 s6, s6, 1
	s_or_b32 s6, s7, s6
	v_cvt_f32_i32_e32 v3, s6
	s_sub_i32 s6, 32, s12
	v_mov_b32_e32 v4, 0x80
	v_ldexp_f32 v3, v3, s6
	v_readfirstlane_b32 s14, v3
	s_and_b32 s6, s14, 0x7fffffff
	s_cmp_gt_u32 s6, 0x477fffff
	s_cbranch_scc1 .LBB30_458
; %bb.451:
	s_cmp_gt_u32 s6, 0x37ffffff
	s_cbranch_scc0 .LBB30_453
; %bb.452:
	s_bfe_u32 s6, s14, 0x10015
	s_add_i32 s6, s14, s6
	s_add_i32 s6, s6, 0x88fffff
	s_lshr_b32 s15, s6, 21
	s_mov_b64 s[12:13], 0
	s_mov_b64 s[6:7], -1
	s_branch .LBB30_454
.LBB30_453:
	s_mov_b64 s[12:13], -1
	s_mov_b64 s[6:7], 0
                                        ; implicit-def: $sgpr15
.LBB30_454:
	s_andn2_b64 vcc, exec, s[12:13]
	v_mov_b32_e32 v3, s15
	s_cbranch_vccnz .LBB30_456
; %bb.455:
	v_mov_b32_e32 v3, 0x42800000
	v_add_f32_e64 v3, |s14|, v3
	v_and_b32_e32 v3, 0xff, v3
	v_cmp_ne_u32_e64 s[6:7], 0, v3
.LBB30_456:
	s_andn2_b64 vcc, exec, s[6:7]
	v_mov_b32_e32 v4, 0
	s_cbranch_vccnz .LBB30_458
; %bb.457:
	s_lshr_b32 s6, s14, 24
	s_and_b32 s6, s6, 0x80
	v_or_b32_e32 v4, s6, v3
.LBB30_458:
	s_mov_b64 s[6:7], 0
	global_store_byte v[0:1], v4, off
.LBB30_459:
	s_and_b64 vcc, exec, s[6:7]
	s_cbranch_vccz .LBB30_471
; %bb.460:
	s_xor_b32 s7, s8, s9
	s_flbit_i32 s6, s9
	s_ashr_i32 s7, s7, 31
	s_add_i32 s6, s6, -1
	s_add_i32 s7, s7, 32
	s_min_u32 s12, s6, s7
	s_lshl_b64 s[6:7], s[8:9], s12
	s_min_u32 s6, s6, 1
	s_or_b32 s6, s7, s6
	v_cvt_f32_i32_e32 v3, s6
	s_sub_i32 s6, 32, s12
	v_ldexp_f32 v3, v3, s6
	v_readfirstlane_b32 s12, v3
	s_and_b32 s13, s12, 0x7fffffff
	s_cmp_lt_u32 s13, 0x43f00000
	s_cbranch_scc0 .LBB30_463
; %bb.461:
	s_cmp_gt_u32 s13, 0x3c7fffff
	s_cbranch_scc0 .LBB30_464
; %bb.462:
	s_bfe_u32 s6, s12, 0x10014
	s_add_i32 s6, s12, s6
	s_add_i32 s6, s6, 0x407ffff
	s_lshr_b32 s7, s6, 20
	s_and_b32 s6, s6, 0xff00000
	s_cmp_lg_u32 s6, 0x7f00000
	s_cselect_b32 s14, s7, 0x7e
	s_mov_b64 s[6:7], 0
	s_branch .LBB30_465
.LBB30_463:
	s_mov_b64 s[6:7], -1
                                        ; implicit-def: $vgpr4
	s_branch .LBB30_468
.LBB30_464:
	s_mov_b64 s[6:7], -1
                                        ; implicit-def: $sgpr14
.LBB30_465:
	s_andn2_b64 vcc, exec, s[6:7]
	v_mov_b32_e32 v4, s14
	s_cbranch_vccnz .LBB30_467
; %bb.466:
	s_mov_b32 s6, 0x46800000
	v_add_f32_e64 v4, |v3|, s6
.LBB30_467:
	s_mov_b64 s[6:7], 0
.LBB30_468:
	s_andn2_b64 vcc, exec, s[6:7]
	s_cbranch_vccnz .LBB30_470
; %bb.469:
	s_cmp_gt_u32 s13, 0x7f800000
	s_movk_i32 s6, 0x7f
	s_cselect_b32 s6, s6, 0x7e
	v_mov_b32_e32 v4, s6
.LBB30_470:
	s_lshr_b32 s6, s12, 24
	s_and_b32 s6, s6, 0x80
	v_or_b32_e32 v3, s6, v4
	global_store_byte v[0:1], v3, off
.LBB30_471:
	s_mov_b64 s[6:7], 0
.LBB30_472:
	s_andn2_b64 vcc, exec, s[6:7]
	s_cbranch_vccnz .LBB30_484
; %bb.473:
	s_xor_b32 s7, s8, s9
	s_flbit_i32 s6, s9
	s_ashr_i32 s7, s7, 31
	s_add_i32 s6, s6, -1
	s_add_i32 s7, s7, 32
	s_min_u32 s12, s6, s7
	s_lshl_b64 s[6:7], s[8:9], s12
	s_min_u32 s6, s6, 1
	s_or_b32 s6, s7, s6
	v_cvt_f32_i32_e32 v3, s6
	s_sub_i32 s6, 32, s12
	v_ldexp_f32 v3, v3, s6
	v_readfirstlane_b32 s12, v3
	s_and_b32 s13, s12, 0x7fffffff
	s_cmp_lt_u32 s13, 0x47800000
	s_cbranch_scc0 .LBB30_476
; %bb.474:
	s_cmp_gt_u32 s13, 0x387fffff
	s_cbranch_scc0 .LBB30_477
; %bb.475:
	s_bfe_u32 s6, s12, 0x10015
	s_add_i32 s6, s12, s6
	s_add_i32 s6, s6, 0x80fffff
	s_lshr_b32 s14, s6, 21
	s_mov_b64 s[6:7], 0
	s_branch .LBB30_478
.LBB30_476:
	s_mov_b64 s[6:7], -1
                                        ; implicit-def: $vgpr4
	s_branch .LBB30_481
.LBB30_477:
	s_mov_b64 s[6:7], -1
                                        ; implicit-def: $sgpr14
.LBB30_478:
	s_andn2_b64 vcc, exec, s[6:7]
	v_mov_b32_e32 v4, s14
	s_cbranch_vccnz .LBB30_480
; %bb.479:
	s_mov_b32 s6, 0x43000000
	v_add_f32_e64 v4, |v3|, s6
.LBB30_480:
	s_mov_b64 s[6:7], 0
.LBB30_481:
	s_andn2_b64 vcc, exec, s[6:7]
	s_cbranch_vccnz .LBB30_483
; %bb.482:
	s_cmp_gt_u32 s13, 0x7f800000
	s_movk_i32 s6, 0x7f
	s_cselect_b32 s6, s6, 0x7c
	v_mov_b32_e32 v4, s6
.LBB30_483:
	s_lshr_b32 s6, s12, 24
	s_and_b32 s6, s6, 0x80
	v_or_b32_e32 v3, s6, v4
	global_store_byte v[0:1], v3, off
.LBB30_484:
	s_mov_b64 s[6:7], 0
	s_mov_b64 s[12:13], -1
.LBB30_485:
	s_andn2_b64 vcc, exec, s[6:7]
	s_mov_b64 s[6:7], 0
	s_cbranch_vccnz .LBB30_492
; %bb.486:
	s_cmp_gt_i32 s16, 14
	s_mov_b64 s[14:15], -1
	s_cbranch_scc0 .LBB30_490
; %bb.487:
	s_cmp_eq_u32 s16, 15
	s_mov_b64 s[4:5], -1
	s_cbranch_scc0 .LBB30_489
; %bb.488:
	s_xor_b32 s5, s8, s9
	s_flbit_i32 s4, s9
	s_ashr_i32 s5, s5, 31
	s_add_i32 s4, s4, -1
	s_add_i32 s5, s5, 32
	s_min_u32 s6, s4, s5
	s_lshl_b64 s[4:5], s[8:9], s6
	s_min_u32 s4, s4, 1
	s_or_b32 s4, s5, s4
	v_cvt_f32_i32_e32 v3, s4
	s_sub_i32 s4, 32, s6
	s_mov_b64 s[12:13], -1
	v_ldexp_f32 v3, v3, s4
	v_bfe_u32 v4, v3, 16, 1
	v_add_u32_e32 v3, v3, v4
	v_add_u32_e32 v3, 0x7fff, v3
	global_store_short_d16_hi v[0:1], v3, off
	s_mov_b64 s[4:5], 0
.LBB30_489:
	s_mov_b64 s[14:15], 0
.LBB30_490:
	s_mov_b64 s[6:7], 0
	s_and_b64 vcc, exec, s[14:15]
	s_cbranch_vccz .LBB30_492
; %bb.491:
	s_cmp_lg_u32 s16, 11
	s_mov_b64 s[6:7], -1
	s_cselect_b64 s[4:5], -1, 0
.LBB30_492:
	s_and_b64 vcc, exec, s[4:5]
	s_mov_b64 s[4:5], s[0:1]
	s_cbranch_vccnz .LBB30_564
; %bb.493:
	s_andn2_b64 vcc, exec, s[6:7]
	s_cbranch_vccnz .LBB30_495
.LBB30_494:
	s_cmp_lg_u64 s[8:9], 0
	s_cselect_b64 s[6:7], -1, 0
	v_cndmask_b32_e64 v3, 0, 1, s[6:7]
	s_mov_b64 s[12:13], -1
	global_store_byte v[0:1], v3, off
.LBB30_495:
	s_branch .LBB30_437
.LBB30_496:
	s_and_b32 s12, 0xffff, s18
	s_cmp_lt_i32 s12, 5
	s_mov_b64 s[6:7], -1
	s_cbranch_scc1 .LBB30_517
; %bb.497:
	s_cmp_lt_i32 s12, 8
	s_cbranch_scc1 .LBB30_507
; %bb.498:
	s_cmp_lt_i32 s12, 9
	s_cbranch_scc1 .LBB30_504
; %bb.499:
	s_cmp_gt_i32 s12, 9
	s_cbranch_scc0 .LBB30_501
; %bb.500:
	v_cvt_f64_i32_e32 v[3:4], s9
	v_cvt_f64_u32_e32 v[5:6], s8
	s_mov_b64 s[6:7], 0
	v_ldexp_f64 v[3:4], v[3:4], 32
	v_add_f64 v[3:4], v[3:4], v[5:6]
	v_mov_b32_e32 v5, 0
	v_mov_b32_e32 v6, v5
	global_store_dwordx4 v[0:1], v[3:6], off
.LBB30_501:
	s_andn2_b64 vcc, exec, s[6:7]
	s_cbranch_vccnz .LBB30_503
; %bb.502:
	s_xor_b32 s7, s8, s9
	s_flbit_i32 s6, s9
	s_ashr_i32 s7, s7, 31
	s_add_i32 s6, s6, -1
	s_add_i32 s7, s7, 32
	s_min_u32 s13, s6, s7
	s_lshl_b64 s[6:7], s[8:9], s13
	s_min_u32 s6, s6, 1
	s_or_b32 s6, s7, s6
	v_cvt_f32_i32_e32 v3, s6
	s_sub_i32 s6, 32, s13
	v_mov_b32_e32 v4, 0
	v_ldexp_f32 v3, v3, s6
	global_store_dwordx2 v[0:1], v[3:4], off
.LBB30_503:
	s_mov_b64 s[6:7], 0
.LBB30_504:
	s_andn2_b64 vcc, exec, s[6:7]
	s_cbranch_vccnz .LBB30_506
; %bb.505:
	s_xor_b32 s7, s8, s9
	s_flbit_i32 s6, s9
	s_ashr_i32 s7, s7, 31
	s_add_i32 s6, s6, -1
	s_add_i32 s7, s7, 32
	s_min_u32 s13, s6, s7
	s_lshl_b64 s[6:7], s[8:9], s13
	s_min_u32 s6, s6, 1
	s_or_b32 s6, s7, s6
	v_cvt_f32_i32_e32 v3, s6
	s_sub_i32 s6, 32, s13
	v_ldexp_f32 v3, v3, s6
	v_cvt_f16_f32_e32 v3, v3
	global_store_dword v[0:1], v3, off
.LBB30_506:
	s_mov_b64 s[6:7], 0
.LBB30_507:
	s_andn2_b64 vcc, exec, s[6:7]
	s_cbranch_vccnz .LBB30_516
; %bb.508:
	s_cmp_lt_i32 s12, 6
	s_mov_b64 s[6:7], -1
	s_cbranch_scc1 .LBB30_514
; %bb.509:
	s_cmp_gt_i32 s12, 6
	s_cbranch_scc0 .LBB30_511
; %bb.510:
	v_cvt_f64_i32_e32 v[3:4], s9
	v_cvt_f64_u32_e32 v[5:6], s8
	s_mov_b64 s[6:7], 0
	v_ldexp_f64 v[3:4], v[3:4], 32
	v_add_f64 v[3:4], v[3:4], v[5:6]
	global_store_dwordx2 v[0:1], v[3:4], off
.LBB30_511:
	s_andn2_b64 vcc, exec, s[6:7]
	s_cbranch_vccnz .LBB30_513
; %bb.512:
	s_xor_b32 s7, s8, s9
	s_flbit_i32 s6, s9
	s_ashr_i32 s7, s7, 31
	s_add_i32 s6, s6, -1
	s_add_i32 s7, s7, 32
	s_min_u32 s13, s6, s7
	s_lshl_b64 s[6:7], s[8:9], s13
	s_min_u32 s6, s6, 1
	s_or_b32 s6, s7, s6
	v_cvt_f32_i32_e32 v3, s6
	s_sub_i32 s6, 32, s13
	v_ldexp_f32 v3, v3, s6
	global_store_dword v[0:1], v3, off
.LBB30_513:
	s_mov_b64 s[6:7], 0
.LBB30_514:
	s_andn2_b64 vcc, exec, s[6:7]
	s_cbranch_vccnz .LBB30_516
; %bb.515:
	s_xor_b32 s7, s8, s9
	s_flbit_i32 s6, s9
	s_ashr_i32 s7, s7, 31
	s_add_i32 s6, s6, -1
	s_add_i32 s7, s7, 32
	s_min_u32 s13, s6, s7
	s_lshl_b64 s[6:7], s[8:9], s13
	s_min_u32 s6, s6, 1
	s_or_b32 s6, s7, s6
	v_cvt_f32_i32_e32 v3, s6
	s_sub_i32 s6, 32, s13
	v_ldexp_f32 v3, v3, s6
	v_cvt_f16_f32_e32 v3, v3
	global_store_short v[0:1], v3, off
.LBB30_516:
	s_mov_b64 s[6:7], 0
.LBB30_517:
	s_andn2_b64 vcc, exec, s[6:7]
	s_cbranch_vccnz .LBB30_533
; %bb.518:
	s_cmp_lt_i32 s12, 2
	s_mov_b64 s[6:7], -1
	s_cbranch_scc1 .LBB30_528
; %bb.519:
	s_cmp_lt_i32 s12, 3
	s_cbranch_scc1 .LBB30_525
; %bb.520:
	s_cmp_gt_i32 s12, 3
	s_cbranch_scc0 .LBB30_522
; %bb.521:
	v_mov_b32_e32 v3, s8
	v_mov_b32_e32 v4, s9
	global_store_dwordx2 v[0:1], v[3:4], off
	s_mov_b64 s[6:7], 0
.LBB30_522:
	s_andn2_b64 vcc, exec, s[6:7]
	s_cbranch_vccnz .LBB30_524
; %bb.523:
	v_mov_b32_e32 v3, s8
	global_store_dword v[0:1], v3, off
.LBB30_524:
	s_mov_b64 s[6:7], 0
.LBB30_525:
	s_andn2_b64 vcc, exec, s[6:7]
	s_cbranch_vccnz .LBB30_527
; %bb.526:
	v_mov_b32_e32 v3, s8
	global_store_short v[0:1], v3, off
.LBB30_527:
	s_mov_b64 s[6:7], 0
.LBB30_528:
	s_andn2_b64 vcc, exec, s[6:7]
	s_cbranch_vccnz .LBB30_533
; %bb.529:
	s_cmp_gt_i32 s12, 0
	s_mov_b64 s[6:7], -1
	s_cbranch_scc0 .LBB30_531
; %bb.530:
	v_mov_b32_e32 v3, s8
	global_store_byte v[0:1], v3, off
	s_mov_b64 s[6:7], 0
.LBB30_531:
	s_andn2_b64 vcc, exec, s[6:7]
	s_cbranch_vccnz .LBB30_533
; %bb.532:
	v_mov_b32_e32 v3, s8
	global_store_byte v[0:1], v3, off
.LBB30_533:
.LBB30_534:
	s_lshl_b32 s19, s33, 7
	v_add_u32_e32 v2, s19, v2
	v_ashrrev_i32_e32 v1, 31, v2
	v_mov_b32_e32 v3, s11
	v_add_co_u32_e32 v0, vcc, s10, v2
	s_cmp_lt_i32 s18, 11
	v_addc_co_u32_e32 v1, vcc, v3, v1, vcc
	s_cbranch_scc1 .LBB30_562
; %bb.535:
	s_and_b32 s20, 0xffff, s18
	s_mov_b64 s[16:17], -1
	s_mov_b64 s[12:13], 0
	s_cmp_gt_i32 s20, 25
	s_mov_b64 s[14:15], 0
	s_mov_b64 s[6:7], 0
	s_cbranch_scc0 .LBB30_573
; %bb.536:
	s_cmp_gt_i32 s20, 28
	s_cbranch_scc0 .LBB30_551
; %bb.537:
	s_cmp_gt_i32 s20, 43
	;; [unrolled: 3-line block ×3, first 2 shown]
	s_cbranch_scc0 .LBB30_541
; %bb.539:
	s_mov_b64 s[6:7], -1
	s_mov_b64 s[16:17], 0
	s_cmp_eq_u32 s20, 46
	s_cbranch_scc0 .LBB30_541
; %bb.540:
	s_xor_b32 s7, s8, s9
	s_flbit_i32 s6, s9
	s_ashr_i32 s7, s7, 31
	s_add_i32 s6, s6, -1
	s_add_i32 s7, s7, 32
	s_min_u32 s14, s6, s7
	s_lshl_b64 s[6:7], s[8:9], s14
	s_min_u32 s6, s6, 1
	s_or_b32 s6, s7, s6
	v_cvt_f32_i32_e32 v3, s6
	s_sub_i32 s6, 32, s14
	s_mov_b64 s[14:15], -1
	v_ldexp_f32 v3, v3, s6
	v_bfe_u32 v4, v3, 16, 1
	v_add_u32_e32 v3, v3, v4
	v_add_u32_e32 v3, 0x7fff, v3
	v_lshrrev_b32_e32 v3, 16, v3
	global_store_dword v[0:1], v3, off
	s_mov_b64 s[6:7], 0
.LBB30_541:
	s_and_b64 vcc, exec, s[16:17]
	s_cbranch_vccz .LBB30_546
; %bb.542:
	s_cmp_eq_u32 s20, 44
	s_mov_b64 s[6:7], -1
	s_cbranch_scc0 .LBB30_546
; %bb.543:
	s_xor_b32 s7, s8, s9
	s_flbit_i32 s6, s9
	s_ashr_i32 s7, s7, 31
	s_add_i32 s6, s6, -1
	s_add_i32 s7, s7, 32
	s_min_u32 s14, s6, s7
	s_lshl_b64 s[6:7], s[8:9], s14
	s_min_u32 s6, s6, 1
	s_or_b32 s6, s7, s6
	v_cvt_f32_i32_e32 v3, s6
	s_sub_i32 s6, 32, s14
	v_mov_b32_e32 v4, 0xff
	v_ldexp_f32 v3, v3, s6
	v_readfirstlane_b32 s6, v3
	s_bfe_u32 s7, s6, 0x80017
	s_cmpk_eq_i32 s7, 0xff
	s_cbranch_scc1 .LBB30_545
; %bb.544:
	s_bitcmp1_b32 s6, 22
	s_cselect_b64 s[14:15], -1, 0
	s_and_b32 s6, s6, 0x3fffff
	s_or_b32 s6, s7, s6
	s_cmp_lg_u32 s6, 0
	s_cselect_b64 s[6:7], -1, 0
	s_and_b64 s[6:7], s[14:15], s[6:7]
	v_lshrrev_b32_e32 v3, 23, v3
	v_cndmask_b32_e64 v4, 0, 1, s[6:7]
	v_add_u32_e32 v4, v3, v4
.LBB30_545:
	s_mov_b64 s[6:7], 0
	s_mov_b64 s[14:15], -1
	global_store_byte v[0:1], v4, off
.LBB30_546:
	s_mov_b64 s[16:17], 0
.LBB30_547:
	s_and_b64 vcc, exec, s[16:17]
	s_cbranch_vccz .LBB30_550
; %bb.548:
	s_cmp_eq_u32 s20, 29
	s_mov_b64 s[6:7], -1
	s_cbranch_scc0 .LBB30_550
; %bb.549:
	v_mov_b32_e32 v3, s8
	v_mov_b32_e32 v4, s9
	global_store_dwordx2 v[0:1], v[3:4], off
	s_mov_b64 s[6:7], 0
	s_mov_b64 s[14:15], -1
.LBB30_550:
	s_mov_b64 s[16:17], 0
.LBB30_551:
	s_and_b64 vcc, exec, s[16:17]
	s_cbranch_vccz .LBB30_572
; %bb.552:
	s_cmp_lt_i32 s20, 27
	s_mov_b64 s[14:15], -1
	s_cbranch_scc1 .LBB30_558
; %bb.553:
	s_cmp_gt_i32 s20, 27
	s_cbranch_scc0 .LBB30_555
; %bb.554:
	v_mov_b32_e32 v3, s8
	s_mov_b64 s[14:15], 0
	global_store_dword v[0:1], v3, off
.LBB30_555:
	s_andn2_b64 vcc, exec, s[14:15]
	s_cbranch_vccnz .LBB30_557
; %bb.556:
	v_mov_b32_e32 v3, s8
	global_store_short v[0:1], v3, off
.LBB30_557:
	s_mov_b64 s[14:15], 0
.LBB30_558:
	s_andn2_b64 vcc, exec, s[14:15]
	s_cbranch_vccnz .LBB30_571
; %bb.559:
	s_xor_b32 s15, s8, s9
	s_flbit_i32 s14, s9
	s_ashr_i32 s15, s15, 31
	s_add_i32 s14, s14, -1
	s_add_i32 s15, s15, 32
	s_min_u32 s16, s14, s15
	s_lshl_b64 s[14:15], s[8:9], s16
	s_min_u32 s14, s14, 1
	s_or_b32 s14, s15, s14
	v_cvt_f32_i32_e32 v3, s14
	s_sub_i32 s14, 32, s16
	v_mov_b32_e32 v4, 0x80
	v_ldexp_f32 v3, v3, s14
	v_readfirstlane_b32 s21, v3
	s_and_b32 s14, s21, 0x7fffffff
	s_cmp_gt_u32 s14, 0x437fffff
	s_cbranch_scc1 .LBB30_570
; %bb.560:
	s_cmp_gt_u32 s14, 0x3bffffff
	s_cbranch_scc0 .LBB30_565
; %bb.561:
	s_bfe_u32 s14, s21, 0x10014
	s_add_i32 s14, s21, s14
	s_add_i32 s14, s14, 0x487ffff
	s_lshr_b32 s22, s14, 20
	s_mov_b64 s[16:17], 0
	s_mov_b64 s[14:15], -1
	s_branch .LBB30_566
.LBB30_562:
	s_mov_b64 s[14:15], 0
	s_cbranch_execnz .LBB30_623
.LBB30_563:
	s_andn2_b64 vcc, exec, s[14:15]
	s_cbranch_vccz .LBB30_661
	s_branch .LBB30_832
.LBB30_564:
	s_or_b64 s[4:5], s[0:1], exec
	s_trap 2
	s_cbranch_execz .LBB30_494
	s_branch .LBB30_495
.LBB30_565:
	s_mov_b64 s[16:17], -1
	s_mov_b64 s[14:15], 0
                                        ; implicit-def: $sgpr22
.LBB30_566:
	s_andn2_b64 vcc, exec, s[16:17]
	v_mov_b32_e32 v3, s22
	s_cbranch_vccnz .LBB30_568
; %bb.567:
	v_mov_b32_e32 v3, 0x46000000
	v_add_f32_e64 v3, |s21|, v3
	v_and_b32_e32 v3, 0xff, v3
	v_cmp_ne_u32_e64 s[14:15], 0, v3
.LBB30_568:
	s_andn2_b64 vcc, exec, s[14:15]
	v_mov_b32_e32 v4, 0
	s_cbranch_vccnz .LBB30_570
; %bb.569:
	s_lshr_b32 s14, s21, 24
	s_and_b32 s14, s14, 0x80
	v_or_b32_e32 v4, s14, v3
.LBB30_570:
	global_store_byte v[0:1], v4, off
.LBB30_571:
	s_mov_b64 s[14:15], -1
.LBB30_572:
	s_mov_b64 s[16:17], 0
.LBB30_573:
	s_and_b64 vcc, exec, s[16:17]
	s_cbranch_vccz .LBB30_619
; %bb.574:
	s_cmp_gt_i32 s20, 22
	s_mov_b64 s[12:13], -1
	s_cbranch_scc0 .LBB30_612
; %bb.575:
	s_cmp_lt_i32 s20, 24
	s_cbranch_scc1 .LBB30_599
; %bb.576:
	s_cmp_gt_i32 s20, 24
	s_cbranch_scc0 .LBB30_586
; %bb.577:
	s_xor_b32 s13, s8, s9
	s_flbit_i32 s12, s9
	s_ashr_i32 s13, s13, 31
	s_add_i32 s12, s12, -1
	s_add_i32 s13, s13, 32
	s_min_u32 s14, s12, s13
	s_lshl_b64 s[12:13], s[8:9], s14
	s_min_u32 s12, s12, 1
	s_or_b32 s12, s13, s12
	v_cvt_f32_i32_e32 v3, s12
	s_sub_i32 s12, 32, s14
	v_mov_b32_e32 v4, 0x80
	v_ldexp_f32 v3, v3, s12
	v_readfirstlane_b32 s16, v3
	s_and_b32 s12, s16, 0x7fffffff
	s_cmp_gt_u32 s12, 0x477fffff
	s_cbranch_scc1 .LBB30_585
; %bb.578:
	s_cmp_gt_u32 s12, 0x37ffffff
	s_cbranch_scc0 .LBB30_580
; %bb.579:
	s_bfe_u32 s12, s16, 0x10015
	s_add_i32 s12, s16, s12
	s_add_i32 s12, s12, 0x88fffff
	s_lshr_b32 s17, s12, 21
	s_mov_b64 s[14:15], 0
	s_mov_b64 s[12:13], -1
	s_branch .LBB30_581
.LBB30_580:
	s_mov_b64 s[14:15], -1
	s_mov_b64 s[12:13], 0
                                        ; implicit-def: $sgpr17
.LBB30_581:
	s_andn2_b64 vcc, exec, s[14:15]
	v_mov_b32_e32 v3, s17
	s_cbranch_vccnz .LBB30_583
; %bb.582:
	v_mov_b32_e32 v3, 0x42800000
	v_add_f32_e64 v3, |s16|, v3
	v_and_b32_e32 v3, 0xff, v3
	v_cmp_ne_u32_e64 s[12:13], 0, v3
.LBB30_583:
	s_andn2_b64 vcc, exec, s[12:13]
	v_mov_b32_e32 v4, 0
	s_cbranch_vccnz .LBB30_585
; %bb.584:
	s_lshr_b32 s12, s16, 24
	s_and_b32 s12, s12, 0x80
	v_or_b32_e32 v4, s12, v3
.LBB30_585:
	s_mov_b64 s[12:13], 0
	global_store_byte v[0:1], v4, off
.LBB30_586:
	s_and_b64 vcc, exec, s[12:13]
	s_cbranch_vccz .LBB30_598
; %bb.587:
	s_xor_b32 s13, s8, s9
	s_flbit_i32 s12, s9
	s_ashr_i32 s13, s13, 31
	s_add_i32 s12, s12, -1
	s_add_i32 s13, s13, 32
	s_min_u32 s14, s12, s13
	s_lshl_b64 s[12:13], s[8:9], s14
	s_min_u32 s12, s12, 1
	s_or_b32 s12, s13, s12
	v_cvt_f32_i32_e32 v3, s12
	s_sub_i32 s12, 32, s14
	v_ldexp_f32 v3, v3, s12
	v_readfirstlane_b32 s14, v3
	s_and_b32 s15, s14, 0x7fffffff
	s_cmp_lt_u32 s15, 0x43f00000
	s_cbranch_scc0 .LBB30_590
; %bb.588:
	s_cmp_gt_u32 s15, 0x3c7fffff
	s_cbranch_scc0 .LBB30_591
; %bb.589:
	s_bfe_u32 s12, s14, 0x10014
	s_add_i32 s12, s14, s12
	s_add_i32 s12, s12, 0x407ffff
	s_lshr_b32 s13, s12, 20
	s_and_b32 s12, s12, 0xff00000
	s_cmp_lg_u32 s12, 0x7f00000
	s_cselect_b32 s16, s13, 0x7e
	s_mov_b64 s[12:13], 0
	s_branch .LBB30_592
.LBB30_590:
	s_mov_b64 s[12:13], -1
                                        ; implicit-def: $vgpr4
	s_branch .LBB30_595
.LBB30_591:
	s_mov_b64 s[12:13], -1
                                        ; implicit-def: $sgpr16
.LBB30_592:
	s_andn2_b64 vcc, exec, s[12:13]
	v_mov_b32_e32 v4, s16
	s_cbranch_vccnz .LBB30_594
; %bb.593:
	s_mov_b32 s12, 0x46800000
	v_add_f32_e64 v4, |v3|, s12
.LBB30_594:
	s_mov_b64 s[12:13], 0
.LBB30_595:
	s_andn2_b64 vcc, exec, s[12:13]
	s_cbranch_vccnz .LBB30_597
; %bb.596:
	s_cmp_gt_u32 s15, 0x7f800000
	s_movk_i32 s12, 0x7f
	s_cselect_b32 s12, s12, 0x7e
	v_mov_b32_e32 v4, s12
.LBB30_597:
	s_lshr_b32 s12, s14, 24
	s_and_b32 s12, s12, 0x80
	v_or_b32_e32 v3, s12, v4
	global_store_byte v[0:1], v3, off
.LBB30_598:
	s_mov_b64 s[12:13], 0
.LBB30_599:
	s_andn2_b64 vcc, exec, s[12:13]
	s_cbranch_vccnz .LBB30_611
; %bb.600:
	s_xor_b32 s13, s8, s9
	s_flbit_i32 s12, s9
	s_ashr_i32 s13, s13, 31
	s_add_i32 s12, s12, -1
	s_add_i32 s13, s13, 32
	s_min_u32 s14, s12, s13
	s_lshl_b64 s[12:13], s[8:9], s14
	s_min_u32 s12, s12, 1
	s_or_b32 s12, s13, s12
	v_cvt_f32_i32_e32 v3, s12
	s_sub_i32 s12, 32, s14
	v_ldexp_f32 v3, v3, s12
	v_readfirstlane_b32 s14, v3
	s_and_b32 s15, s14, 0x7fffffff
	s_cmp_lt_u32 s15, 0x47800000
	s_cbranch_scc0 .LBB30_603
; %bb.601:
	s_cmp_gt_u32 s15, 0x387fffff
	s_cbranch_scc0 .LBB30_604
; %bb.602:
	s_bfe_u32 s12, s14, 0x10015
	s_add_i32 s12, s14, s12
	s_add_i32 s12, s12, 0x80fffff
	s_lshr_b32 s16, s12, 21
	s_mov_b64 s[12:13], 0
	s_branch .LBB30_605
.LBB30_603:
	s_mov_b64 s[12:13], -1
                                        ; implicit-def: $vgpr4
	s_branch .LBB30_608
.LBB30_604:
	s_mov_b64 s[12:13], -1
                                        ; implicit-def: $sgpr16
.LBB30_605:
	s_andn2_b64 vcc, exec, s[12:13]
	v_mov_b32_e32 v4, s16
	s_cbranch_vccnz .LBB30_607
; %bb.606:
	s_mov_b32 s12, 0x43000000
	v_add_f32_e64 v4, |v3|, s12
.LBB30_607:
	s_mov_b64 s[12:13], 0
.LBB30_608:
	s_andn2_b64 vcc, exec, s[12:13]
	s_cbranch_vccnz .LBB30_610
; %bb.609:
	s_cmp_gt_u32 s15, 0x7f800000
	s_movk_i32 s12, 0x7f
	s_cselect_b32 s12, s12, 0x7c
	v_mov_b32_e32 v4, s12
.LBB30_610:
	s_lshr_b32 s12, s14, 24
	s_and_b32 s12, s12, 0x80
	v_or_b32_e32 v3, s12, v4
	global_store_byte v[0:1], v3, off
.LBB30_611:
	s_mov_b64 s[12:13], 0
	s_mov_b64 s[14:15], -1
.LBB30_612:
	s_andn2_b64 vcc, exec, s[12:13]
	s_mov_b64 s[12:13], 0
	s_cbranch_vccnz .LBB30_619
; %bb.613:
	s_cmp_gt_i32 s20, 14
	s_mov_b64 s[16:17], -1
	s_cbranch_scc0 .LBB30_617
; %bb.614:
	s_cmp_eq_u32 s20, 15
	s_mov_b64 s[6:7], -1
	s_cbranch_scc0 .LBB30_616
; %bb.615:
	s_xor_b32 s7, s8, s9
	s_flbit_i32 s6, s9
	s_ashr_i32 s7, s7, 31
	s_add_i32 s6, s6, -1
	s_add_i32 s7, s7, 32
	s_min_u32 s12, s6, s7
	s_lshl_b64 s[6:7], s[8:9], s12
	s_min_u32 s6, s6, 1
	s_or_b32 s6, s7, s6
	v_cvt_f32_i32_e32 v3, s6
	s_sub_i32 s6, 32, s12
	s_mov_b64 s[14:15], -1
	v_ldexp_f32 v3, v3, s6
	v_bfe_u32 v4, v3, 16, 1
	v_add_u32_e32 v3, v3, v4
	v_add_u32_e32 v3, 0x7fff, v3
	global_store_short_d16_hi v[0:1], v3, off
	s_mov_b64 s[6:7], 0
.LBB30_616:
	s_mov_b64 s[16:17], 0
.LBB30_617:
	s_mov_b64 s[12:13], 0
	s_and_b64 vcc, exec, s[16:17]
	s_cbranch_vccz .LBB30_619
; %bb.618:
	s_cmp_lg_u32 s20, 11
	s_mov_b64 s[12:13], -1
	s_cselect_b64 s[6:7], -1, 0
.LBB30_619:
	s_and_b64 vcc, exec, s[6:7]
	s_cbranch_vccnz .LBB30_721
; %bb.620:
	s_andn2_b64 vcc, exec, s[12:13]
	s_cbranch_vccnz .LBB30_622
.LBB30_621:
	s_cmp_lg_u64 s[8:9], 0
	s_cselect_b64 s[6:7], -1, 0
	v_cndmask_b32_e64 v3, 0, 1, s[6:7]
	s_mov_b64 s[14:15], -1
	global_store_byte v[0:1], v3, off
.LBB30_622:
	s_branch .LBB30_563
.LBB30_623:
	s_and_b32 s12, 0xffff, s18
	s_cmp_lt_i32 s12, 5
	s_mov_b64 s[6:7], -1
	s_cbranch_scc1 .LBB30_644
; %bb.624:
	s_cmp_lt_i32 s12, 8
	s_cbranch_scc1 .LBB30_634
; %bb.625:
	s_cmp_lt_i32 s12, 9
	s_cbranch_scc1 .LBB30_631
; %bb.626:
	s_cmp_gt_i32 s12, 9
	s_cbranch_scc0 .LBB30_628
; %bb.627:
	v_cvt_f64_i32_e32 v[3:4], s9
	v_cvt_f64_u32_e32 v[5:6], s8
	s_mov_b64 s[6:7], 0
	v_ldexp_f64 v[3:4], v[3:4], 32
	v_add_f64 v[3:4], v[3:4], v[5:6]
	v_mov_b32_e32 v5, 0
	v_mov_b32_e32 v6, v5
	global_store_dwordx4 v[0:1], v[3:6], off
.LBB30_628:
	s_andn2_b64 vcc, exec, s[6:7]
	s_cbranch_vccnz .LBB30_630
; %bb.629:
	s_xor_b32 s7, s8, s9
	s_flbit_i32 s6, s9
	s_ashr_i32 s7, s7, 31
	s_add_i32 s6, s6, -1
	s_add_i32 s7, s7, 32
	s_min_u32 s13, s6, s7
	s_lshl_b64 s[6:7], s[8:9], s13
	s_min_u32 s6, s6, 1
	s_or_b32 s6, s7, s6
	v_cvt_f32_i32_e32 v3, s6
	s_sub_i32 s6, 32, s13
	v_mov_b32_e32 v4, 0
	v_ldexp_f32 v3, v3, s6
	global_store_dwordx2 v[0:1], v[3:4], off
.LBB30_630:
	s_mov_b64 s[6:7], 0
.LBB30_631:
	s_andn2_b64 vcc, exec, s[6:7]
	s_cbranch_vccnz .LBB30_633
; %bb.632:
	s_xor_b32 s7, s8, s9
	s_flbit_i32 s6, s9
	s_ashr_i32 s7, s7, 31
	s_add_i32 s6, s6, -1
	s_add_i32 s7, s7, 32
	s_min_u32 s13, s6, s7
	s_lshl_b64 s[6:7], s[8:9], s13
	s_min_u32 s6, s6, 1
	s_or_b32 s6, s7, s6
	v_cvt_f32_i32_e32 v3, s6
	s_sub_i32 s6, 32, s13
	v_ldexp_f32 v3, v3, s6
	v_cvt_f16_f32_e32 v3, v3
	global_store_dword v[0:1], v3, off
.LBB30_633:
	s_mov_b64 s[6:7], 0
.LBB30_634:
	s_andn2_b64 vcc, exec, s[6:7]
	s_cbranch_vccnz .LBB30_643
; %bb.635:
	s_cmp_lt_i32 s12, 6
	s_mov_b64 s[6:7], -1
	s_cbranch_scc1 .LBB30_641
; %bb.636:
	s_cmp_gt_i32 s12, 6
	s_cbranch_scc0 .LBB30_638
; %bb.637:
	v_cvt_f64_i32_e32 v[3:4], s9
	v_cvt_f64_u32_e32 v[5:6], s8
	s_mov_b64 s[6:7], 0
	v_ldexp_f64 v[3:4], v[3:4], 32
	v_add_f64 v[3:4], v[3:4], v[5:6]
	global_store_dwordx2 v[0:1], v[3:4], off
.LBB30_638:
	s_andn2_b64 vcc, exec, s[6:7]
	s_cbranch_vccnz .LBB30_640
; %bb.639:
	s_xor_b32 s7, s8, s9
	s_flbit_i32 s6, s9
	s_ashr_i32 s7, s7, 31
	s_add_i32 s6, s6, -1
	s_add_i32 s7, s7, 32
	s_min_u32 s13, s6, s7
	s_lshl_b64 s[6:7], s[8:9], s13
	s_min_u32 s6, s6, 1
	s_or_b32 s6, s7, s6
	v_cvt_f32_i32_e32 v3, s6
	s_sub_i32 s6, 32, s13
	v_ldexp_f32 v3, v3, s6
	global_store_dword v[0:1], v3, off
.LBB30_640:
	s_mov_b64 s[6:7], 0
.LBB30_641:
	s_andn2_b64 vcc, exec, s[6:7]
	s_cbranch_vccnz .LBB30_643
; %bb.642:
	s_xor_b32 s7, s8, s9
	s_flbit_i32 s6, s9
	s_ashr_i32 s7, s7, 31
	s_add_i32 s6, s6, -1
	s_add_i32 s7, s7, 32
	s_min_u32 s13, s6, s7
	s_lshl_b64 s[6:7], s[8:9], s13
	s_min_u32 s6, s6, 1
	s_or_b32 s6, s7, s6
	v_cvt_f32_i32_e32 v3, s6
	s_sub_i32 s6, 32, s13
	v_ldexp_f32 v3, v3, s6
	v_cvt_f16_f32_e32 v3, v3
	global_store_short v[0:1], v3, off
.LBB30_643:
	s_mov_b64 s[6:7], 0
.LBB30_644:
	s_andn2_b64 vcc, exec, s[6:7]
	s_cbranch_vccnz .LBB30_660
; %bb.645:
	s_cmp_lt_i32 s12, 2
	s_mov_b64 s[6:7], -1
	s_cbranch_scc1 .LBB30_655
; %bb.646:
	s_cmp_lt_i32 s12, 3
	s_cbranch_scc1 .LBB30_652
; %bb.647:
	s_cmp_gt_i32 s12, 3
	s_cbranch_scc0 .LBB30_649
; %bb.648:
	v_mov_b32_e32 v3, s8
	v_mov_b32_e32 v4, s9
	global_store_dwordx2 v[0:1], v[3:4], off
	s_mov_b64 s[6:7], 0
.LBB30_649:
	s_andn2_b64 vcc, exec, s[6:7]
	s_cbranch_vccnz .LBB30_651
; %bb.650:
	v_mov_b32_e32 v3, s8
	global_store_dword v[0:1], v3, off
.LBB30_651:
	s_mov_b64 s[6:7], 0
.LBB30_652:
	s_andn2_b64 vcc, exec, s[6:7]
	s_cbranch_vccnz .LBB30_654
; %bb.653:
	v_mov_b32_e32 v3, s8
	global_store_short v[0:1], v3, off
.LBB30_654:
	s_mov_b64 s[6:7], 0
.LBB30_655:
	s_andn2_b64 vcc, exec, s[6:7]
	s_cbranch_vccnz .LBB30_660
; %bb.656:
	s_cmp_gt_i32 s12, 0
	s_mov_b64 s[6:7], -1
	s_cbranch_scc0 .LBB30_658
; %bb.657:
	v_mov_b32_e32 v3, s8
	global_store_byte v[0:1], v3, off
	s_mov_b64 s[6:7], 0
.LBB30_658:
	s_andn2_b64 vcc, exec, s[6:7]
	s_cbranch_vccnz .LBB30_660
; %bb.659:
	v_mov_b32_e32 v3, s8
	global_store_byte v[0:1], v3, off
.LBB30_660:
.LBB30_661:
	v_add_u32_e32 v2, s19, v2
	v_ashrrev_i32_e32 v1, 31, v2
	v_mov_b32_e32 v3, s11
	v_add_co_u32_e32 v0, vcc, s10, v2
	s_cmp_lt_i32 s18, 11
	v_addc_co_u32_e32 v1, vcc, v3, v1, vcc
	s_cbranch_scc1 .LBB30_689
; %bb.662:
	s_and_b32 s20, 0xffff, s18
	s_mov_b64 s[16:17], -1
	s_mov_b64 s[12:13], 0
	s_cmp_gt_i32 s20, 25
	s_mov_b64 s[14:15], 0
	s_mov_b64 s[6:7], 0
	s_cbranch_scc0 .LBB30_730
; %bb.663:
	s_cmp_gt_i32 s20, 28
	s_cbranch_scc0 .LBB30_678
; %bb.664:
	s_cmp_gt_i32 s20, 43
	;; [unrolled: 3-line block ×3, first 2 shown]
	s_cbranch_scc0 .LBB30_668
; %bb.666:
	s_mov_b64 s[6:7], -1
	s_mov_b64 s[16:17], 0
	s_cmp_eq_u32 s20, 46
	s_cbranch_scc0 .LBB30_668
; %bb.667:
	s_xor_b32 s7, s8, s9
	s_flbit_i32 s6, s9
	s_ashr_i32 s7, s7, 31
	s_add_i32 s6, s6, -1
	s_add_i32 s7, s7, 32
	s_min_u32 s14, s6, s7
	s_lshl_b64 s[6:7], s[8:9], s14
	s_min_u32 s6, s6, 1
	s_or_b32 s6, s7, s6
	v_cvt_f32_i32_e32 v3, s6
	s_sub_i32 s6, 32, s14
	s_mov_b64 s[14:15], -1
	v_ldexp_f32 v3, v3, s6
	v_bfe_u32 v4, v3, 16, 1
	v_add_u32_e32 v3, v3, v4
	v_add_u32_e32 v3, 0x7fff, v3
	v_lshrrev_b32_e32 v3, 16, v3
	global_store_dword v[0:1], v3, off
	s_mov_b64 s[6:7], 0
.LBB30_668:
	s_and_b64 vcc, exec, s[16:17]
	s_cbranch_vccz .LBB30_673
; %bb.669:
	s_cmp_eq_u32 s20, 44
	s_mov_b64 s[6:7], -1
	s_cbranch_scc0 .LBB30_673
; %bb.670:
	s_xor_b32 s7, s8, s9
	s_flbit_i32 s6, s9
	s_ashr_i32 s7, s7, 31
	s_add_i32 s6, s6, -1
	s_add_i32 s7, s7, 32
	s_min_u32 s14, s6, s7
	s_lshl_b64 s[6:7], s[8:9], s14
	s_min_u32 s6, s6, 1
	s_or_b32 s6, s7, s6
	v_cvt_f32_i32_e32 v3, s6
	s_sub_i32 s6, 32, s14
	v_mov_b32_e32 v4, 0xff
	v_ldexp_f32 v3, v3, s6
	v_readfirstlane_b32 s6, v3
	s_bfe_u32 s7, s6, 0x80017
	s_cmpk_eq_i32 s7, 0xff
	s_cbranch_scc1 .LBB30_672
; %bb.671:
	s_bitcmp1_b32 s6, 22
	s_cselect_b64 s[14:15], -1, 0
	s_and_b32 s6, s6, 0x3fffff
	s_or_b32 s6, s7, s6
	s_cmp_lg_u32 s6, 0
	s_cselect_b64 s[6:7], -1, 0
	s_and_b64 s[6:7], s[14:15], s[6:7]
	v_lshrrev_b32_e32 v3, 23, v3
	v_cndmask_b32_e64 v4, 0, 1, s[6:7]
	v_add_u32_e32 v4, v3, v4
.LBB30_672:
	s_mov_b64 s[6:7], 0
	s_mov_b64 s[14:15], -1
	global_store_byte v[0:1], v4, off
.LBB30_673:
	s_mov_b64 s[16:17], 0
.LBB30_674:
	s_and_b64 vcc, exec, s[16:17]
	s_cbranch_vccz .LBB30_677
; %bb.675:
	s_cmp_eq_u32 s20, 29
	s_mov_b64 s[6:7], -1
	s_cbranch_scc0 .LBB30_677
; %bb.676:
	v_mov_b32_e32 v3, s8
	v_mov_b32_e32 v4, s9
	global_store_dwordx2 v[0:1], v[3:4], off
	s_mov_b64 s[6:7], 0
	s_mov_b64 s[14:15], -1
.LBB30_677:
	s_mov_b64 s[16:17], 0
.LBB30_678:
	s_and_b64 vcc, exec, s[16:17]
	s_cbranch_vccz .LBB30_729
; %bb.679:
	s_cmp_lt_i32 s20, 27
	s_mov_b64 s[14:15], -1
	s_cbranch_scc1 .LBB30_685
; %bb.680:
	s_cmp_gt_i32 s20, 27
	s_cbranch_scc0 .LBB30_682
; %bb.681:
	v_mov_b32_e32 v3, s8
	s_mov_b64 s[14:15], 0
	global_store_dword v[0:1], v3, off
.LBB30_682:
	s_andn2_b64 vcc, exec, s[14:15]
	s_cbranch_vccnz .LBB30_684
; %bb.683:
	v_mov_b32_e32 v3, s8
	global_store_short v[0:1], v3, off
.LBB30_684:
	s_mov_b64 s[14:15], 0
.LBB30_685:
	s_andn2_b64 vcc, exec, s[14:15]
	s_cbranch_vccnz .LBB30_728
; %bb.686:
	s_xor_b32 s15, s8, s9
	s_flbit_i32 s14, s9
	s_ashr_i32 s15, s15, 31
	s_add_i32 s14, s14, -1
	s_add_i32 s15, s15, 32
	s_min_u32 s16, s14, s15
	s_lshl_b64 s[14:15], s[8:9], s16
	s_min_u32 s14, s14, 1
	s_or_b32 s14, s15, s14
	v_cvt_f32_i32_e32 v3, s14
	s_sub_i32 s14, 32, s16
	v_mov_b32_e32 v4, 0x80
	v_ldexp_f32 v3, v3, s14
	v_readfirstlane_b32 s21, v3
	s_and_b32 s14, s21, 0x7fffffff
	s_cmp_gt_u32 s14, 0x437fffff
	s_cbranch_scc1 .LBB30_727
; %bb.687:
	s_cmp_gt_u32 s14, 0x3bffffff
	s_cbranch_scc0 .LBB30_722
; %bb.688:
	s_bfe_u32 s14, s21, 0x10014
	s_add_i32 s14, s21, s14
	s_add_i32 s14, s14, 0x487ffff
	s_lshr_b32 s22, s14, 20
	s_mov_b64 s[16:17], 0
	s_mov_b64 s[14:15], -1
	s_branch .LBB30_723
.LBB30_689:
	s_mov_b64 s[14:15], 0
	s_cbranch_execnz .LBB30_794
.LBB30_690:
	s_andn2_b64 vcc, exec, s[14:15]
	s_cbranch_vccnz .LBB30_832
.LBB30_691:
	v_add_u32_e32 v0, s19, v2
	v_ashrrev_i32_e32 v1, 31, v0
	v_mov_b32_e32 v2, s11
	v_add_co_u32_e32 v0, vcc, s10, v0
	s_cmp_lt_i32 s18, 11
	v_addc_co_u32_e32 v1, vcc, v2, v1, vcc
	s_cbranch_scc1 .LBB30_720
; %bb.692:
	s_and_b32 s16, 0xffff, s18
	s_mov_b64 s[12:13], -1
	s_mov_b64 s[10:11], 0
	s_cmp_gt_i32 s16, 25
	s_mov_b64 s[6:7], 0
	s_cbranch_scc0 .LBB30_744
; %bb.693:
	s_cmp_gt_i32 s16, 28
	s_cbranch_scc0 .LBB30_709
; %bb.694:
	s_cmp_gt_i32 s16, 43
	;; [unrolled: 3-line block ×3, first 2 shown]
	s_cbranch_scc0 .LBB30_699
; %bb.696:
	s_cmp_eq_u32 s16, 46
	s_mov_b64 s[6:7], -1
	s_cbranch_scc0 .LBB30_698
; %bb.697:
	s_xor_b32 s7, s8, s9
	s_flbit_i32 s6, s9
	s_ashr_i32 s7, s7, 31
	s_add_i32 s6, s6, -1
	s_add_i32 s7, s7, 32
	s_min_u32 s12, s6, s7
	s_lshl_b64 s[6:7], s[8:9], s12
	s_min_u32 s6, s6, 1
	s_or_b32 s6, s7, s6
	v_cvt_f32_i32_e32 v2, s6
	s_sub_i32 s6, 32, s12
	v_ldexp_f32 v2, v2, s6
	v_bfe_u32 v3, v2, 16, 1
	v_add_u32_e32 v2, v2, v3
	v_add_u32_e32 v2, 0x7fff, v2
	v_lshrrev_b32_e32 v2, 16, v2
	global_store_dword v[0:1], v2, off
	s_mov_b64 s[6:7], 0
.LBB30_698:
	s_mov_b64 s[12:13], 0
.LBB30_699:
	s_and_b64 vcc, exec, s[12:13]
	s_cbranch_vccz .LBB30_704
; %bb.700:
	s_cmp_eq_u32 s16, 44
	s_mov_b64 s[6:7], -1
	s_cbranch_scc0 .LBB30_704
; %bb.701:
	s_xor_b32 s7, s8, s9
	s_flbit_i32 s6, s9
	s_ashr_i32 s7, s7, 31
	s_add_i32 s6, s6, -1
	s_add_i32 s7, s7, 32
	s_min_u32 s12, s6, s7
	s_lshl_b64 s[6:7], s[8:9], s12
	s_min_u32 s6, s6, 1
	s_or_b32 s6, s7, s6
	v_cvt_f32_i32_e32 v2, s6
	s_sub_i32 s6, 32, s12
	v_mov_b32_e32 v3, 0xff
	v_ldexp_f32 v2, v2, s6
	v_readfirstlane_b32 s6, v2
	s_bfe_u32 s7, s6, 0x80017
	s_cmpk_eq_i32 s7, 0xff
	s_cbranch_scc1 .LBB30_703
; %bb.702:
	s_bitcmp1_b32 s6, 22
	s_cselect_b64 s[12:13], -1, 0
	s_and_b32 s6, s6, 0x3fffff
	s_or_b32 s6, s7, s6
	s_cmp_lg_u32 s6, 0
	s_cselect_b64 s[6:7], -1, 0
	s_and_b64 s[6:7], s[12:13], s[6:7]
	v_lshrrev_b32_e32 v2, 23, v2
	v_cndmask_b32_e64 v3, 0, 1, s[6:7]
	v_add_u32_e32 v3, v2, v3
.LBB30_703:
	s_mov_b64 s[6:7], 0
	global_store_byte v[0:1], v3, off
.LBB30_704:
	s_mov_b64 s[12:13], 0
.LBB30_705:
	s_and_b64 vcc, exec, s[12:13]
	s_cbranch_vccz .LBB30_708
; %bb.706:
	s_cmp_eq_u32 s16, 29
	s_mov_b64 s[6:7], -1
	s_cbranch_scc0 .LBB30_708
; %bb.707:
	v_mov_b32_e32 v2, s8
	v_mov_b32_e32 v3, s9
	global_store_dwordx2 v[0:1], v[2:3], off
	s_mov_b64 s[6:7], 0
.LBB30_708:
	s_mov_b64 s[12:13], 0
.LBB30_709:
	s_and_b64 vcc, exec, s[12:13]
	s_cbranch_vccz .LBB30_743
; %bb.710:
	s_cmp_lt_i32 s16, 27
	s_mov_b64 s[12:13], -1
	s_cbranch_scc1 .LBB30_716
; %bb.711:
	s_cmp_gt_i32 s16, 27
	s_cbranch_scc0 .LBB30_713
; %bb.712:
	v_mov_b32_e32 v2, s8
	global_store_dword v[0:1], v2, off
	s_mov_b64 s[12:13], 0
.LBB30_713:
	s_andn2_b64 vcc, exec, s[12:13]
	s_cbranch_vccnz .LBB30_715
; %bb.714:
	v_mov_b32_e32 v2, s8
	global_store_short v[0:1], v2, off
.LBB30_715:
	s_mov_b64 s[12:13], 0
.LBB30_716:
	s_andn2_b64 vcc, exec, s[12:13]
	s_cbranch_vccnz .LBB30_743
; %bb.717:
	s_xor_b32 s13, s8, s9
	s_flbit_i32 s12, s9
	s_ashr_i32 s13, s13, 31
	s_add_i32 s12, s12, -1
	s_add_i32 s13, s13, 32
	s_min_u32 s14, s12, s13
	s_lshl_b64 s[12:13], s[8:9], s14
	s_min_u32 s12, s12, 1
	s_or_b32 s12, s13, s12
	v_cvt_f32_i32_e32 v2, s12
	s_sub_i32 s12, 32, s14
	v_mov_b32_e32 v3, 0x80
	v_ldexp_f32 v2, v2, s12
	v_readfirstlane_b32 s17, v2
	s_and_b32 s12, s17, 0x7fffffff
	s_cmp_gt_u32 s12, 0x437fffff
	s_cbranch_scc1 .LBB30_742
; %bb.718:
	s_cmp_gt_u32 s12, 0x3bffffff
	s_cbranch_scc0 .LBB30_737
; %bb.719:
	s_bfe_u32 s12, s17, 0x10014
	s_add_i32 s12, s17, s12
	s_add_i32 s12, s12, 0x487ffff
	s_lshr_b32 s19, s12, 20
	s_mov_b64 s[14:15], 0
	s_mov_b64 s[12:13], -1
	s_branch .LBB30_738
.LBB30_720:
	s_mov_b64 s[10:11], 0
	s_mov_b64 s[6:7], -1
	s_branch .LBB30_833
.LBB30_721:
	s_trap 2
	s_or_b64 s[4:5], s[4:5], exec
	s_cbranch_execz .LBB30_621
	s_branch .LBB30_622
.LBB30_722:
	s_mov_b64 s[16:17], -1
	s_mov_b64 s[14:15], 0
                                        ; implicit-def: $sgpr22
.LBB30_723:
	s_andn2_b64 vcc, exec, s[16:17]
	v_mov_b32_e32 v3, s22
	s_cbranch_vccnz .LBB30_725
; %bb.724:
	v_mov_b32_e32 v3, 0x46000000
	v_add_f32_e64 v3, |s21|, v3
	v_and_b32_e32 v3, 0xff, v3
	v_cmp_ne_u32_e64 s[14:15], 0, v3
.LBB30_725:
	s_andn2_b64 vcc, exec, s[14:15]
	v_mov_b32_e32 v4, 0
	s_cbranch_vccnz .LBB30_727
; %bb.726:
	s_lshr_b32 s14, s21, 24
	s_and_b32 s14, s14, 0x80
	v_or_b32_e32 v4, s14, v3
.LBB30_727:
	global_store_byte v[0:1], v4, off
.LBB30_728:
	s_mov_b64 s[14:15], -1
.LBB30_729:
	s_mov_b64 s[16:17], 0
.LBB30_730:
	s_and_b64 vcc, exec, s[16:17]
	s_cbranch_vccz .LBB30_790
; %bb.731:
	s_cmp_gt_i32 s20, 22
	s_mov_b64 s[12:13], -1
	s_cbranch_scc0 .LBB30_783
; %bb.732:
	s_cmp_lt_i32 s20, 24
	s_cbranch_scc1 .LBB30_770
; %bb.733:
	s_cmp_gt_i32 s20, 24
	s_cbranch_scc0 .LBB30_757
; %bb.734:
	s_xor_b32 s13, s8, s9
	s_flbit_i32 s12, s9
	s_ashr_i32 s13, s13, 31
	s_add_i32 s12, s12, -1
	s_add_i32 s13, s13, 32
	s_min_u32 s14, s12, s13
	s_lshl_b64 s[12:13], s[8:9], s14
	s_min_u32 s12, s12, 1
	s_or_b32 s12, s13, s12
	v_cvt_f32_i32_e32 v3, s12
	s_sub_i32 s12, 32, s14
	v_mov_b32_e32 v4, 0x80
	v_ldexp_f32 v3, v3, s12
	v_readfirstlane_b32 s16, v3
	s_and_b32 s12, s16, 0x7fffffff
	s_cmp_gt_u32 s12, 0x477fffff
	s_cbranch_scc1 .LBB30_756
; %bb.735:
	s_cmp_gt_u32 s12, 0x37ffffff
	s_cbranch_scc0 .LBB30_751
; %bb.736:
	s_bfe_u32 s12, s16, 0x10015
	s_add_i32 s12, s16, s12
	s_add_i32 s12, s12, 0x88fffff
	s_lshr_b32 s17, s12, 21
	s_mov_b64 s[14:15], 0
	s_mov_b64 s[12:13], -1
	s_branch .LBB30_752
.LBB30_737:
	s_mov_b64 s[14:15], -1
	s_mov_b64 s[12:13], 0
                                        ; implicit-def: $sgpr19
.LBB30_738:
	s_andn2_b64 vcc, exec, s[14:15]
	v_mov_b32_e32 v2, s19
	s_cbranch_vccnz .LBB30_740
; %bb.739:
	v_mov_b32_e32 v2, 0x46000000
	v_add_f32_e64 v2, |s17|, v2
	v_and_b32_e32 v2, 0xff, v2
	v_cmp_ne_u32_e64 s[12:13], 0, v2
.LBB30_740:
	s_andn2_b64 vcc, exec, s[12:13]
	v_mov_b32_e32 v3, 0
	s_cbranch_vccnz .LBB30_742
; %bb.741:
	s_lshr_b32 s12, s17, 24
	s_and_b32 s12, s12, 0x80
	v_or_b32_e32 v3, s12, v2
.LBB30_742:
	global_store_byte v[0:1], v3, off
.LBB30_743:
	s_mov_b64 s[12:13], 0
.LBB30_744:
	s_and_b64 vcc, exec, s[12:13]
	s_cbranch_vccz .LBB30_914
; %bb.745:
	s_cmp_gt_i32 s16, 22
	s_mov_b64 s[10:11], -1
	s_cbranch_scc0 .LBB30_907
; %bb.746:
	s_cmp_lt_i32 s16, 24
	s_cbranch_scc1 .LBB30_894
; %bb.747:
	s_cmp_gt_i32 s16, 24
	s_cbranch_scc0 .LBB30_881
; %bb.748:
	s_xor_b32 s11, s8, s9
	s_flbit_i32 s10, s9
	s_ashr_i32 s11, s11, 31
	s_add_i32 s10, s10, -1
	s_add_i32 s11, s11, 32
	s_min_u32 s12, s10, s11
	s_lshl_b64 s[10:11], s[8:9], s12
	s_min_u32 s10, s10, 1
	s_or_b32 s10, s11, s10
	v_cvt_f32_i32_e32 v2, s10
	s_sub_i32 s10, 32, s12
	v_mov_b32_e32 v3, 0x80
	v_ldexp_f32 v2, v2, s10
	v_readfirstlane_b32 s14, v2
	s_and_b32 s10, s14, 0x7fffffff
	s_cmp_gt_u32 s10, 0x477fffff
	s_cbranch_scc1 .LBB30_880
; %bb.749:
	s_cmp_gt_u32 s10, 0x37ffffff
	s_cbranch_scc0 .LBB30_875
; %bb.750:
	s_bfe_u32 s10, s14, 0x10015
	s_add_i32 s10, s14, s10
	s_add_i32 s10, s10, 0x88fffff
	s_lshr_b32 s15, s10, 21
	s_mov_b64 s[12:13], 0
	s_mov_b64 s[10:11], -1
	s_branch .LBB30_876
.LBB30_751:
	s_mov_b64 s[14:15], -1
	s_mov_b64 s[12:13], 0
                                        ; implicit-def: $sgpr17
.LBB30_752:
	s_andn2_b64 vcc, exec, s[14:15]
	v_mov_b32_e32 v3, s17
	s_cbranch_vccnz .LBB30_754
; %bb.753:
	v_mov_b32_e32 v3, 0x42800000
	v_add_f32_e64 v3, |s16|, v3
	v_and_b32_e32 v3, 0xff, v3
	v_cmp_ne_u32_e64 s[12:13], 0, v3
.LBB30_754:
	s_andn2_b64 vcc, exec, s[12:13]
	v_mov_b32_e32 v4, 0
	s_cbranch_vccnz .LBB30_756
; %bb.755:
	s_lshr_b32 s12, s16, 24
	s_and_b32 s12, s12, 0x80
	v_or_b32_e32 v4, s12, v3
.LBB30_756:
	s_mov_b64 s[12:13], 0
	global_store_byte v[0:1], v4, off
.LBB30_757:
	s_and_b64 vcc, exec, s[12:13]
	s_cbranch_vccz .LBB30_769
; %bb.758:
	s_xor_b32 s13, s8, s9
	s_flbit_i32 s12, s9
	s_ashr_i32 s13, s13, 31
	s_add_i32 s12, s12, -1
	s_add_i32 s13, s13, 32
	s_min_u32 s14, s12, s13
	s_lshl_b64 s[12:13], s[8:9], s14
	s_min_u32 s12, s12, 1
	s_or_b32 s12, s13, s12
	v_cvt_f32_i32_e32 v3, s12
	s_sub_i32 s12, 32, s14
	v_ldexp_f32 v3, v3, s12
	v_readfirstlane_b32 s14, v3
	s_and_b32 s15, s14, 0x7fffffff
	s_cmp_lt_u32 s15, 0x43f00000
	s_cbranch_scc0 .LBB30_761
; %bb.759:
	s_cmp_gt_u32 s15, 0x3c7fffff
	s_cbranch_scc0 .LBB30_762
; %bb.760:
	s_bfe_u32 s12, s14, 0x10014
	s_add_i32 s12, s14, s12
	s_add_i32 s12, s12, 0x407ffff
	s_lshr_b32 s13, s12, 20
	s_and_b32 s12, s12, 0xff00000
	s_cmp_lg_u32 s12, 0x7f00000
	s_cselect_b32 s16, s13, 0x7e
	s_mov_b64 s[12:13], 0
	s_branch .LBB30_763
.LBB30_761:
	s_mov_b64 s[12:13], -1
                                        ; implicit-def: $vgpr4
	s_branch .LBB30_766
.LBB30_762:
	s_mov_b64 s[12:13], -1
                                        ; implicit-def: $sgpr16
.LBB30_763:
	s_andn2_b64 vcc, exec, s[12:13]
	v_mov_b32_e32 v4, s16
	s_cbranch_vccnz .LBB30_765
; %bb.764:
	s_mov_b32 s12, 0x46800000
	v_add_f32_e64 v4, |v3|, s12
.LBB30_765:
	s_mov_b64 s[12:13], 0
.LBB30_766:
	s_andn2_b64 vcc, exec, s[12:13]
	s_cbranch_vccnz .LBB30_768
; %bb.767:
	s_cmp_gt_u32 s15, 0x7f800000
	s_movk_i32 s12, 0x7f
	s_cselect_b32 s12, s12, 0x7e
	v_mov_b32_e32 v4, s12
.LBB30_768:
	s_lshr_b32 s12, s14, 24
	s_and_b32 s12, s12, 0x80
	v_or_b32_e32 v3, s12, v4
	global_store_byte v[0:1], v3, off
.LBB30_769:
	s_mov_b64 s[12:13], 0
.LBB30_770:
	s_andn2_b64 vcc, exec, s[12:13]
	s_cbranch_vccnz .LBB30_782
; %bb.771:
	s_xor_b32 s13, s8, s9
	s_flbit_i32 s12, s9
	s_ashr_i32 s13, s13, 31
	s_add_i32 s12, s12, -1
	s_add_i32 s13, s13, 32
	s_min_u32 s14, s12, s13
	s_lshl_b64 s[12:13], s[8:9], s14
	s_min_u32 s12, s12, 1
	s_or_b32 s12, s13, s12
	v_cvt_f32_i32_e32 v3, s12
	s_sub_i32 s12, 32, s14
	v_ldexp_f32 v3, v3, s12
	v_readfirstlane_b32 s14, v3
	s_and_b32 s15, s14, 0x7fffffff
	s_cmp_lt_u32 s15, 0x47800000
	s_cbranch_scc0 .LBB30_774
; %bb.772:
	s_cmp_gt_u32 s15, 0x387fffff
	s_cbranch_scc0 .LBB30_775
; %bb.773:
	s_bfe_u32 s12, s14, 0x10015
	s_add_i32 s12, s14, s12
	s_add_i32 s12, s12, 0x80fffff
	s_lshr_b32 s16, s12, 21
	s_mov_b64 s[12:13], 0
	s_branch .LBB30_776
.LBB30_774:
	s_mov_b64 s[12:13], -1
                                        ; implicit-def: $vgpr4
	s_branch .LBB30_779
.LBB30_775:
	s_mov_b64 s[12:13], -1
                                        ; implicit-def: $sgpr16
.LBB30_776:
	s_andn2_b64 vcc, exec, s[12:13]
	v_mov_b32_e32 v4, s16
	s_cbranch_vccnz .LBB30_778
; %bb.777:
	s_mov_b32 s12, 0x43000000
	v_add_f32_e64 v4, |v3|, s12
.LBB30_778:
	s_mov_b64 s[12:13], 0
.LBB30_779:
	s_andn2_b64 vcc, exec, s[12:13]
	s_cbranch_vccnz .LBB30_781
; %bb.780:
	s_cmp_gt_u32 s15, 0x7f800000
	s_movk_i32 s12, 0x7f
	s_cselect_b32 s12, s12, 0x7c
	v_mov_b32_e32 v4, s12
.LBB30_781:
	s_lshr_b32 s12, s14, 24
	s_and_b32 s12, s12, 0x80
	v_or_b32_e32 v3, s12, v4
	global_store_byte v[0:1], v3, off
.LBB30_782:
	s_mov_b64 s[12:13], 0
	s_mov_b64 s[14:15], -1
.LBB30_783:
	s_andn2_b64 vcc, exec, s[12:13]
	s_mov_b64 s[12:13], 0
	s_cbranch_vccnz .LBB30_790
; %bb.784:
	s_cmp_gt_i32 s20, 14
	s_mov_b64 s[16:17], -1
	s_cbranch_scc0 .LBB30_788
; %bb.785:
	s_cmp_eq_u32 s20, 15
	s_mov_b64 s[6:7], -1
	s_cbranch_scc0 .LBB30_787
; %bb.786:
	s_xor_b32 s7, s8, s9
	s_flbit_i32 s6, s9
	s_ashr_i32 s7, s7, 31
	s_add_i32 s6, s6, -1
	s_add_i32 s7, s7, 32
	s_min_u32 s12, s6, s7
	s_lshl_b64 s[6:7], s[8:9], s12
	s_min_u32 s6, s6, 1
	s_or_b32 s6, s7, s6
	v_cvt_f32_i32_e32 v3, s6
	s_sub_i32 s6, 32, s12
	s_mov_b64 s[14:15], -1
	v_ldexp_f32 v3, v3, s6
	v_bfe_u32 v4, v3, 16, 1
	v_add_u32_e32 v3, v3, v4
	v_add_u32_e32 v3, 0x7fff, v3
	global_store_short_d16_hi v[0:1], v3, off
	s_mov_b64 s[6:7], 0
.LBB30_787:
	s_mov_b64 s[16:17], 0
.LBB30_788:
	s_mov_b64 s[12:13], 0
	s_and_b64 vcc, exec, s[16:17]
	s_cbranch_vccz .LBB30_790
; %bb.789:
	s_cmp_lg_u32 s20, 11
	s_mov_b64 s[12:13], -1
	s_cselect_b64 s[6:7], -1, 0
.LBB30_790:
	s_and_b64 vcc, exec, s[6:7]
	s_cbranch_vccnz .LBB30_874
; %bb.791:
	s_andn2_b64 vcc, exec, s[12:13]
	s_cbranch_vccnz .LBB30_793
.LBB30_792:
	s_cmp_lg_u64 s[8:9], 0
	s_cselect_b64 s[6:7], -1, 0
	v_cndmask_b32_e64 v3, 0, 1, s[6:7]
	s_mov_b64 s[14:15], -1
	global_store_byte v[0:1], v3, off
.LBB30_793:
	s_branch .LBB30_690
.LBB30_794:
	s_and_b32 s12, 0xffff, s18
	s_cmp_lt_i32 s12, 5
	s_mov_b64 s[6:7], -1
	s_cbranch_scc1 .LBB30_815
; %bb.795:
	s_cmp_lt_i32 s12, 8
	s_cbranch_scc1 .LBB30_805
; %bb.796:
	s_cmp_lt_i32 s12, 9
	s_cbranch_scc1 .LBB30_802
; %bb.797:
	s_cmp_gt_i32 s12, 9
	s_cbranch_scc0 .LBB30_799
; %bb.798:
	v_cvt_f64_i32_e32 v[3:4], s9
	v_cvt_f64_u32_e32 v[5:6], s8
	s_mov_b64 s[6:7], 0
	v_ldexp_f64 v[3:4], v[3:4], 32
	v_add_f64 v[3:4], v[3:4], v[5:6]
	v_mov_b32_e32 v5, 0
	v_mov_b32_e32 v6, v5
	global_store_dwordx4 v[0:1], v[3:6], off
.LBB30_799:
	s_andn2_b64 vcc, exec, s[6:7]
	s_cbranch_vccnz .LBB30_801
; %bb.800:
	s_xor_b32 s7, s8, s9
	s_flbit_i32 s6, s9
	s_ashr_i32 s7, s7, 31
	s_add_i32 s6, s6, -1
	s_add_i32 s7, s7, 32
	s_min_u32 s13, s6, s7
	s_lshl_b64 s[6:7], s[8:9], s13
	s_min_u32 s6, s6, 1
	s_or_b32 s6, s7, s6
	v_cvt_f32_i32_e32 v3, s6
	s_sub_i32 s6, 32, s13
	v_mov_b32_e32 v4, 0
	v_ldexp_f32 v3, v3, s6
	global_store_dwordx2 v[0:1], v[3:4], off
.LBB30_801:
	s_mov_b64 s[6:7], 0
.LBB30_802:
	s_andn2_b64 vcc, exec, s[6:7]
	s_cbranch_vccnz .LBB30_804
; %bb.803:
	s_xor_b32 s7, s8, s9
	s_flbit_i32 s6, s9
	s_ashr_i32 s7, s7, 31
	s_add_i32 s6, s6, -1
	s_add_i32 s7, s7, 32
	s_min_u32 s13, s6, s7
	s_lshl_b64 s[6:7], s[8:9], s13
	s_min_u32 s6, s6, 1
	s_or_b32 s6, s7, s6
	v_cvt_f32_i32_e32 v3, s6
	s_sub_i32 s6, 32, s13
	v_ldexp_f32 v3, v3, s6
	v_cvt_f16_f32_e32 v3, v3
	global_store_dword v[0:1], v3, off
.LBB30_804:
	s_mov_b64 s[6:7], 0
.LBB30_805:
	s_andn2_b64 vcc, exec, s[6:7]
	s_cbranch_vccnz .LBB30_814
; %bb.806:
	s_cmp_lt_i32 s12, 6
	s_mov_b64 s[6:7], -1
	s_cbranch_scc1 .LBB30_812
; %bb.807:
	s_cmp_gt_i32 s12, 6
	s_cbranch_scc0 .LBB30_809
; %bb.808:
	v_cvt_f64_i32_e32 v[3:4], s9
	v_cvt_f64_u32_e32 v[5:6], s8
	s_mov_b64 s[6:7], 0
	v_ldexp_f64 v[3:4], v[3:4], 32
	v_add_f64 v[3:4], v[3:4], v[5:6]
	global_store_dwordx2 v[0:1], v[3:4], off
.LBB30_809:
	s_andn2_b64 vcc, exec, s[6:7]
	s_cbranch_vccnz .LBB30_811
; %bb.810:
	s_xor_b32 s7, s8, s9
	s_flbit_i32 s6, s9
	s_ashr_i32 s7, s7, 31
	s_add_i32 s6, s6, -1
	s_add_i32 s7, s7, 32
	s_min_u32 s13, s6, s7
	s_lshl_b64 s[6:7], s[8:9], s13
	s_min_u32 s6, s6, 1
	s_or_b32 s6, s7, s6
	v_cvt_f32_i32_e32 v3, s6
	s_sub_i32 s6, 32, s13
	v_ldexp_f32 v3, v3, s6
	global_store_dword v[0:1], v3, off
.LBB30_811:
	s_mov_b64 s[6:7], 0
.LBB30_812:
	s_andn2_b64 vcc, exec, s[6:7]
	s_cbranch_vccnz .LBB30_814
; %bb.813:
	s_xor_b32 s7, s8, s9
	s_flbit_i32 s6, s9
	s_ashr_i32 s7, s7, 31
	s_add_i32 s6, s6, -1
	s_add_i32 s7, s7, 32
	s_min_u32 s13, s6, s7
	s_lshl_b64 s[6:7], s[8:9], s13
	s_min_u32 s6, s6, 1
	s_or_b32 s6, s7, s6
	v_cvt_f32_i32_e32 v3, s6
	s_sub_i32 s6, 32, s13
	v_ldexp_f32 v3, v3, s6
	v_cvt_f16_f32_e32 v3, v3
	global_store_short v[0:1], v3, off
.LBB30_814:
	s_mov_b64 s[6:7], 0
.LBB30_815:
	s_andn2_b64 vcc, exec, s[6:7]
	s_cbranch_vccnz .LBB30_831
; %bb.816:
	s_cmp_lt_i32 s12, 2
	s_mov_b64 s[6:7], -1
	s_cbranch_scc1 .LBB30_826
; %bb.817:
	s_cmp_lt_i32 s12, 3
	s_cbranch_scc1 .LBB30_823
; %bb.818:
	s_cmp_gt_i32 s12, 3
	s_cbranch_scc0 .LBB30_820
; %bb.819:
	v_mov_b32_e32 v3, s8
	v_mov_b32_e32 v4, s9
	global_store_dwordx2 v[0:1], v[3:4], off
	s_mov_b64 s[6:7], 0
.LBB30_820:
	s_andn2_b64 vcc, exec, s[6:7]
	s_cbranch_vccnz .LBB30_822
; %bb.821:
	v_mov_b32_e32 v3, s8
	global_store_dword v[0:1], v3, off
.LBB30_822:
	s_mov_b64 s[6:7], 0
.LBB30_823:
	s_andn2_b64 vcc, exec, s[6:7]
	s_cbranch_vccnz .LBB30_825
; %bb.824:
	v_mov_b32_e32 v3, s8
	global_store_short v[0:1], v3, off
.LBB30_825:
	s_mov_b64 s[6:7], 0
.LBB30_826:
	s_andn2_b64 vcc, exec, s[6:7]
	s_cbranch_vccnz .LBB30_831
; %bb.827:
	s_cmp_gt_i32 s12, 0
	s_mov_b64 s[6:7], -1
	s_cbranch_scc0 .LBB30_829
; %bb.828:
	v_mov_b32_e32 v3, s8
	global_store_byte v[0:1], v3, off
	s_mov_b64 s[6:7], 0
.LBB30_829:
	s_andn2_b64 vcc, exec, s[6:7]
	s_cbranch_vccnz .LBB30_831
; %bb.830:
	v_mov_b32_e32 v3, s8
	global_store_byte v[0:1], v3, off
.LBB30_831:
	s_branch .LBB30_691
.LBB30_832:
	s_mov_b64 s[6:7], 0
	s_mov_b64 s[10:11], 0
                                        ; implicit-def: $sgpr18
                                        ; implicit-def: $vgpr0_vgpr1
.LBB30_833:
	s_andn2_b64 s[0:1], s[0:1], exec
	s_and_b64 s[4:5], s[4:5], exec
	s_and_b64 s[12:13], s[6:7], exec
	;; [unrolled: 1-line block ×3, first 2 shown]
	s_or_b64 s[0:1], s[0:1], s[4:5]
	s_or_b64 exec, exec, s[2:3]
	s_and_saveexec_b64 s[2:3], s[0:1]
	s_cbranch_execnz .LBB30_434
.LBB30_834:
	s_or_b64 exec, exec, s[2:3]
	s_and_saveexec_b64 s[0:1], s[6:7]
	s_xor_b64 s[0:1], exec, s[0:1]
	s_cbranch_execz .LBB30_435
.LBB30_835:
	s_cmp_lg_u64 s[8:9], 0
	s_cselect_b64 s[2:3], -1, 0
	v_cndmask_b32_e64 v2, 0, 1, s[2:3]
	global_store_byte v[0:1], v2, off
	s_or_b64 exec, exec, s[0:1]
	s_and_saveexec_b64 s[0:1], s[12:13]
	s_cbranch_execz .LBB30_873
.LBB30_836:
	s_sext_i32_i16 s2, s18
	s_cmp_lt_i32 s2, 5
	s_mov_b64 s[0:1], -1
	s_cbranch_scc1 .LBB30_857
; %bb.837:
	s_cmp_lt_i32 s2, 8
	s_cbranch_scc1 .LBB30_847
; %bb.838:
	s_cmp_lt_i32 s2, 9
	s_cbranch_scc1 .LBB30_844
; %bb.839:
	s_cmp_gt_i32 s2, 9
	s_cbranch_scc0 .LBB30_841
; %bb.840:
	v_cvt_f64_i32_e32 v[2:3], s9
	v_cvt_f64_u32_e32 v[4:5], s8
	s_mov_b64 s[0:1], 0
	v_ldexp_f64 v[2:3], v[2:3], 32
	v_add_f64 v[2:3], v[2:3], v[4:5]
	v_mov_b32_e32 v4, 0
	v_mov_b32_e32 v5, v4
	global_store_dwordx4 v[0:1], v[2:5], off
.LBB30_841:
	s_andn2_b64 vcc, exec, s[0:1]
	s_cbranch_vccnz .LBB30_843
; %bb.842:
	s_xor_b32 s1, s8, s9
	s_flbit_i32 s0, s9
	s_ashr_i32 s1, s1, 31
	s_add_i32 s0, s0, -1
	s_add_i32 s1, s1, 32
	s_min_u32 s2, s0, s1
	s_lshl_b64 s[0:1], s[8:9], s2
	s_min_u32 s0, s0, 1
	s_or_b32 s0, s1, s0
	v_cvt_f32_i32_e32 v2, s0
	s_sub_i32 s0, 32, s2
	v_mov_b32_e32 v3, 0
	v_ldexp_f32 v2, v2, s0
	global_store_dwordx2 v[0:1], v[2:3], off
.LBB30_843:
	s_mov_b64 s[0:1], 0
.LBB30_844:
	s_andn2_b64 vcc, exec, s[0:1]
	s_cbranch_vccnz .LBB30_846
; %bb.845:
	s_xor_b32 s1, s8, s9
	s_flbit_i32 s0, s9
	s_ashr_i32 s1, s1, 31
	s_add_i32 s0, s0, -1
	s_add_i32 s1, s1, 32
	s_min_u32 s2, s0, s1
	s_lshl_b64 s[0:1], s[8:9], s2
	s_min_u32 s0, s0, 1
	s_or_b32 s0, s1, s0
	v_cvt_f32_i32_e32 v2, s0
	s_sub_i32 s0, 32, s2
	v_ldexp_f32 v2, v2, s0
	v_cvt_f16_f32_e32 v2, v2
	global_store_dword v[0:1], v2, off
.LBB30_846:
	s_mov_b64 s[0:1], 0
.LBB30_847:
	s_andn2_b64 vcc, exec, s[0:1]
	s_cbranch_vccnz .LBB30_856
; %bb.848:
	s_sext_i32_i16 s2, s18
	s_cmp_lt_i32 s2, 6
	s_mov_b64 s[0:1], -1
	s_cbranch_scc1 .LBB30_854
; %bb.849:
	s_cmp_gt_i32 s2, 6
	s_cbranch_scc0 .LBB30_851
; %bb.850:
	v_cvt_f64_i32_e32 v[2:3], s9
	v_cvt_f64_u32_e32 v[4:5], s8
	s_mov_b64 s[0:1], 0
	v_ldexp_f64 v[2:3], v[2:3], 32
	v_add_f64 v[2:3], v[2:3], v[4:5]
	global_store_dwordx2 v[0:1], v[2:3], off
.LBB30_851:
	s_andn2_b64 vcc, exec, s[0:1]
	s_cbranch_vccnz .LBB30_853
; %bb.852:
	s_xor_b32 s1, s8, s9
	s_flbit_i32 s0, s9
	s_ashr_i32 s1, s1, 31
	s_add_i32 s0, s0, -1
	s_add_i32 s1, s1, 32
	s_min_u32 s2, s0, s1
	s_lshl_b64 s[0:1], s[8:9], s2
	s_min_u32 s0, s0, 1
	s_or_b32 s0, s1, s0
	v_cvt_f32_i32_e32 v2, s0
	s_sub_i32 s0, 32, s2
	v_ldexp_f32 v2, v2, s0
	global_store_dword v[0:1], v2, off
.LBB30_853:
	s_mov_b64 s[0:1], 0
.LBB30_854:
	s_andn2_b64 vcc, exec, s[0:1]
	s_cbranch_vccnz .LBB30_856
; %bb.855:
	s_xor_b32 s1, s8, s9
	s_flbit_i32 s0, s9
	s_ashr_i32 s1, s1, 31
	s_add_i32 s0, s0, -1
	s_add_i32 s1, s1, 32
	s_min_u32 s2, s0, s1
	s_lshl_b64 s[0:1], s[8:9], s2
	s_min_u32 s0, s0, 1
	s_or_b32 s0, s1, s0
	v_cvt_f32_i32_e32 v2, s0
	s_sub_i32 s0, 32, s2
	v_ldexp_f32 v2, v2, s0
	v_cvt_f16_f32_e32 v2, v2
	global_store_short v[0:1], v2, off
.LBB30_856:
	s_mov_b64 s[0:1], 0
.LBB30_857:
	s_andn2_b64 vcc, exec, s[0:1]
	s_cbranch_vccnz .LBB30_873
; %bb.858:
	s_sext_i32_i16 s2, s18
	s_cmp_lt_i32 s2, 2
	s_mov_b64 s[0:1], -1
	s_cbranch_scc1 .LBB30_868
; %bb.859:
	s_cmp_lt_i32 s2, 3
	s_cbranch_scc1 .LBB30_865
; %bb.860:
	s_cmp_gt_i32 s2, 3
	s_cbranch_scc0 .LBB30_862
; %bb.861:
	v_mov_b32_e32 v2, s8
	v_mov_b32_e32 v3, s9
	global_store_dwordx2 v[0:1], v[2:3], off
	s_mov_b64 s[0:1], 0
.LBB30_862:
	s_andn2_b64 vcc, exec, s[0:1]
	s_cbranch_vccnz .LBB30_864
; %bb.863:
	v_mov_b32_e32 v2, s8
	global_store_dword v[0:1], v2, off
.LBB30_864:
	s_mov_b64 s[0:1], 0
.LBB30_865:
	s_andn2_b64 vcc, exec, s[0:1]
	s_cbranch_vccnz .LBB30_867
; %bb.866:
	v_mov_b32_e32 v2, s8
	global_store_short v[0:1], v2, off
.LBB30_867:
	s_mov_b64 s[0:1], 0
.LBB30_868:
	s_andn2_b64 vcc, exec, s[0:1]
	s_cbranch_vccnz .LBB30_873
; %bb.869:
	s_sext_i32_i16 s0, s18
	s_cmp_gt_i32 s0, 0
	s_mov_b64 s[0:1], -1
	s_cbranch_scc0 .LBB30_871
; %bb.870:
	v_mov_b32_e32 v2, s8
	global_store_byte v[0:1], v2, off
	s_mov_b64 s[0:1], 0
.LBB30_871:
	s_andn2_b64 vcc, exec, s[0:1]
	s_cbranch_vccnz .LBB30_873
; %bb.872:
	v_mov_b32_e32 v2, s8
	global_store_byte v[0:1], v2, off
	s_endpgm
.LBB30_873:
	s_endpgm
.LBB30_874:
	s_trap 2
	s_or_b64 s[4:5], s[4:5], exec
	s_cbranch_execz .LBB30_792
	s_branch .LBB30_793
.LBB30_875:
	s_mov_b64 s[12:13], -1
	s_mov_b64 s[10:11], 0
                                        ; implicit-def: $sgpr15
.LBB30_876:
	s_andn2_b64 vcc, exec, s[12:13]
	v_mov_b32_e32 v2, s15
	s_cbranch_vccnz .LBB30_878
; %bb.877:
	v_mov_b32_e32 v2, 0x42800000
	v_add_f32_e64 v2, |s14|, v2
	v_and_b32_e32 v2, 0xff, v2
	v_cmp_ne_u32_e64 s[10:11], 0, v2
.LBB30_878:
	s_andn2_b64 vcc, exec, s[10:11]
	v_mov_b32_e32 v3, 0
	s_cbranch_vccnz .LBB30_880
; %bb.879:
	s_lshr_b32 s10, s14, 24
	s_and_b32 s10, s10, 0x80
	v_or_b32_e32 v3, s10, v2
.LBB30_880:
	s_mov_b64 s[10:11], 0
	global_store_byte v[0:1], v3, off
.LBB30_881:
	s_and_b64 vcc, exec, s[10:11]
	s_cbranch_vccz .LBB30_893
; %bb.882:
	s_xor_b32 s11, s8, s9
	s_flbit_i32 s10, s9
	s_ashr_i32 s11, s11, 31
	s_add_i32 s10, s10, -1
	s_add_i32 s11, s11, 32
	s_min_u32 s12, s10, s11
	s_lshl_b64 s[10:11], s[8:9], s12
	s_min_u32 s10, s10, 1
	s_or_b32 s10, s11, s10
	v_cvt_f32_i32_e32 v2, s10
	s_sub_i32 s10, 32, s12
	v_ldexp_f32 v2, v2, s10
	v_readfirstlane_b32 s12, v2
	s_and_b32 s13, s12, 0x7fffffff
	s_cmp_lt_u32 s13, 0x43f00000
	s_cbranch_scc0 .LBB30_885
; %bb.883:
	s_cmp_gt_u32 s13, 0x3c7fffff
	s_cbranch_scc0 .LBB30_886
; %bb.884:
	s_bfe_u32 s10, s12, 0x10014
	s_add_i32 s10, s12, s10
	s_add_i32 s10, s10, 0x407ffff
	s_lshr_b32 s11, s10, 20
	s_and_b32 s10, s10, 0xff00000
	s_cmp_lg_u32 s10, 0x7f00000
	s_cselect_b32 s14, s11, 0x7e
	s_mov_b64 s[10:11], 0
	s_branch .LBB30_887
.LBB30_885:
	s_mov_b64 s[10:11], -1
                                        ; implicit-def: $vgpr3
	s_branch .LBB30_890
.LBB30_886:
	s_mov_b64 s[10:11], -1
                                        ; implicit-def: $sgpr14
.LBB30_887:
	s_andn2_b64 vcc, exec, s[10:11]
	v_mov_b32_e32 v3, s14
	s_cbranch_vccnz .LBB30_889
; %bb.888:
	s_mov_b32 s10, 0x46800000
	v_add_f32_e64 v3, |v2|, s10
.LBB30_889:
	s_mov_b64 s[10:11], 0
.LBB30_890:
	s_andn2_b64 vcc, exec, s[10:11]
	s_cbranch_vccnz .LBB30_892
; %bb.891:
	s_cmp_gt_u32 s13, 0x7f800000
	s_movk_i32 s10, 0x7f
	s_cselect_b32 s10, s10, 0x7e
	v_mov_b32_e32 v3, s10
.LBB30_892:
	s_lshr_b32 s10, s12, 24
	s_and_b32 s10, s10, 0x80
	v_or_b32_e32 v2, s10, v3
	global_store_byte v[0:1], v2, off
.LBB30_893:
	s_mov_b64 s[10:11], 0
.LBB30_894:
	s_andn2_b64 vcc, exec, s[10:11]
	s_cbranch_vccnz .LBB30_906
; %bb.895:
	s_xor_b32 s11, s8, s9
	s_flbit_i32 s10, s9
	s_ashr_i32 s11, s11, 31
	s_add_i32 s10, s10, -1
	s_add_i32 s11, s11, 32
	s_min_u32 s12, s10, s11
	s_lshl_b64 s[10:11], s[8:9], s12
	s_min_u32 s10, s10, 1
	s_or_b32 s10, s11, s10
	v_cvt_f32_i32_e32 v2, s10
	s_sub_i32 s10, 32, s12
	v_ldexp_f32 v2, v2, s10
	v_readfirstlane_b32 s12, v2
	s_and_b32 s13, s12, 0x7fffffff
	s_cmp_lt_u32 s13, 0x47800000
	s_cbranch_scc0 .LBB30_898
; %bb.896:
	s_cmp_gt_u32 s13, 0x387fffff
	s_cbranch_scc0 .LBB30_899
; %bb.897:
	s_bfe_u32 s10, s12, 0x10015
	s_add_i32 s10, s12, s10
	s_add_i32 s10, s10, 0x80fffff
	s_lshr_b32 s14, s10, 21
	s_mov_b64 s[10:11], 0
	s_branch .LBB30_900
.LBB30_898:
	s_mov_b64 s[10:11], -1
                                        ; implicit-def: $vgpr3
	s_branch .LBB30_903
.LBB30_899:
	s_mov_b64 s[10:11], -1
                                        ; implicit-def: $sgpr14
.LBB30_900:
	s_andn2_b64 vcc, exec, s[10:11]
	v_mov_b32_e32 v3, s14
	s_cbranch_vccnz .LBB30_902
; %bb.901:
	s_mov_b32 s10, 0x43000000
	v_add_f32_e64 v3, |v2|, s10
.LBB30_902:
	s_mov_b64 s[10:11], 0
.LBB30_903:
	s_andn2_b64 vcc, exec, s[10:11]
	s_cbranch_vccnz .LBB30_905
; %bb.904:
	s_cmp_gt_u32 s13, 0x7f800000
	s_movk_i32 s10, 0x7f
	s_cselect_b32 s10, s10, 0x7c
	v_mov_b32_e32 v3, s10
.LBB30_905:
	s_lshr_b32 s10, s12, 24
	s_and_b32 s10, s10, 0x80
	v_or_b32_e32 v2, s10, v3
	global_store_byte v[0:1], v2, off
.LBB30_906:
	s_mov_b64 s[10:11], 0
.LBB30_907:
	s_andn2_b64 vcc, exec, s[10:11]
	s_mov_b64 s[10:11], 0
	s_cbranch_vccnz .LBB30_914
; %bb.908:
	s_cmp_gt_i32 s16, 14
	s_mov_b64 s[12:13], -1
	s_cbranch_scc0 .LBB30_912
; %bb.909:
	s_cmp_eq_u32 s16, 15
	s_mov_b64 s[6:7], -1
	s_cbranch_scc0 .LBB30_911
; %bb.910:
	s_xor_b32 s7, s8, s9
	s_flbit_i32 s6, s9
	s_ashr_i32 s7, s7, 31
	s_add_i32 s6, s6, -1
	s_add_i32 s7, s7, 32
	s_min_u32 s10, s6, s7
	s_lshl_b64 s[6:7], s[8:9], s10
	s_min_u32 s6, s6, 1
	s_or_b32 s6, s7, s6
	v_cvt_f32_i32_e32 v2, s6
	s_sub_i32 s6, 32, s10
	v_ldexp_f32 v2, v2, s6
	v_bfe_u32 v3, v2, 16, 1
	v_add_u32_e32 v2, v2, v3
	v_add_u32_e32 v2, 0x7fff, v2
	global_store_short_d16_hi v[0:1], v2, off
	s_mov_b64 s[6:7], 0
.LBB30_911:
	s_mov_b64 s[12:13], 0
.LBB30_912:
	s_mov_b64 s[10:11], 0
	s_and_b64 vcc, exec, s[12:13]
	s_cbranch_vccz .LBB30_914
; %bb.913:
	s_cmp_lg_u32 s16, 11
	s_mov_b64 s[10:11], -1
	s_cselect_b64 s[6:7], -1, 0
.LBB30_914:
	s_and_b64 vcc, exec, s[6:7]
	s_cbranch_vccnz .LBB30_916
.LBB30_915:
	s_mov_b64 s[6:7], 0
	s_branch .LBB30_833
.LBB30_916:
	s_mov_b64 s[10:11], 0
	s_or_b64 s[4:5], s[4:5], exec
	s_trap 2
	s_branch .LBB30_915
	.section	.rodata,"a",@progbits
	.p2align	6, 0x0
	.amdhsa_kernel _ZN2at6native32elementwise_kernel_manual_unrollILi128ELi4EZNS0_15gpu_kernel_implINS0_11FillFunctorIlEEEEvRNS_18TensorIteratorBaseERKT_EUlibE_EEviT1_
		.amdhsa_group_segment_fixed_size 0
		.amdhsa_private_segment_fixed_size 0
		.amdhsa_kernarg_size 40
		.amdhsa_user_sgpr_count 6
		.amdhsa_user_sgpr_private_segment_buffer 1
		.amdhsa_user_sgpr_dispatch_ptr 0
		.amdhsa_user_sgpr_queue_ptr 0
		.amdhsa_user_sgpr_kernarg_segment_ptr 1
		.amdhsa_user_sgpr_dispatch_id 0
		.amdhsa_user_sgpr_flat_scratch_init 0
		.amdhsa_user_sgpr_private_segment_size 0
		.amdhsa_uses_dynamic_stack 0
		.amdhsa_system_sgpr_private_segment_wavefront_offset 0
		.amdhsa_system_sgpr_workgroup_id_x 1
		.amdhsa_system_sgpr_workgroup_id_y 0
		.amdhsa_system_sgpr_workgroup_id_z 0
		.amdhsa_system_sgpr_workgroup_info 0
		.amdhsa_system_vgpr_workitem_id 0
		.amdhsa_next_free_vgpr 16
		.amdhsa_next_free_sgpr 62
		.amdhsa_reserve_vcc 1
		.amdhsa_reserve_flat_scratch 0
		.amdhsa_float_round_mode_32 0
		.amdhsa_float_round_mode_16_64 0
		.amdhsa_float_denorm_mode_32 3
		.amdhsa_float_denorm_mode_16_64 3
		.amdhsa_dx10_clamp 1
		.amdhsa_ieee_mode 1
		.amdhsa_fp16_overflow 0
		.amdhsa_exception_fp_ieee_invalid_op 0
		.amdhsa_exception_fp_denorm_src 0
		.amdhsa_exception_fp_ieee_div_zero 0
		.amdhsa_exception_fp_ieee_overflow 0
		.amdhsa_exception_fp_ieee_underflow 0
		.amdhsa_exception_fp_ieee_inexact 0
		.amdhsa_exception_int_div_zero 0
	.end_amdhsa_kernel
	.section	.text._ZN2at6native32elementwise_kernel_manual_unrollILi128ELi4EZNS0_15gpu_kernel_implINS0_11FillFunctorIlEEEEvRNS_18TensorIteratorBaseERKT_EUlibE_EEviT1_,"axG",@progbits,_ZN2at6native32elementwise_kernel_manual_unrollILi128ELi4EZNS0_15gpu_kernel_implINS0_11FillFunctorIlEEEEvRNS_18TensorIteratorBaseERKT_EUlibE_EEviT1_,comdat
.Lfunc_end30:
	.size	_ZN2at6native32elementwise_kernel_manual_unrollILi128ELi4EZNS0_15gpu_kernel_implINS0_11FillFunctorIlEEEEvRNS_18TensorIteratorBaseERKT_EUlibE_EEviT1_, .Lfunc_end30-_ZN2at6native32elementwise_kernel_manual_unrollILi128ELi4EZNS0_15gpu_kernel_implINS0_11FillFunctorIlEEEEvRNS_18TensorIteratorBaseERKT_EUlibE_EEviT1_
                                        ; -- End function
	.set _ZN2at6native32elementwise_kernel_manual_unrollILi128ELi4EZNS0_15gpu_kernel_implINS0_11FillFunctorIlEEEEvRNS_18TensorIteratorBaseERKT_EUlibE_EEviT1_.num_vgpr, 16
	.set _ZN2at6native32elementwise_kernel_manual_unrollILi128ELi4EZNS0_15gpu_kernel_implINS0_11FillFunctorIlEEEEvRNS_18TensorIteratorBaseERKT_EUlibE_EEviT1_.num_agpr, 0
	.set _ZN2at6native32elementwise_kernel_manual_unrollILi128ELi4EZNS0_15gpu_kernel_implINS0_11FillFunctorIlEEEEvRNS_18TensorIteratorBaseERKT_EUlibE_EEviT1_.numbered_sgpr, 62
	.set _ZN2at6native32elementwise_kernel_manual_unrollILi128ELi4EZNS0_15gpu_kernel_implINS0_11FillFunctorIlEEEEvRNS_18TensorIteratorBaseERKT_EUlibE_EEviT1_.num_named_barrier, 0
	.set _ZN2at6native32elementwise_kernel_manual_unrollILi128ELi4EZNS0_15gpu_kernel_implINS0_11FillFunctorIlEEEEvRNS_18TensorIteratorBaseERKT_EUlibE_EEviT1_.private_seg_size, 0
	.set _ZN2at6native32elementwise_kernel_manual_unrollILi128ELi4EZNS0_15gpu_kernel_implINS0_11FillFunctorIlEEEEvRNS_18TensorIteratorBaseERKT_EUlibE_EEviT1_.uses_vcc, 1
	.set _ZN2at6native32elementwise_kernel_manual_unrollILi128ELi4EZNS0_15gpu_kernel_implINS0_11FillFunctorIlEEEEvRNS_18TensorIteratorBaseERKT_EUlibE_EEviT1_.uses_flat_scratch, 0
	.set _ZN2at6native32elementwise_kernel_manual_unrollILi128ELi4EZNS0_15gpu_kernel_implINS0_11FillFunctorIlEEEEvRNS_18TensorIteratorBaseERKT_EUlibE_EEviT1_.has_dyn_sized_stack, 0
	.set _ZN2at6native32elementwise_kernel_manual_unrollILi128ELi4EZNS0_15gpu_kernel_implINS0_11FillFunctorIlEEEEvRNS_18TensorIteratorBaseERKT_EUlibE_EEviT1_.has_recursion, 0
	.set _ZN2at6native32elementwise_kernel_manual_unrollILi128ELi4EZNS0_15gpu_kernel_implINS0_11FillFunctorIlEEEEvRNS_18TensorIteratorBaseERKT_EUlibE_EEviT1_.has_indirect_call, 0
	.section	.AMDGPU.csdata,"",@progbits
; Kernel info:
; codeLenInByte = 14580
; TotalNumSgprs: 66
; NumVgprs: 16
; ScratchSize: 0
; MemoryBound: 0
; FloatMode: 240
; IeeeMode: 1
; LDSByteSize: 0 bytes/workgroup (compile time only)
; SGPRBlocks: 8
; VGPRBlocks: 3
; NumSGPRsForWavesPerEU: 66
; NumVGPRsForWavesPerEU: 16
; Occupancy: 10
; WaveLimiterHint : 0
; COMPUTE_PGM_RSRC2:SCRATCH_EN: 0
; COMPUTE_PGM_RSRC2:USER_SGPR: 6
; COMPUTE_PGM_RSRC2:TRAP_HANDLER: 0
; COMPUTE_PGM_RSRC2:TGID_X_EN: 1
; COMPUTE_PGM_RSRC2:TGID_Y_EN: 0
; COMPUTE_PGM_RSRC2:TGID_Z_EN: 0
; COMPUTE_PGM_RSRC2:TIDIG_COMP_CNT: 0
	.section	.text._ZN2at6native32elementwise_kernel_manual_unrollILi128ELi4EZNS0_15gpu_kernel_implINS0_11FillFunctorIlEEEEvRNS_18TensorIteratorBaseERKT_EUlibE0_EEviT1_,"axG",@progbits,_ZN2at6native32elementwise_kernel_manual_unrollILi128ELi4EZNS0_15gpu_kernel_implINS0_11FillFunctorIlEEEEvRNS_18TensorIteratorBaseERKT_EUlibE0_EEviT1_,comdat
	.protected	_ZN2at6native32elementwise_kernel_manual_unrollILi128ELi4EZNS0_15gpu_kernel_implINS0_11FillFunctorIlEEEEvRNS_18TensorIteratorBaseERKT_EUlibE0_EEviT1_ ; -- Begin function _ZN2at6native32elementwise_kernel_manual_unrollILi128ELi4EZNS0_15gpu_kernel_implINS0_11FillFunctorIlEEEEvRNS_18TensorIteratorBaseERKT_EUlibE0_EEviT1_
	.globl	_ZN2at6native32elementwise_kernel_manual_unrollILi128ELi4EZNS0_15gpu_kernel_implINS0_11FillFunctorIlEEEEvRNS_18TensorIteratorBaseERKT_EUlibE0_EEviT1_
	.p2align	8
	.type	_ZN2at6native32elementwise_kernel_manual_unrollILi128ELi4EZNS0_15gpu_kernel_implINS0_11FillFunctorIlEEEEvRNS_18TensorIteratorBaseERKT_EUlibE0_EEviT1_,@function
_ZN2at6native32elementwise_kernel_manual_unrollILi128ELi4EZNS0_15gpu_kernel_implINS0_11FillFunctorIlEEEEvRNS_18TensorIteratorBaseERKT_EUlibE0_EEviT1_: ; @_ZN2at6native32elementwise_kernel_manual_unrollILi128ELi4EZNS0_15gpu_kernel_implINS0_11FillFunctorIlEEEEvRNS_18TensorIteratorBaseERKT_EUlibE0_EEviT1_
; %bb.0:
	s_load_dword s90, s[4:5], 0x0
	s_load_dword s33, s[4:5], 0x8
	s_add_u32 s34, s4, 8
	s_addc_u32 s35, s5, 0
	v_lshl_or_b32 v8, s6, 9, v0
	v_or_b32_e32 v9, 0x180, v8
	s_waitcnt lgkmcnt(0)
	s_add_i32 s80, s33, -1
	s_cmp_gt_u32 s80, 1
	v_cmp_le_i32_e32 vcc, s90, v9
	s_cselect_b64 s[36:37], -1, 0
	s_mov_b64 s[6:7], 0
	s_mov_b64 s[20:21], 0
	s_and_saveexec_b64 s[0:1], vcc
	s_xor_b64 s[38:39], exec, s[0:1]
	s_cbranch_execz .LBB31_462
; %bb.1:
	s_load_dwordx4 s[16:19], s[34:35], 0x108
	s_load_dwordx2 s[58:59], s[34:35], 0xc4
	s_cmp_lg_u32 s33, 0
	s_cselect_b64 s[64:65], -1, 0
	s_add_u32 s60, s34, 0xc4
	s_addc_u32 s61, s35, 0
	s_min_u32 s91, s80, 15
	s_cmp_gt_u32 s33, 1
	s_cselect_b64 s[56:57], -1, 0
	s_waitcnt lgkmcnt(0)
	s_xor_b32 s1, s18, s19
	s_flbit_i32 s0, s19
	s_ashr_i32 s1, s1, 31
	s_add_i32 s0, s0, -1
	s_add_i32 s1, s1, 32
	s_min_u32 s2, s0, s1
	s_lshl_b64 s[0:1], s[18:19], s2
	s_min_u32 s0, s0, 1
	s_or_b32 s0, s1, s0
	v_cvt_f32_i32_e32 v0, s0
	s_sub_i32 s0, 32, s2
	s_load_dword s89, s[34:35], 0x118
	s_load_dwordx2 s[62:63], s[34:35], 0x14
	s_load_dwordx4 s[20:23], s[34:35], 0x4
	v_ldexp_f32 v4, v0, s0
	v_and_b32_e32 v2, 0x400000, v4
	v_bfe_u32 v1, v4, 23, 8
	s_movk_i32 s0, 0xff
	v_cmp_ne_u32_e32 vcc, 0, v2
	v_and_b32_e32 v2, 0x3fffff, v4
	v_cmp_eq_u32_e64 s[4:5], s0, v1
	v_or_b32_e32 v1, v1, v2
	v_cmp_ne_u32_e64 s[0:1], 0, v1
	v_readfirstlane_b32 s8, v4
	s_and_b64 s[0:1], vcc, s[0:1]
	s_and_b32 s9, s8, 0x7fffffff
	s_cmp_lt_u32 s9, 0x43800000
	s_cselect_b64 s[52:53], -1, 0
	s_cmp_gt_u32 s9, 0x3bffffff
	v_cndmask_b32_e64 v1, 0, 1, s[0:1]
	s_cselect_b64 s[2:3], -1, 0
	s_bfe_u32 s0, s8, 0x10014
	s_add_i32 s10, s8, s0
	s_add_i32 s0, s10, 0x487ffff
	s_lshr_b32 s88, s0, 20
	s_mov_b32 s0, 0x46000000
	v_add_f32_e64 v14, |v4|, s0
	v_readfirstlane_b32 s0, v14
	s_and_b32 s0, s0, 0xff
	s_cmp_lg_u32 s0, 0
	s_cselect_b64 s[54:55], -1, 0
	s_cmp_gt_u32 s9, 0x477fffff
	s_cselect_b64 s[40:41], -1, 0
	s_cmp_lt_u32 s9, 0x47800000
	s_movk_i32 s0, 0x80
	s_cselect_b64 s[48:49], -1, 0
	s_cmp_gt_u32 s9, 0x37ffffff
	v_and_b32_sdwa v11, v4, s0 dst_sel:DWORD dst_unused:UNUSED_PAD src0_sel:BYTE_3 src1_sel:DWORD
	s_cselect_b64 s[0:1], -1, 0
	s_bfe_u32 s11, s8, 0x10015
	s_add_i32 s8, s8, s11
	s_add_i32 s11, s8, 0x88fffff
	s_lshr_b32 s86, s11, 21
	s_mov_b32 s11, 0x42800000
	v_add_f32_e64 v13, |v4|, s11
	v_readfirstlane_b32 s11, v13
	s_and_b32 s11, s11, 0xff
	s_cmp_lg_u32 s11, 0
	s_cselect_b64 s[50:51], -1, 0
	s_cmp_gt_u32 s9, 0x43efffff
	s_cselect_b64 s[44:45], -1, 0
	s_cmp_lt_u32 s9, 0x3c800000
	s_cselect_b64 s[46:47], -1, 0
	s_add_i32 s10, s10, 0x407ffff
	s_lshr_b32 s11, s10, 20
	s_and_b32 s10, s10, 0xff00000
	v_lshrrev_b32_e32 v0, 23, v4
	s_cmp_lg_u32 s10, 0x7f00000
	s_mov_b32 s10, 0x46800000
	v_add_u32_e32 v15, v0, v1
	v_add_f32_e64 v0, |v4|, s10
	s_cselect_b32 s82, s11, 0x7e
	v_readfirstlane_b32 s83, v0
	s_cmp_lt_u32 s9, 0x38800000
	v_cvt_f64_i32_e32 v[0:1], s19
	s_cselect_b64 s[42:43], -1, 0
	s_add_i32 s8, s8, 0x80fffff
	s_lshr_b32 s81, s8, 21
	s_cmp_gt_u32 s9, 0x7f800000
	s_movk_i32 s8, 0x7f
	s_cselect_b32 s87, s8, 0x7e
	s_mov_b32 s8, 0x43000000
	v_ldexp_f64 v[0:1], v[0:1], 32
	v_add_f32_e64 v2, |v4|, s8
	v_readfirstlane_b32 s84, v2
	v_bfe_u32 v2, v4, 16, 1
	v_add_u32_e32 v2, v4, v2
	v_add_u32_e32 v5, 0x7fff, v2
	v_cvt_f64_u32_e32 v[2:3], s18
	s_movk_i32 s8, 0x7c
	v_cvt_f16_f32_e32 v9, v4
	s_cselect_b32 s85, 0x7f, s8
	v_add_f64 v[0:1], v[0:1], v[2:3]
	s_cmp_lg_u64 s[18:19], 0
	s_cselect_b64 s[8:9], -1, 0
	v_lshrrev_b32_e32 v12, 16, v5
	s_mov_b64 s[72:73], 0
	v_cndmask_b32_e64 v10, 0, 1, s[8:9]
	v_cmp_gt_i32_e32 vcc, s90, v8
	s_mov_b64 s[10:11], -1
	s_mov_b64 s[66:67], 0
	s_and_saveexec_b64 s[68:69], vcc
	s_cbranch_execz .LBB31_114
; %bb.2:
	s_andn2_b64 vcc, exec, s[36:37]
	s_cbranch_vccnz .LBB31_7
; %bb.3:
	s_andn2_b64 vcc, exec, s[64:65]
	s_cbranch_vccnz .LBB31_8
; %bb.4:
	s_add_i32 s75, s91, 1
	s_cmp_eq_u32 s80, 2
	s_cbranch_scc1 .LBB31_9
; %bb.5:
	s_and_b32 s74, s75, 28
	s_mov_b32 s76, 0
	v_mov_b32_e32 v2, 0
	s_mov_b64 s[66:67], s[34:35]
	s_mov_b64 s[70:71], s[60:61]
	v_mov_b32_e32 v3, v8
.LBB31_6:                               ; =>This Inner Loop Header: Depth=1
	s_load_dwordx8 s[8:15], s[66:67], 0x4
	s_load_dwordx4 s[24:27], s[66:67], 0x24
	s_load_dwordx4 s[28:31], s[70:71], 0x0
	s_add_u32 s66, s66, 48
	s_addc_u32 s67, s67, 0
	s_waitcnt lgkmcnt(0)
	v_mul_hi_u32 v5, s9, v3
	s_add_i32 s76, s76, 4
	s_add_u32 s70, s70, 16
	s_addc_u32 s71, s71, 0
	v_add_u32_e32 v5, v3, v5
	v_lshrrev_b32_e32 v5, s10, v5
	v_mul_lo_u32 v6, v5, s8
	v_mul_hi_u32 v7, s12, v5
	s_cmp_lg_u32 s74, s76
	v_sub_u32_e32 v3, v3, v6
	v_add_u32_e32 v6, v5, v7
	v_lshrrev_b32_e32 v6, s13, v6
	v_mul_lo_u32 v7, v3, s28
	v_mul_hi_u32 v3, s15, v6
	v_mul_lo_u32 v17, v6, s11
	v_add_u32_e32 v3, v6, v3
	v_lshrrev_b32_e32 v16, s24, v3
	v_mul_hi_u32 v3, s26, v16
	v_sub_u32_e32 v5, v5, v17
	v_mul_lo_u32 v17, v16, s14
	v_mul_lo_u32 v5, v5, s29
	v_add_u32_e32 v3, v16, v3
	v_lshrrev_b32_e32 v3, s27, v3
	v_mul_lo_u32 v18, v3, s25
	v_sub_u32_e32 v6, v6, v17
	v_mul_lo_u32 v6, v6, s30
	v_add3_u32 v2, v7, v2, v5
	v_sub_u32_e32 v16, v16, v18
	v_mul_lo_u32 v16, v16, s31
	v_add3_u32 v2, v6, v2, v16
	s_cbranch_scc1 .LBB31_6
	s_branch .LBB31_10
.LBB31_7:
                                        ; implicit-def: $vgpr2
	s_branch .LBB31_14
.LBB31_8:
	v_mov_b32_e32 v2, 0
	s_branch .LBB31_13
.LBB31_9:
	v_mov_b32_e32 v2, 0
	s_mov_b32 s74, 0
	v_mov_b32_e32 v3, v8
.LBB31_10:
	s_and_b32 s12, s75, 3
	s_cmp_eq_u32 s12, 0
	s_cbranch_scc1 .LBB31_13
; %bb.11:
	s_lshl_b32 s8, s74, 2
	s_add_u32 s8, s34, s8
	s_addc_u32 s9, s35, 0
	s_add_u32 s8, s8, 0xc4
	s_addc_u32 s9, s9, 0
	s_mul_i32 s10, s74, 12
	s_add_u32 s10, s34, s10
	s_addc_u32 s11, s35, 0
.LBB31_12:                              ; =>This Inner Loop Header: Depth=1
	s_load_dwordx2 s[14:15], s[10:11], 0x4
	s_load_dword s13, s[10:11], 0xc
	s_add_u32 s10, s10, 12
	s_addc_u32 s11, s11, 0
	s_waitcnt lgkmcnt(0)
	v_mul_hi_u32 v5, s15, v3
	s_load_dword s15, s[8:9], 0x0
	s_add_u32 s8, s8, 4
	s_addc_u32 s9, s9, 0
	v_add_u32_e32 v5, v3, v5
	v_lshrrev_b32_e32 v5, s13, v5
	v_mul_lo_u32 v6, v5, s14
	s_add_i32 s12, s12, -1
	s_cmp_lg_u32 s12, 0
	v_sub_u32_e32 v3, v3, v6
	s_waitcnt lgkmcnt(0)
	v_mad_u64_u32 v[2:3], s[14:15], v3, s15, v[2:3]
	v_mov_b32_e32 v3, v5
	s_cbranch_scc1 .LBB31_12
.LBB31_13:
	s_cbranch_execnz .LBB31_16
.LBB31_14:
	s_waitcnt lgkmcnt(0)
	v_mul_hi_u32 v2, s21, v8
	s_andn2_b64 vcc, exec, s[56:57]
	v_add_u32_e32 v2, v8, v2
	v_lshrrev_b32_e32 v3, s22, v2
	v_mul_lo_u32 v2, v3, s20
	v_sub_u32_e32 v2, v8, v2
	v_mul_lo_u32 v2, v2, s58
	s_cbranch_vccnz .LBB31_16
; %bb.15:
	v_mul_hi_u32 v5, s62, v3
	v_add_u32_e32 v5, v3, v5
	v_lshrrev_b32_e32 v5, s63, v5
	v_mul_lo_u32 v5, v5, s23
	v_sub_u32_e32 v3, v3, v5
	v_mad_u64_u32 v[2:3], s[8:9], v3, s59, v[2:3]
.LBB31_16:
	v_mov_b32_e32 v3, s17
	s_waitcnt lgkmcnt(0)
	s_and_b32 s14, s89, 0xff
	v_add_co_u32_e32 v6, vcc, s16, v2
	s_cmp_lt_i32 s14, 11
	v_addc_co_u32_e32 v7, vcc, 0, v3, vcc
	s_cbranch_scc1 .LBB31_23
; %bb.17:
	s_and_b32 s15, 0xffff, s14
	s_cmp_gt_i32 s15, 25
	s_cbranch_scc0 .LBB31_26
; %bb.18:
	s_cmp_gt_i32 s15, 28
	s_cbranch_scc0 .LBB31_27
; %bb.19:
	;; [unrolled: 3-line block ×4, first 2 shown]
	s_mov_b64 s[12:13], 0
	s_mov_b64 s[8:9], -1
	s_cmp_eq_u32 s15, 46
	s_mov_b64 s[10:11], 0
	s_cbranch_scc0 .LBB31_30
; %bb.22:
	global_store_dword v[6:7], v12, off
	s_mov_b64 s[10:11], -1
	s_mov_b64 s[8:9], 0
	s_branch .LBB31_30
.LBB31_23:
	s_mov_b64 s[8:9], 0
	s_mov_b64 s[10:11], 0
	s_cbranch_execnz .LBB31_74
.LBB31_24:
	s_andn2_b64 vcc, exec, s[10:11]
	s_cbranch_vccnz .LBB31_112
.LBB31_25:
	v_add_u32_e32 v8, 0x80, v8
	s_mov_b64 s[10:11], -1
	s_branch .LBB31_113
.LBB31_26:
	s_mov_b64 s[8:9], 0
	s_mov_b64 s[10:11], 0
	s_cbranch_execnz .LBB31_52
	s_branch .LBB31_73
.LBB31_27:
	s_mov_b64 s[12:13], -1
	s_mov_b64 s[8:9], 0
	s_mov_b64 s[10:11], 0
	s_branch .LBB31_38
.LBB31_28:
	s_mov_b64 s[12:13], -1
	s_mov_b64 s[8:9], 0
	s_mov_b64 s[10:11], 0
	s_branch .LBB31_34
.LBB31_29:
	s_mov_b64 s[12:13], -1
	s_mov_b64 s[8:9], 0
	s_mov_b64 s[10:11], 0
.LBB31_30:
	s_and_b64 vcc, exec, s[12:13]
	s_cbranch_vccz .LBB31_33
; %bb.31:
	s_cmp_eq_u32 s15, 44
	s_mov_b64 s[8:9], -1
	s_cbranch_scc0 .LBB31_33
; %bb.32:
	v_mov_b32_e32 v2, 0xffff
	v_cndmask_b32_e64 v2, v15, v2, s[4:5]
	global_store_byte v[6:7], v2, off
	s_mov_b64 s[10:11], -1
	s_mov_b64 s[8:9], 0
.LBB31_33:
	s_mov_b64 s[12:13], 0
.LBB31_34:
	s_and_b64 vcc, exec, s[12:13]
	s_cbranch_vccz .LBB31_37
; %bb.35:
	s_cmp_eq_u32 s15, 29
	s_mov_b64 s[8:9], -1
	s_cbranch_scc0 .LBB31_37
; %bb.36:
	v_mov_b32_e32 v2, s18
	v_mov_b32_e32 v3, s19
	global_store_dwordx2 v[6:7], v[2:3], off
	s_mov_b64 s[10:11], -1
	s_mov_b64 s[8:9], 0
.LBB31_37:
	s_mov_b64 s[12:13], 0
.LBB31_38:
	s_and_b64 vcc, exec, s[12:13]
	s_cbranch_vccz .LBB31_51
; %bb.39:
	s_cmp_lt_i32 s15, 27
	s_mov_b64 s[10:11], -1
	s_cbranch_scc1 .LBB31_45
; %bb.40:
	s_cmp_gt_i32 s15, 27
	s_cbranch_scc0 .LBB31_42
; %bb.41:
	v_mov_b32_e32 v2, s18
	s_mov_b64 s[10:11], 0
	global_store_dword v[6:7], v2, off
.LBB31_42:
	s_andn2_b64 vcc, exec, s[10:11]
	s_cbranch_vccnz .LBB31_44
; %bb.43:
	v_mov_b32_e32 v2, s18
	global_store_short v[6:7], v2, off
.LBB31_44:
	s_mov_b64 s[10:11], 0
.LBB31_45:
	s_andn2_b64 vcc, exec, s[10:11]
	s_cbranch_vccnz .LBB31_50
; %bb.46:
	s_andn2_b64 vcc, exec, s[52:53]
	v_mov_b32_e32 v2, 0x80
	s_cbranch_vccnz .LBB31_49
; %bb.47:
	s_or_b64 s[10:11], s[2:3], s[54:55]
	s_andn2_b64 vcc, exec, s[10:11]
	v_mov_b32_e32 v2, 0
	s_cbranch_vccnz .LBB31_49
; %bb.48:
	v_mov_b32_e32 v2, s88
	v_cndmask_b32_e64 v2, v14, v2, s[2:3]
	v_or_b32_e32 v2, v2, v11
.LBB31_49:
	global_store_byte v[6:7], v2, off
.LBB31_50:
	s_mov_b64 s[10:11], -1
.LBB31_51:
	s_branch .LBB31_73
.LBB31_52:
	s_cmp_gt_i32 s15, 22
	s_mov_b64 s[12:13], -1
	s_cbranch_scc0 .LBB31_65
; %bb.53:
	s_cmp_lt_i32 s15, 24
	s_mov_b64 s[10:11], -1
	s_cbranch_scc1 .LBB31_62
; %bb.54:
	s_cmp_gt_i32 s15, 24
	s_cbranch_scc0 .LBB31_59
; %bb.55:
	s_andn2_b64 vcc, exec, s[48:49]
	v_mov_b32_e32 v2, 0x80
	s_cbranch_vccnz .LBB31_58
; %bb.56:
	s_or_b64 s[10:11], s[0:1], s[50:51]
	s_andn2_b64 vcc, exec, s[10:11]
	v_mov_b32_e32 v2, 0
	s_cbranch_vccnz .LBB31_58
; %bb.57:
	v_mov_b32_e32 v2, s86
	v_cndmask_b32_e64 v2, v13, v2, s[0:1]
	v_or_b32_e32 v2, v2, v11
.LBB31_58:
	s_mov_b64 s[10:11], 0
	global_store_byte v[6:7], v2, off
.LBB31_59:
	s_and_b64 vcc, exec, s[10:11]
	s_cbranch_vccz .LBB31_61
; %bb.60:
	s_and_b64 s[10:11], s[46:47], exec
	s_cselect_b32 s12, s83, s82
	s_and_b64 s[10:11], s[44:45], exec
	s_cselect_b32 s10, s87, s12
	v_or_b32_e32 v2, s10, v11
	global_store_byte v[6:7], v2, off
.LBB31_61:
	s_mov_b64 s[10:11], 0
.LBB31_62:
	s_andn2_b64 vcc, exec, s[10:11]
	s_cbranch_vccnz .LBB31_64
; %bb.63:
	s_and_b64 s[10:11], s[42:43], exec
	s_cselect_b32 s12, s84, s81
	s_and_b64 s[10:11], s[40:41], exec
	s_cselect_b32 s10, s85, s12
	v_or_b32_e32 v2, s10, v11
	global_store_byte v[6:7], v2, off
.LBB31_64:
	s_mov_b64 s[12:13], 0
	s_mov_b64 s[10:11], -1
.LBB31_65:
	s_andn2_b64 vcc, exec, s[12:13]
	s_cbranch_vccnz .LBB31_73
; %bb.66:
	s_cmp_gt_i32 s15, 14
	s_mov_b64 s[12:13], -1
	s_cbranch_scc0 .LBB31_70
; %bb.67:
	s_cmp_eq_u32 s15, 15
	s_mov_b64 s[8:9], -1
	s_cbranch_scc0 .LBB31_69
; %bb.68:
	global_store_short v[6:7], v12, off
	s_mov_b64 s[10:11], -1
	s_mov_b64 s[8:9], 0
.LBB31_69:
	s_mov_b64 s[12:13], 0
.LBB31_70:
	s_and_b64 vcc, exec, s[12:13]
	s_cbranch_vccz .LBB31_73
; %bb.71:
	s_cmp_eq_u32 s15, 11
	s_mov_b64 s[8:9], -1
	s_cbranch_scc0 .LBB31_73
; %bb.72:
	s_mov_b64 s[10:11], -1
	s_mov_b64 s[8:9], 0
	global_store_byte v[6:7], v10, off
.LBB31_73:
	s_branch .LBB31_24
.LBB31_74:
	s_and_b32 s12, 0xffff, s14
	s_cmp_lt_i32 s12, 5
	s_mov_b64 s[10:11], -1
	s_cbranch_scc1 .LBB31_95
; %bb.75:
	s_cmp_lt_i32 s12, 8
	s_cbranch_scc1 .LBB31_85
; %bb.76:
	s_cmp_lt_i32 s12, 9
	s_cbranch_scc1 .LBB31_82
; %bb.77:
	s_cmp_gt_i32 s12, 9
	s_cbranch_scc0 .LBB31_79
; %bb.78:
	v_mov_b32_e32 v2, 0
	v_mov_b32_e32 v3, v2
	global_store_dwordx4 v[6:7], v[0:3], off
	s_mov_b64 s[10:11], 0
.LBB31_79:
	s_andn2_b64 vcc, exec, s[10:11]
	s_cbranch_vccnz .LBB31_81
; %bb.80:
	v_mov_b32_e32 v5, 0
	global_store_dwordx2 v[6:7], v[4:5], off
.LBB31_81:
	s_mov_b64 s[10:11], 0
.LBB31_82:
	s_andn2_b64 vcc, exec, s[10:11]
	s_cbranch_vccnz .LBB31_84
; %bb.83:
	global_store_dword v[6:7], v9, off
.LBB31_84:
	s_mov_b64 s[10:11], 0
.LBB31_85:
	s_andn2_b64 vcc, exec, s[10:11]
	s_cbranch_vccnz .LBB31_94
; %bb.86:
	s_cmp_lt_i32 s12, 6
	s_mov_b64 s[10:11], -1
	s_cbranch_scc1 .LBB31_92
; %bb.87:
	s_cmp_gt_i32 s12, 6
	s_cbranch_scc0 .LBB31_89
; %bb.88:
	global_store_dwordx2 v[6:7], v[0:1], off
	s_mov_b64 s[10:11], 0
.LBB31_89:
	s_andn2_b64 vcc, exec, s[10:11]
	s_cbranch_vccnz .LBB31_91
; %bb.90:
	global_store_dword v[6:7], v4, off
.LBB31_91:
	s_mov_b64 s[10:11], 0
.LBB31_92:
	s_andn2_b64 vcc, exec, s[10:11]
	s_cbranch_vccnz .LBB31_94
; %bb.93:
	global_store_short v[6:7], v9, off
.LBB31_94:
	s_mov_b64 s[10:11], 0
.LBB31_95:
	s_andn2_b64 vcc, exec, s[10:11]
	s_cbranch_vccnz .LBB31_111
; %bb.96:
	s_cmp_lt_i32 s12, 2
	s_mov_b64 s[10:11], -1
	s_cbranch_scc1 .LBB31_106
; %bb.97:
	s_cmp_lt_i32 s12, 3
	s_cbranch_scc1 .LBB31_103
; %bb.98:
	s_cmp_gt_i32 s12, 3
	s_cbranch_scc0 .LBB31_100
; %bb.99:
	v_mov_b32_e32 v2, s18
	v_mov_b32_e32 v3, s19
	global_store_dwordx2 v[6:7], v[2:3], off
	s_mov_b64 s[10:11], 0
.LBB31_100:
	s_andn2_b64 vcc, exec, s[10:11]
	s_cbranch_vccnz .LBB31_102
; %bb.101:
	v_mov_b32_e32 v2, s18
	global_store_dword v[6:7], v2, off
.LBB31_102:
	s_mov_b64 s[10:11], 0
.LBB31_103:
	s_andn2_b64 vcc, exec, s[10:11]
	s_cbranch_vccnz .LBB31_105
; %bb.104:
	v_mov_b32_e32 v2, s18
	global_store_short v[6:7], v2, off
.LBB31_105:
	s_mov_b64 s[10:11], 0
.LBB31_106:
	s_andn2_b64 vcc, exec, s[10:11]
	s_cbranch_vccnz .LBB31_111
; %bb.107:
	s_cmp_gt_i32 s12, 0
	s_mov_b64 s[10:11], -1
	s_cbranch_scc0 .LBB31_109
; %bb.108:
	v_mov_b32_e32 v2, s18
	global_store_byte v[6:7], v2, off
	s_mov_b64 s[10:11], 0
.LBB31_109:
	s_andn2_b64 vcc, exec, s[10:11]
	s_cbranch_vccnz .LBB31_111
; %bb.110:
	v_mov_b32_e32 v2, s18
	global_store_byte v[6:7], v2, off
.LBB31_111:
	s_branch .LBB31_25
.LBB31_112:
	s_mov_b64 s[10:11], 0
                                        ; implicit-def: $vgpr8
.LBB31_113:
	s_and_b64 s[66:67], s[8:9], exec
	s_orn2_b64 s[10:11], s[10:11], exec
.LBB31_114:
	s_or_b64 exec, exec, s[68:69]
	s_mov_b64 s[8:9], 0
                                        ; implicit-def: $sgpr24
                                        ; implicit-def: $vgpr6_vgpr7
	s_and_saveexec_b64 s[68:69], s[10:11]
	s_cbranch_execz .LBB31_121
; %bb.115:
	v_cmp_gt_i32_e32 vcc, s90, v8
	s_mov_b64 s[8:9], -1
	s_mov_b64 s[70:71], s[66:67]
	s_and_saveexec_b64 s[72:73], vcc
	s_cbranch_execz .LBB31_232
; %bb.116:
	s_andn2_b64 vcc, exec, s[36:37]
	s_cbranch_vccnz .LBB31_124
; %bb.117:
	s_andn2_b64 vcc, exec, s[64:65]
	s_cbranch_vccnz .LBB31_125
; %bb.118:
	s_add_i32 s77, s91, 1
	s_cmp_eq_u32 s80, 2
	s_cbranch_scc1 .LBB31_126
; %bb.119:
	s_and_b32 s76, s77, 28
	s_mov_b32 s78, 0
	v_mov_b32_e32 v2, 0
	s_mov_b64 s[70:71], s[34:35]
	s_mov_b64 s[74:75], s[60:61]
	v_mov_b32_e32 v3, v8
.LBB31_120:                             ; =>This Inner Loop Header: Depth=1
	s_load_dwordx8 s[8:15], s[70:71], 0x4
	s_load_dwordx4 s[24:27], s[70:71], 0x24
	s_load_dwordx4 s[28:31], s[74:75], 0x0
	s_add_u32 s70, s70, 48
	s_addc_u32 s71, s71, 0
	s_waitcnt lgkmcnt(0)
	v_mul_hi_u32 v5, s9, v3
	s_add_i32 s78, s78, 4
	s_add_u32 s74, s74, 16
	s_addc_u32 s75, s75, 0
	v_add_u32_e32 v5, v3, v5
	v_lshrrev_b32_e32 v5, s10, v5
	v_mul_lo_u32 v6, v5, s8
	v_mul_hi_u32 v7, s12, v5
	s_cmp_eq_u32 s76, s78
	v_sub_u32_e32 v3, v3, v6
	v_add_u32_e32 v6, v5, v7
	v_lshrrev_b32_e32 v6, s13, v6
	v_mul_lo_u32 v7, v3, s28
	v_mul_hi_u32 v3, s15, v6
	v_mul_lo_u32 v17, v6, s11
	v_add_u32_e32 v3, v6, v3
	v_lshrrev_b32_e32 v16, s24, v3
	v_mul_hi_u32 v3, s26, v16
	v_sub_u32_e32 v5, v5, v17
	v_mul_lo_u32 v17, v16, s14
	v_mul_lo_u32 v5, v5, s29
	v_add_u32_e32 v3, v16, v3
	v_lshrrev_b32_e32 v3, s27, v3
	v_mul_lo_u32 v18, v3, s25
	v_sub_u32_e32 v6, v6, v17
	v_mul_lo_u32 v6, v6, s30
	v_add3_u32 v2, v7, v2, v5
	v_sub_u32_e32 v16, v16, v18
	v_mul_lo_u32 v16, v16, s31
	v_add3_u32 v2, v6, v2, v16
	s_cbranch_scc0 .LBB31_120
	s_branch .LBB31_127
.LBB31_121:
	s_or_b64 exec, exec, s[68:69]
	s_mov_b64 s[0:1], 0
	s_and_saveexec_b64 s[2:3], s[66:67]
	s_cbranch_execnz .LBB31_422
.LBB31_122:
	s_or_b64 exec, exec, s[2:3]
	s_and_saveexec_b64 s[2:3], s[72:73]
	s_xor_b64 s[2:3], exec, s[2:3]
	s_cbranch_execz .LBB31_423
.LBB31_123:
	global_store_byte v[6:7], v10, off
	s_or_b64 exec, exec, s[2:3]
	s_and_saveexec_b64 s[2:3], s[8:9]
	s_xor_b64 s[2:3], exec, s[2:3]
	s_cbranch_execz .LBB31_461
	s_branch .LBB31_424
.LBB31_124:
                                        ; implicit-def: $vgpr2
	s_andn2_b64 vcc, exec, s[8:9]
	s_cbranch_vccz .LBB31_131
	s_branch .LBB31_133
.LBB31_125:
	v_mov_b32_e32 v2, 0
	s_branch .LBB31_130
.LBB31_126:
	v_mov_b32_e32 v2, 0
	s_mov_b32 s76, 0
	v_mov_b32_e32 v3, v8
.LBB31_127:
	s_and_b32 s12, s77, 3
	s_cmp_eq_u32 s12, 0
	s_cbranch_scc1 .LBB31_130
; %bb.128:
	s_lshl_b32 s8, s76, 2
	s_add_u32 s8, s34, s8
	s_addc_u32 s9, s35, 0
	s_add_u32 s8, s8, 0xc4
	s_addc_u32 s9, s9, 0
	s_mul_i32 s10, s76, 12
	s_add_u32 s10, s34, s10
	s_addc_u32 s11, s35, 0
.LBB31_129:                             ; =>This Inner Loop Header: Depth=1
	s_load_dwordx2 s[14:15], s[10:11], 0x4
	s_load_dword s13, s[10:11], 0xc
	s_add_u32 s10, s10, 12
	s_addc_u32 s11, s11, 0
	s_waitcnt lgkmcnt(0)
	v_mul_hi_u32 v5, s15, v3
	s_load_dword s15, s[8:9], 0x0
	s_add_u32 s8, s8, 4
	s_addc_u32 s9, s9, 0
	v_add_u32_e32 v5, v3, v5
	v_lshrrev_b32_e32 v5, s13, v5
	v_mul_lo_u32 v6, v5, s14
	s_add_i32 s12, s12, -1
	s_cmp_lg_u32 s12, 0
	v_sub_u32_e32 v3, v3, v6
	s_waitcnt lgkmcnt(0)
	v_mad_u64_u32 v[2:3], s[14:15], v3, s15, v[2:3]
	v_mov_b32_e32 v3, v5
	s_cbranch_scc1 .LBB31_129
.LBB31_130:
	s_cbranch_execnz .LBB31_133
.LBB31_131:
	s_waitcnt lgkmcnt(0)
	v_mul_hi_u32 v2, s21, v8
	s_andn2_b64 vcc, exec, s[56:57]
	v_add_u32_e32 v2, v8, v2
	v_lshrrev_b32_e32 v3, s22, v2
	v_mul_lo_u32 v2, v3, s20
	v_sub_u32_e32 v2, v8, v2
	v_mul_lo_u32 v2, v2, s58
	s_cbranch_vccnz .LBB31_133
; %bb.132:
	v_mul_hi_u32 v5, s62, v3
	v_add_u32_e32 v5, v3, v5
	v_lshrrev_b32_e32 v5, s63, v5
	v_mul_lo_u32 v5, v5, s23
	v_sub_u32_e32 v3, v3, v5
	v_mad_u64_u32 v[2:3], s[8:9], v3, s59, v[2:3]
.LBB31_133:
	v_mov_b32_e32 v3, s17
	s_waitcnt lgkmcnt(0)
	s_and_b32 s14, s89, 0xff
	v_add_co_u32_e32 v6, vcc, s16, v2
	s_cmp_lt_i32 s14, 11
	v_addc_co_u32_e32 v7, vcc, 0, v3, vcc
	s_cbranch_scc1 .LBB31_140
; %bb.134:
	s_and_b32 s15, 0xffff, s14
	s_cmp_gt_i32 s15, 25
	s_cbranch_scc0 .LBB31_143
; %bb.135:
	s_cmp_gt_i32 s15, 28
	s_cbranch_scc0 .LBB31_144
; %bb.136:
	s_cmp_gt_i32 s15, 43
	s_cbranch_scc0 .LBB31_145
; %bb.137:
	s_cmp_gt_i32 s15, 45
	s_cbranch_scc0 .LBB31_146
; %bb.138:
	s_mov_b64 s[12:13], 0
	s_mov_b64 s[8:9], -1
	s_cmp_eq_u32 s15, 46
	s_mov_b64 s[10:11], 0
	s_cbranch_scc0 .LBB31_147
; %bb.139:
	global_store_dword v[6:7], v12, off
	s_mov_b64 s[10:11], -1
	s_mov_b64 s[8:9], 0
	s_branch .LBB31_147
.LBB31_140:
	s_mov_b64 s[10:11], 0
	s_mov_b64 s[8:9], s[66:67]
	s_cbranch_execnz .LBB31_192
.LBB31_141:
	s_andn2_b64 vcc, exec, s[10:11]
	s_cbranch_vccnz .LBB31_230
.LBB31_142:
	v_add_u32_e32 v8, 0x80, v8
	s_mov_b64 s[10:11], -1
	s_branch .LBB31_231
.LBB31_143:
	s_mov_b64 s[12:13], -1
	s_mov_b64 s[10:11], 0
	s_mov_b64 s[8:9], s[66:67]
	s_branch .LBB31_169
.LBB31_144:
	s_mov_b64 s[12:13], -1
	s_mov_b64 s[10:11], 0
	s_mov_b64 s[8:9], s[66:67]
	s_branch .LBB31_155
.LBB31_145:
	s_mov_b64 s[12:13], -1
	s_mov_b64 s[10:11], 0
	s_mov_b64 s[8:9], s[66:67]
	s_branch .LBB31_151
.LBB31_146:
	s_mov_b64 s[12:13], -1
	s_mov_b64 s[10:11], 0
	s_mov_b64 s[8:9], s[66:67]
.LBB31_147:
	s_and_b64 vcc, exec, s[12:13]
	s_cbranch_vccz .LBB31_150
; %bb.148:
	s_cmp_eq_u32 s15, 44
	s_mov_b64 s[8:9], -1
	s_cbranch_scc0 .LBB31_150
; %bb.149:
	v_mov_b32_e32 v2, 0xffff
	v_cndmask_b32_e64 v2, v15, v2, s[4:5]
	s_mov_b64 s[10:11], -1
	s_mov_b64 s[8:9], 0
	global_store_byte v[6:7], v2, off
.LBB31_150:
	s_mov_b64 s[12:13], 0
.LBB31_151:
	s_and_b64 vcc, exec, s[12:13]
	s_cbranch_vccz .LBB31_154
; %bb.152:
	s_cmp_eq_u32 s15, 29
	s_mov_b64 s[8:9], -1
	s_cbranch_scc0 .LBB31_154
; %bb.153:
	v_mov_b32_e32 v2, s18
	v_mov_b32_e32 v3, s19
	global_store_dwordx2 v[6:7], v[2:3], off
	s_mov_b64 s[10:11], -1
	s_mov_b64 s[8:9], 0
.LBB31_154:
	s_mov_b64 s[12:13], 0
.LBB31_155:
	s_and_b64 vcc, exec, s[12:13]
	s_cbranch_vccz .LBB31_168
; %bb.156:
	s_cmp_lt_i32 s15, 27
	s_mov_b64 s[10:11], -1
	s_cbranch_scc1 .LBB31_162
; %bb.157:
	s_cmp_gt_i32 s15, 27
	s_cbranch_scc0 .LBB31_159
; %bb.158:
	v_mov_b32_e32 v2, s18
	s_mov_b64 s[10:11], 0
	global_store_dword v[6:7], v2, off
.LBB31_159:
	s_andn2_b64 vcc, exec, s[10:11]
	s_cbranch_vccnz .LBB31_161
; %bb.160:
	v_mov_b32_e32 v2, s18
	global_store_short v[6:7], v2, off
.LBB31_161:
	s_mov_b64 s[10:11], 0
.LBB31_162:
	s_andn2_b64 vcc, exec, s[10:11]
	s_cbranch_vccnz .LBB31_167
; %bb.163:
	s_andn2_b64 vcc, exec, s[52:53]
	v_mov_b32_e32 v2, 0x80
	s_cbranch_vccnz .LBB31_166
; %bb.164:
	s_or_b64 s[10:11], s[2:3], s[54:55]
	s_andn2_b64 vcc, exec, s[10:11]
	v_mov_b32_e32 v2, 0
	s_cbranch_vccnz .LBB31_166
; %bb.165:
	v_mov_b32_e32 v2, s88
	v_cndmask_b32_e64 v2, v14, v2, s[2:3]
	v_or_b32_e32 v2, v2, v11
.LBB31_166:
	global_store_byte v[6:7], v2, off
.LBB31_167:
	s_mov_b64 s[10:11], -1
.LBB31_168:
	s_mov_b64 s[12:13], 0
.LBB31_169:
	s_and_b64 vcc, exec, s[12:13]
	s_cbranch_vccz .LBB31_191
; %bb.170:
	s_cmp_gt_i32 s15, 22
	s_mov_b64 s[12:13], -1
	s_cbranch_scc0 .LBB31_183
; %bb.171:
	s_cmp_lt_i32 s15, 24
	s_mov_b64 s[10:11], -1
	s_cbranch_scc1 .LBB31_180
; %bb.172:
	s_cmp_gt_i32 s15, 24
	s_cbranch_scc0 .LBB31_177
; %bb.173:
	s_andn2_b64 vcc, exec, s[48:49]
	v_mov_b32_e32 v2, 0x80
	s_cbranch_vccnz .LBB31_176
; %bb.174:
	s_or_b64 s[10:11], s[0:1], s[50:51]
	s_andn2_b64 vcc, exec, s[10:11]
	v_mov_b32_e32 v2, 0
	s_cbranch_vccnz .LBB31_176
; %bb.175:
	v_mov_b32_e32 v2, s86
	v_cndmask_b32_e64 v2, v13, v2, s[0:1]
	v_or_b32_e32 v2, v2, v11
.LBB31_176:
	s_mov_b64 s[10:11], 0
	global_store_byte v[6:7], v2, off
.LBB31_177:
	s_and_b64 vcc, exec, s[10:11]
	s_cbranch_vccz .LBB31_179
; %bb.178:
	s_and_b64 s[10:11], s[46:47], exec
	s_cselect_b32 s12, s83, s82
	s_and_b64 s[10:11], s[44:45], exec
	s_cselect_b32 s10, s87, s12
	v_or_b32_e32 v2, s10, v11
	global_store_byte v[6:7], v2, off
.LBB31_179:
	s_mov_b64 s[10:11], 0
.LBB31_180:
	s_andn2_b64 vcc, exec, s[10:11]
	s_cbranch_vccnz .LBB31_182
; %bb.181:
	s_and_b64 s[10:11], s[42:43], exec
	s_cselect_b32 s12, s84, s81
	s_and_b64 s[10:11], s[40:41], exec
	s_cselect_b32 s10, s85, s12
	v_or_b32_e32 v2, s10, v11
	global_store_byte v[6:7], v2, off
.LBB31_182:
	s_mov_b64 s[12:13], 0
	s_mov_b64 s[10:11], -1
.LBB31_183:
	s_andn2_b64 vcc, exec, s[12:13]
	s_cbranch_vccnz .LBB31_191
; %bb.184:
	s_cmp_gt_i32 s15, 14
	s_mov_b64 s[12:13], -1
	s_cbranch_scc0 .LBB31_188
; %bb.185:
	s_cmp_eq_u32 s15, 15
	s_mov_b64 s[8:9], -1
	s_cbranch_scc0 .LBB31_187
; %bb.186:
	global_store_short v[6:7], v12, off
	s_mov_b64 s[10:11], -1
	s_mov_b64 s[8:9], 0
.LBB31_187:
	s_mov_b64 s[12:13], 0
.LBB31_188:
	s_and_b64 vcc, exec, s[12:13]
	s_cbranch_vccz .LBB31_191
; %bb.189:
	s_cmp_eq_u32 s15, 11
	s_mov_b64 s[8:9], -1
	s_cbranch_scc0 .LBB31_191
; %bb.190:
	s_mov_b64 s[10:11], -1
	s_mov_b64 s[8:9], 0
	global_store_byte v[6:7], v10, off
.LBB31_191:
	s_branch .LBB31_141
.LBB31_192:
	s_and_b32 s12, 0xffff, s14
	s_cmp_lt_i32 s12, 5
	s_mov_b64 s[10:11], -1
	s_cbranch_scc1 .LBB31_213
; %bb.193:
	s_cmp_lt_i32 s12, 8
	s_cbranch_scc1 .LBB31_203
; %bb.194:
	s_cmp_lt_i32 s12, 9
	s_cbranch_scc1 .LBB31_200
; %bb.195:
	s_cmp_gt_i32 s12, 9
	s_cbranch_scc0 .LBB31_197
; %bb.196:
	v_mov_b32_e32 v2, 0
	v_mov_b32_e32 v3, v2
	s_mov_b64 s[10:11], 0
	global_store_dwordx4 v[6:7], v[0:3], off
.LBB31_197:
	s_andn2_b64 vcc, exec, s[10:11]
	s_cbranch_vccnz .LBB31_199
; %bb.198:
	v_mov_b32_e32 v5, 0
	global_store_dwordx2 v[6:7], v[4:5], off
.LBB31_199:
	s_mov_b64 s[10:11], 0
.LBB31_200:
	s_andn2_b64 vcc, exec, s[10:11]
	s_cbranch_vccnz .LBB31_202
; %bb.201:
	global_store_dword v[6:7], v9, off
.LBB31_202:
	s_mov_b64 s[10:11], 0
.LBB31_203:
	s_andn2_b64 vcc, exec, s[10:11]
	s_cbranch_vccnz .LBB31_212
; %bb.204:
	s_cmp_lt_i32 s12, 6
	s_mov_b64 s[10:11], -1
	s_cbranch_scc1 .LBB31_210
; %bb.205:
	s_cmp_gt_i32 s12, 6
	s_cbranch_scc0 .LBB31_207
; %bb.206:
	s_mov_b64 s[10:11], 0
	global_store_dwordx2 v[6:7], v[0:1], off
.LBB31_207:
	s_andn2_b64 vcc, exec, s[10:11]
	s_cbranch_vccnz .LBB31_209
; %bb.208:
	global_store_dword v[6:7], v4, off
.LBB31_209:
	s_mov_b64 s[10:11], 0
.LBB31_210:
	s_andn2_b64 vcc, exec, s[10:11]
	s_cbranch_vccnz .LBB31_212
; %bb.211:
	global_store_short v[6:7], v9, off
.LBB31_212:
	s_mov_b64 s[10:11], 0
.LBB31_213:
	s_andn2_b64 vcc, exec, s[10:11]
	s_cbranch_vccnz .LBB31_229
; %bb.214:
	s_cmp_lt_i32 s12, 2
	s_mov_b64 s[10:11], -1
	s_cbranch_scc1 .LBB31_224
; %bb.215:
	s_cmp_lt_i32 s12, 3
	s_cbranch_scc1 .LBB31_221
; %bb.216:
	s_cmp_gt_i32 s12, 3
	s_cbranch_scc0 .LBB31_218
; %bb.217:
	v_mov_b32_e32 v2, s18
	v_mov_b32_e32 v3, s19
	s_mov_b64 s[10:11], 0
	global_store_dwordx2 v[6:7], v[2:3], off
.LBB31_218:
	s_andn2_b64 vcc, exec, s[10:11]
	s_cbranch_vccnz .LBB31_220
; %bb.219:
	v_mov_b32_e32 v2, s18
	global_store_dword v[6:7], v2, off
.LBB31_220:
	s_mov_b64 s[10:11], 0
.LBB31_221:
	s_andn2_b64 vcc, exec, s[10:11]
	s_cbranch_vccnz .LBB31_223
; %bb.222:
	v_mov_b32_e32 v2, s18
	global_store_short v[6:7], v2, off
.LBB31_223:
	s_mov_b64 s[10:11], 0
.LBB31_224:
	s_andn2_b64 vcc, exec, s[10:11]
	s_cbranch_vccnz .LBB31_229
; %bb.225:
	s_cmp_gt_i32 s12, 0
	s_mov_b64 s[10:11], -1
	s_cbranch_scc0 .LBB31_227
; %bb.226:
	v_mov_b32_e32 v2, s18
	s_mov_b64 s[10:11], 0
	global_store_byte v[6:7], v2, off
.LBB31_227:
	s_andn2_b64 vcc, exec, s[10:11]
	s_cbranch_vccnz .LBB31_229
; %bb.228:
	v_mov_b32_e32 v2, s18
	global_store_byte v[6:7], v2, off
.LBB31_229:
	s_branch .LBB31_142
.LBB31_230:
	s_mov_b64 s[10:11], 0
                                        ; implicit-def: $vgpr8
.LBB31_231:
	s_andn2_b64 s[12:13], s[66:67], exec
	s_and_b64 s[8:9], s[8:9], exec
	s_or_b64 s[70:71], s[12:13], s[8:9]
	s_orn2_b64 s[8:9], s[10:11], exec
.LBB31_232:
	s_or_b64 exec, exec, s[72:73]
	s_mov_b64 s[10:11], 0
	s_mov_b64 s[12:13], 0
                                        ; implicit-def: $sgpr24
                                        ; implicit-def: $vgpr6_vgpr7
	s_and_saveexec_b64 s[72:73], s[8:9]
	s_cbranch_execz .LBB31_421
; %bb.233:
	v_cmp_gt_i32_e32 vcc, s90, v8
	s_mov_b64 s[10:11], -1
	s_mov_b64 s[76:77], s[70:71]
	s_and_saveexec_b64 s[74:75], vcc
	s_cbranch_execz .LBB31_349
; %bb.234:
	s_andn2_b64 vcc, exec, s[36:37]
	s_cbranch_vccnz .LBB31_239
; %bb.235:
	s_andn2_b64 vcc, exec, s[64:65]
	s_cbranch_vccnz .LBB31_240
; %bb.236:
	s_add_i32 s93, s91, 1
	s_cmp_eq_u32 s80, 2
	s_cbranch_scc1 .LBB31_241
; %bb.237:
	s_and_b32 s92, s93, 28
	s_mov_b32 s94, 0
	v_mov_b32_e32 v2, 0
	s_mov_b64 s[76:77], s[34:35]
	s_mov_b64 s[78:79], s[60:61]
	v_mov_b32_e32 v3, v8
.LBB31_238:                             ; =>This Inner Loop Header: Depth=1
	s_load_dwordx8 s[8:15], s[76:77], 0x4
	s_load_dwordx4 s[24:27], s[76:77], 0x24
	s_load_dwordx4 s[28:31], s[78:79], 0x0
	s_add_u32 s76, s76, 48
	s_addc_u32 s77, s77, 0
	s_waitcnt lgkmcnt(0)
	v_mul_hi_u32 v5, s9, v3
	s_add_i32 s94, s94, 4
	s_add_u32 s78, s78, 16
	s_addc_u32 s79, s79, 0
	v_add_u32_e32 v5, v3, v5
	v_lshrrev_b32_e32 v5, s10, v5
	v_mul_lo_u32 v6, v5, s8
	v_mul_hi_u32 v7, s12, v5
	s_cmp_eq_u32 s92, s94
	v_sub_u32_e32 v3, v3, v6
	v_add_u32_e32 v6, v5, v7
	v_lshrrev_b32_e32 v6, s13, v6
	v_mul_lo_u32 v7, v3, s28
	v_mul_hi_u32 v3, s15, v6
	v_mul_lo_u32 v17, v6, s11
	v_add_u32_e32 v3, v6, v3
	v_lshrrev_b32_e32 v16, s24, v3
	v_mul_hi_u32 v3, s26, v16
	v_sub_u32_e32 v5, v5, v17
	v_mul_lo_u32 v17, v16, s14
	v_mul_lo_u32 v5, v5, s29
	v_add_u32_e32 v3, v16, v3
	v_lshrrev_b32_e32 v3, s27, v3
	v_mul_lo_u32 v18, v3, s25
	v_sub_u32_e32 v6, v6, v17
	v_mul_lo_u32 v6, v6, s30
	v_add3_u32 v2, v7, v2, v5
	v_sub_u32_e32 v16, v16, v18
	v_mul_lo_u32 v16, v16, s31
	v_add3_u32 v2, v6, v2, v16
	s_cbranch_scc0 .LBB31_238
	s_branch .LBB31_242
.LBB31_239:
	s_mov_b64 s[8:9], -1
                                        ; implicit-def: $vgpr2
	s_branch .LBB31_246
.LBB31_240:
	v_mov_b32_e32 v2, 0
	s_branch .LBB31_245
.LBB31_241:
	v_mov_b32_e32 v2, 0
	s_mov_b32 s92, 0
	v_mov_b32_e32 v3, v8
.LBB31_242:
	s_and_b32 s12, s93, 3
	s_cmp_eq_u32 s12, 0
	s_cbranch_scc1 .LBB31_245
; %bb.243:
	s_lshl_b32 s8, s92, 2
	s_add_u32 s8, s34, s8
	s_addc_u32 s9, s35, 0
	s_add_u32 s8, s8, 0xc4
	s_addc_u32 s9, s9, 0
	s_mul_i32 s10, s92, 12
	s_add_u32 s10, s34, s10
	s_addc_u32 s11, s35, 0
.LBB31_244:                             ; =>This Inner Loop Header: Depth=1
	s_load_dwordx2 s[14:15], s[10:11], 0x4
	s_load_dword s13, s[10:11], 0xc
	s_add_u32 s10, s10, 12
	s_addc_u32 s11, s11, 0
	s_waitcnt lgkmcnt(0)
	v_mul_hi_u32 v5, s15, v3
	s_load_dword s15, s[8:9], 0x0
	s_add_u32 s8, s8, 4
	s_addc_u32 s9, s9, 0
	v_add_u32_e32 v5, v3, v5
	v_lshrrev_b32_e32 v5, s13, v5
	v_mul_lo_u32 v6, v5, s14
	s_add_i32 s12, s12, -1
	s_cmp_lg_u32 s12, 0
	v_sub_u32_e32 v3, v3, v6
	s_waitcnt lgkmcnt(0)
	v_mad_u64_u32 v[2:3], s[14:15], v3, s15, v[2:3]
	v_mov_b32_e32 v3, v5
	s_cbranch_scc1 .LBB31_244
.LBB31_245:
	s_mov_b64 s[8:9], 0
.LBB31_246:
	s_andn2_b64 vcc, exec, s[8:9]
	s_cbranch_vccnz .LBB31_249
; %bb.247:
	s_waitcnt lgkmcnt(0)
	v_mul_hi_u32 v2, s21, v8
	s_andn2_b64 vcc, exec, s[56:57]
	v_add_u32_e32 v2, v8, v2
	v_lshrrev_b32_e32 v3, s22, v2
	v_mul_lo_u32 v2, v3, s20
	v_sub_u32_e32 v2, v8, v2
	v_mul_lo_u32 v2, v2, s58
	s_cbranch_vccnz .LBB31_249
; %bb.248:
	v_mul_hi_u32 v5, s62, v3
	v_add_u32_e32 v5, v3, v5
	v_lshrrev_b32_e32 v5, s63, v5
	v_mul_lo_u32 v5, v5, s23
	v_sub_u32_e32 v3, v3, v5
	v_mad_u64_u32 v[2:3], s[8:9], v3, s59, v[2:3]
.LBB31_249:
	v_mov_b32_e32 v3, s17
	s_waitcnt lgkmcnt(0)
	s_and_b32 s14, s89, 0xff
	v_add_co_u32_e32 v6, vcc, s16, v2
	s_cmp_lt_i32 s14, 11
	v_addc_co_u32_e32 v7, vcc, 0, v3, vcc
	s_cbranch_scc1 .LBB31_256
; %bb.250:
	s_and_b32 s15, 0xffff, s14
	s_cmp_gt_i32 s15, 25
	s_cbranch_scc0 .LBB31_257
; %bb.251:
	s_cmp_gt_i32 s15, 28
	s_cbranch_scc0 .LBB31_258
; %bb.252:
	;; [unrolled: 3-line block ×4, first 2 shown]
	s_mov_b64 s[12:13], 0
	s_mov_b64 s[8:9], -1
	s_cmp_eq_u32 s15, 46
	s_mov_b64 s[10:11], 0
	s_cbranch_scc0 .LBB31_261
; %bb.255:
	global_store_dword v[6:7], v12, off
	s_mov_b64 s[10:11], -1
	s_mov_b64 s[8:9], 0
	s_branch .LBB31_261
.LBB31_256:
	s_mov_b64 s[12:13], -1
	s_mov_b64 s[10:11], 0
	s_mov_b64 s[8:9], s[70:71]
	s_branch .LBB31_306
.LBB31_257:
	s_mov_b64 s[12:13], -1
	s_mov_b64 s[10:11], 0
	s_mov_b64 s[8:9], s[70:71]
	s_branch .LBB31_283
.LBB31_258:
	s_mov_b64 s[12:13], -1
	s_mov_b64 s[10:11], 0
	s_mov_b64 s[8:9], s[70:71]
	s_branch .LBB31_269
.LBB31_259:
	s_mov_b64 s[12:13], -1
	s_mov_b64 s[10:11], 0
	s_mov_b64 s[8:9], s[70:71]
	s_branch .LBB31_265
.LBB31_260:
	s_mov_b64 s[12:13], -1
	s_mov_b64 s[10:11], 0
	s_mov_b64 s[8:9], s[70:71]
.LBB31_261:
	s_and_b64 vcc, exec, s[12:13]
	s_cbranch_vccz .LBB31_264
; %bb.262:
	s_cmp_eq_u32 s15, 44
	s_mov_b64 s[8:9], -1
	s_cbranch_scc0 .LBB31_264
; %bb.263:
	v_mov_b32_e32 v2, 0xffff
	v_cndmask_b32_e64 v2, v15, v2, s[4:5]
	s_mov_b64 s[10:11], -1
	s_mov_b64 s[8:9], 0
	global_store_byte v[6:7], v2, off
.LBB31_264:
	s_mov_b64 s[12:13], 0
.LBB31_265:
	s_and_b64 vcc, exec, s[12:13]
	s_cbranch_vccz .LBB31_268
; %bb.266:
	s_cmp_eq_u32 s15, 29
	s_mov_b64 s[8:9], -1
	s_cbranch_scc0 .LBB31_268
; %bb.267:
	v_mov_b32_e32 v2, s18
	v_mov_b32_e32 v3, s19
	global_store_dwordx2 v[6:7], v[2:3], off
	s_mov_b64 s[10:11], -1
	s_mov_b64 s[8:9], 0
.LBB31_268:
	s_mov_b64 s[12:13], 0
.LBB31_269:
	s_and_b64 vcc, exec, s[12:13]
	s_cbranch_vccz .LBB31_282
; %bb.270:
	s_cmp_lt_i32 s15, 27
	s_mov_b64 s[10:11], -1
	s_cbranch_scc1 .LBB31_276
; %bb.271:
	s_cmp_gt_i32 s15, 27
	s_cbranch_scc0 .LBB31_273
; %bb.272:
	v_mov_b32_e32 v2, s18
	s_mov_b64 s[10:11], 0
	global_store_dword v[6:7], v2, off
.LBB31_273:
	s_andn2_b64 vcc, exec, s[10:11]
	s_cbranch_vccnz .LBB31_275
; %bb.274:
	v_mov_b32_e32 v2, s18
	global_store_short v[6:7], v2, off
.LBB31_275:
	s_mov_b64 s[10:11], 0
.LBB31_276:
	s_andn2_b64 vcc, exec, s[10:11]
	s_cbranch_vccnz .LBB31_281
; %bb.277:
	s_andn2_b64 vcc, exec, s[52:53]
	v_mov_b32_e32 v2, 0x80
	s_cbranch_vccnz .LBB31_280
; %bb.278:
	s_or_b64 s[10:11], s[2:3], s[54:55]
	s_andn2_b64 vcc, exec, s[10:11]
	v_mov_b32_e32 v2, 0
	s_cbranch_vccnz .LBB31_280
; %bb.279:
	v_mov_b32_e32 v2, s88
	v_cndmask_b32_e64 v2, v14, v2, s[2:3]
	v_or_b32_e32 v2, v2, v11
.LBB31_280:
	global_store_byte v[6:7], v2, off
.LBB31_281:
	s_mov_b64 s[10:11], -1
.LBB31_282:
	s_mov_b64 s[12:13], 0
.LBB31_283:
	s_and_b64 vcc, exec, s[12:13]
	s_cbranch_vccz .LBB31_305
; %bb.284:
	s_cmp_gt_i32 s15, 22
	s_mov_b64 s[12:13], -1
	s_cbranch_scc0 .LBB31_297
; %bb.285:
	s_cmp_lt_i32 s15, 24
	s_mov_b64 s[10:11], -1
	s_cbranch_scc1 .LBB31_294
; %bb.286:
	s_cmp_gt_i32 s15, 24
	s_cbranch_scc0 .LBB31_291
; %bb.287:
	s_andn2_b64 vcc, exec, s[48:49]
	v_mov_b32_e32 v2, 0x80
	s_cbranch_vccnz .LBB31_290
; %bb.288:
	s_or_b64 s[10:11], s[0:1], s[50:51]
	s_andn2_b64 vcc, exec, s[10:11]
	v_mov_b32_e32 v2, 0
	s_cbranch_vccnz .LBB31_290
; %bb.289:
	v_mov_b32_e32 v2, s86
	v_cndmask_b32_e64 v2, v13, v2, s[0:1]
	v_or_b32_e32 v2, v2, v11
.LBB31_290:
	s_mov_b64 s[10:11], 0
	global_store_byte v[6:7], v2, off
.LBB31_291:
	s_and_b64 vcc, exec, s[10:11]
	s_cbranch_vccz .LBB31_293
; %bb.292:
	s_and_b64 s[10:11], s[46:47], exec
	s_cselect_b32 s12, s83, s82
	s_and_b64 s[10:11], s[44:45], exec
	s_cselect_b32 s10, s87, s12
	v_or_b32_e32 v2, s10, v11
	global_store_byte v[6:7], v2, off
.LBB31_293:
	s_mov_b64 s[10:11], 0
.LBB31_294:
	s_andn2_b64 vcc, exec, s[10:11]
	s_cbranch_vccnz .LBB31_296
; %bb.295:
	s_and_b64 s[10:11], s[42:43], exec
	s_cselect_b32 s12, s84, s81
	s_and_b64 s[10:11], s[40:41], exec
	s_cselect_b32 s10, s85, s12
	v_or_b32_e32 v2, s10, v11
	global_store_byte v[6:7], v2, off
.LBB31_296:
	s_mov_b64 s[12:13], 0
	s_mov_b64 s[10:11], -1
.LBB31_297:
	s_andn2_b64 vcc, exec, s[12:13]
	s_cbranch_vccnz .LBB31_305
; %bb.298:
	s_cmp_gt_i32 s15, 14
	s_mov_b64 s[12:13], -1
	s_cbranch_scc0 .LBB31_302
; %bb.299:
	s_cmp_eq_u32 s15, 15
	s_mov_b64 s[8:9], -1
	s_cbranch_scc0 .LBB31_301
; %bb.300:
	global_store_short v[6:7], v12, off
	s_mov_b64 s[10:11], -1
	s_mov_b64 s[8:9], 0
.LBB31_301:
	s_mov_b64 s[12:13], 0
.LBB31_302:
	s_and_b64 vcc, exec, s[12:13]
	s_cbranch_vccz .LBB31_305
; %bb.303:
	s_cmp_eq_u32 s15, 11
	s_mov_b64 s[8:9], -1
	s_cbranch_scc0 .LBB31_305
; %bb.304:
	s_mov_b64 s[10:11], -1
	s_mov_b64 s[8:9], 0
	global_store_byte v[6:7], v10, off
.LBB31_305:
	s_mov_b64 s[12:13], 0
.LBB31_306:
	s_and_b64 vcc, exec, s[12:13]
	s_cbranch_vccz .LBB31_345
; %bb.307:
	s_and_b32 s12, 0xffff, s14
	s_cmp_lt_i32 s12, 5
	s_mov_b64 s[10:11], -1
	s_cbranch_scc1 .LBB31_328
; %bb.308:
	s_cmp_lt_i32 s12, 8
	s_cbranch_scc1 .LBB31_318
; %bb.309:
	s_cmp_lt_i32 s12, 9
	s_cbranch_scc1 .LBB31_315
; %bb.310:
	s_cmp_gt_i32 s12, 9
	s_cbranch_scc0 .LBB31_312
; %bb.311:
	v_mov_b32_e32 v2, 0
	v_mov_b32_e32 v3, v2
	s_mov_b64 s[10:11], 0
	global_store_dwordx4 v[6:7], v[0:3], off
.LBB31_312:
	s_andn2_b64 vcc, exec, s[10:11]
	s_cbranch_vccnz .LBB31_314
; %bb.313:
	v_mov_b32_e32 v5, 0
	global_store_dwordx2 v[6:7], v[4:5], off
.LBB31_314:
	s_mov_b64 s[10:11], 0
.LBB31_315:
	s_andn2_b64 vcc, exec, s[10:11]
	s_cbranch_vccnz .LBB31_317
; %bb.316:
	global_store_dword v[6:7], v9, off
.LBB31_317:
	s_mov_b64 s[10:11], 0
.LBB31_318:
	s_andn2_b64 vcc, exec, s[10:11]
	s_cbranch_vccnz .LBB31_327
; %bb.319:
	s_cmp_lt_i32 s12, 6
	s_mov_b64 s[10:11], -1
	s_cbranch_scc1 .LBB31_325
; %bb.320:
	s_cmp_gt_i32 s12, 6
	s_cbranch_scc0 .LBB31_322
; %bb.321:
	s_mov_b64 s[10:11], 0
	global_store_dwordx2 v[6:7], v[0:1], off
.LBB31_322:
	s_andn2_b64 vcc, exec, s[10:11]
	s_cbranch_vccnz .LBB31_324
; %bb.323:
	global_store_dword v[6:7], v4, off
.LBB31_324:
	s_mov_b64 s[10:11], 0
.LBB31_325:
	s_andn2_b64 vcc, exec, s[10:11]
	s_cbranch_vccnz .LBB31_327
; %bb.326:
	global_store_short v[6:7], v9, off
.LBB31_327:
	s_mov_b64 s[10:11], 0
.LBB31_328:
	s_andn2_b64 vcc, exec, s[10:11]
	s_cbranch_vccnz .LBB31_344
; %bb.329:
	s_cmp_lt_i32 s12, 2
	s_mov_b64 s[10:11], -1
	s_cbranch_scc1 .LBB31_339
; %bb.330:
	s_cmp_lt_i32 s12, 3
	s_cbranch_scc1 .LBB31_336
; %bb.331:
	s_cmp_gt_i32 s12, 3
	s_cbranch_scc0 .LBB31_333
; %bb.332:
	v_mov_b32_e32 v2, s18
	v_mov_b32_e32 v3, s19
	s_mov_b64 s[10:11], 0
	global_store_dwordx2 v[6:7], v[2:3], off
.LBB31_333:
	s_andn2_b64 vcc, exec, s[10:11]
	s_cbranch_vccnz .LBB31_335
; %bb.334:
	v_mov_b32_e32 v2, s18
	global_store_dword v[6:7], v2, off
.LBB31_335:
	s_mov_b64 s[10:11], 0
.LBB31_336:
	s_andn2_b64 vcc, exec, s[10:11]
	s_cbranch_vccnz .LBB31_338
; %bb.337:
	v_mov_b32_e32 v2, s18
	global_store_short v[6:7], v2, off
.LBB31_338:
	s_mov_b64 s[10:11], 0
.LBB31_339:
	s_andn2_b64 vcc, exec, s[10:11]
	s_cbranch_vccnz .LBB31_344
; %bb.340:
	s_cmp_gt_i32 s12, 0
	s_mov_b64 s[10:11], -1
	s_cbranch_scc0 .LBB31_342
; %bb.341:
	v_mov_b32_e32 v2, s18
	s_mov_b64 s[10:11], 0
	global_store_byte v[6:7], v2, off
.LBB31_342:
	s_andn2_b64 vcc, exec, s[10:11]
	s_cbranch_vccnz .LBB31_344
; %bb.343:
	v_mov_b32_e32 v2, s18
	global_store_byte v[6:7], v2, off
.LBB31_344:
	s_mov_b64 s[10:11], -1
.LBB31_345:
	s_andn2_b64 vcc, exec, s[10:11]
	s_cbranch_vccnz .LBB31_347
; %bb.346:
	v_add_u32_e32 v8, 0x80, v8
	s_mov_b64 s[10:11], -1
	s_branch .LBB31_348
.LBB31_347:
	s_mov_b64 s[10:11], 0
                                        ; implicit-def: $vgpr8
.LBB31_348:
	s_andn2_b64 s[12:13], s[70:71], exec
	s_and_b64 s[8:9], s[8:9], exec
	s_or_b64 s[76:77], s[12:13], s[8:9]
	s_orn2_b64 s[10:11], s[10:11], exec
.LBB31_349:
	s_or_b64 exec, exec, s[74:75]
	s_mov_b64 s[8:9], 0
	s_mov_b64 s[14:15], 0
                                        ; implicit-def: $sgpr24
                                        ; implicit-def: $vgpr6_vgpr7
	s_and_saveexec_b64 s[74:75], s[10:11]
	s_cbranch_execz .LBB31_420
; %bb.350:
	v_cmp_gt_i32_e32 vcc, s90, v8
	s_mov_b64 s[10:11], 0
	s_mov_b64 s[12:13], s[76:77]
                                        ; implicit-def: $sgpr24
                                        ; implicit-def: $vgpr6_vgpr7
	s_and_saveexec_b64 s[78:79], vcc
	s_cbranch_execz .LBB31_419
; %bb.351:
	s_andn2_b64 vcc, exec, s[36:37]
	s_cbranch_vccnz .LBB31_356
; %bb.352:
	s_andn2_b64 vcc, exec, s[64:65]
	s_cbranch_vccnz .LBB31_357
; %bb.353:
	s_add_i32 s91, s91, 1
	s_cmp_eq_u32 s80, 2
	s_cbranch_scc1 .LBB31_358
; %bb.354:
	s_and_b32 s90, s91, 28
	s_mov_b32 s92, 0
	v_mov_b32_e32 v2, 0
	s_mov_b64 s[64:65], s[34:35]
	v_mov_b32_e32 v3, v8
.LBB31_355:                             ; =>This Inner Loop Header: Depth=1
	s_load_dwordx8 s[8:15], s[64:65], 0x4
	s_load_dwordx4 s[24:27], s[64:65], 0x24
	s_load_dwordx4 s[28:31], s[60:61], 0x0
	s_add_u32 s64, s64, 48
	s_addc_u32 s65, s65, 0
	s_waitcnt lgkmcnt(0)
	v_mul_hi_u32 v5, s9, v3
	s_add_i32 s92, s92, 4
	s_add_u32 s60, s60, 16
	s_addc_u32 s61, s61, 0
	v_add_u32_e32 v5, v3, v5
	v_lshrrev_b32_e32 v5, s10, v5
	v_mul_lo_u32 v6, v5, s8
	v_mul_hi_u32 v7, s12, v5
	s_cmp_eq_u32 s90, s92
	v_sub_u32_e32 v3, v3, v6
	v_add_u32_e32 v6, v5, v7
	v_lshrrev_b32_e32 v6, s13, v6
	v_mul_lo_u32 v7, v3, s28
	v_mul_hi_u32 v3, s15, v6
	v_mul_lo_u32 v17, v6, s11
	v_add_u32_e32 v3, v6, v3
	v_lshrrev_b32_e32 v16, s24, v3
	v_mul_hi_u32 v3, s26, v16
	v_sub_u32_e32 v5, v5, v17
	v_mul_lo_u32 v17, v16, s14
	v_mul_lo_u32 v5, v5, s29
	v_add_u32_e32 v3, v16, v3
	v_lshrrev_b32_e32 v3, s27, v3
	v_mul_lo_u32 v18, v3, s25
	v_sub_u32_e32 v6, v6, v17
	v_mul_lo_u32 v6, v6, s30
	v_add3_u32 v2, v7, v2, v5
	v_sub_u32_e32 v16, v16, v18
	v_mul_lo_u32 v16, v16, s31
	v_add3_u32 v2, v6, v2, v16
	s_cbranch_scc0 .LBB31_355
	s_branch .LBB31_359
.LBB31_356:
	s_mov_b64 s[8:9], -1
                                        ; implicit-def: $vgpr2
	s_branch .LBB31_363
.LBB31_357:
	v_mov_b32_e32 v2, 0
	s_branch .LBB31_362
.LBB31_358:
	v_mov_b32_e32 v2, 0
	s_mov_b32 s90, 0
	v_mov_b32_e32 v3, v8
.LBB31_359:
	s_and_b32 s12, s91, 3
	s_cmp_eq_u32 s12, 0
	s_cbranch_scc1 .LBB31_362
; %bb.360:
	s_lshl_b32 s8, s90, 2
	s_add_u32 s8, s34, s8
	s_addc_u32 s9, s35, 0
	s_add_u32 s8, s8, 0xc4
	s_addc_u32 s9, s9, 0
	s_mul_i32 s10, s90, 12
	s_add_u32 s10, s34, s10
	s_addc_u32 s11, s35, 0
.LBB31_361:                             ; =>This Inner Loop Header: Depth=1
	s_load_dwordx2 s[14:15], s[10:11], 0x4
	s_load_dword s13, s[10:11], 0xc
	s_add_u32 s10, s10, 12
	s_addc_u32 s11, s11, 0
	s_waitcnt lgkmcnt(0)
	v_mul_hi_u32 v5, s15, v3
	s_load_dword s15, s[8:9], 0x0
	s_add_u32 s8, s8, 4
	s_addc_u32 s9, s9, 0
	v_add_u32_e32 v5, v3, v5
	v_lshrrev_b32_e32 v5, s13, v5
	v_mul_lo_u32 v6, v5, s14
	s_add_i32 s12, s12, -1
	s_cmp_lg_u32 s12, 0
	v_sub_u32_e32 v3, v3, v6
	s_waitcnt lgkmcnt(0)
	v_mad_u64_u32 v[2:3], s[14:15], v3, s15, v[2:3]
	v_mov_b32_e32 v3, v5
	s_cbranch_scc1 .LBB31_361
.LBB31_362:
	s_mov_b64 s[8:9], 0
.LBB31_363:
	s_andn2_b64 vcc, exec, s[8:9]
	s_cbranch_vccnz .LBB31_366
; %bb.364:
	s_waitcnt lgkmcnt(0)
	v_mul_hi_u32 v2, s21, v8
	s_andn2_b64 vcc, exec, s[56:57]
	v_add_u32_e32 v2, v8, v2
	v_lshrrev_b32_e32 v3, s22, v2
	v_mul_lo_u32 v2, v3, s20
	v_sub_u32_e32 v2, v8, v2
	v_mul_lo_u32 v2, v2, s58
	s_cbranch_vccnz .LBB31_366
; %bb.365:
	v_mul_hi_u32 v5, s62, v3
	v_add_u32_e32 v5, v3, v5
	v_lshrrev_b32_e32 v5, s63, v5
	v_mul_lo_u32 v5, v5, s23
	v_sub_u32_e32 v3, v3, v5
	v_mad_u64_u32 v[2:3], s[8:9], v3, s59, v[2:3]
.LBB31_366:
	v_mov_b32_e32 v3, s17
	s_waitcnt lgkmcnt(0)
	s_and_b32 s24, s89, 0xff
	v_add_co_u32_e32 v6, vcc, s16, v2
	s_cmp_lt_i32 s24, 11
	v_addc_co_u32_e32 v7, vcc, 0, v3, vcc
	s_cbranch_scc1 .LBB31_416
; %bb.367:
	s_and_b32 s12, 0xffff, s24
	s_mov_b64 s[10:11], -1
	s_cmp_gt_i32 s12, 25
	s_mov_b64 s[8:9], s[76:77]
	s_cbranch_scc0 .LBB31_395
; %bb.368:
	s_cmp_gt_i32 s12, 28
	s_mov_b64 s[8:9], s[76:77]
	s_cbranch_scc0 .LBB31_382
; %bb.369:
	;; [unrolled: 4-line block ×4, first 2 shown]
	s_cmp_eq_u32 s12, 46
	s_mov_b64 s[8:9], -1
	s_cbranch_scc0 .LBB31_373
; %bb.372:
	global_store_dword v[6:7], v12, off
	s_mov_b64 s[8:9], 0
.LBB31_373:
	s_mov_b64 s[10:11], 0
.LBB31_374:
	s_and_b64 vcc, exec, s[10:11]
	s_cbranch_vccz .LBB31_377
; %bb.375:
	s_cmp_eq_u32 s12, 44
	s_mov_b64 s[8:9], -1
	s_cbranch_scc0 .LBB31_377
; %bb.376:
	v_mov_b32_e32 v2, 0xffff
	v_cndmask_b32_e64 v2, v15, v2, s[4:5]
	global_store_byte v[6:7], v2, off
	s_mov_b64 s[8:9], 0
.LBB31_377:
	s_mov_b64 s[10:11], 0
.LBB31_378:
	s_and_b64 vcc, exec, s[10:11]
	s_cbranch_vccz .LBB31_381
; %bb.379:
	s_cmp_eq_u32 s12, 29
	s_mov_b64 s[8:9], -1
	s_cbranch_scc0 .LBB31_381
; %bb.380:
	v_mov_b32_e32 v2, s18
	v_mov_b32_e32 v3, s19
	global_store_dwordx2 v[6:7], v[2:3], off
	s_mov_b64 s[8:9], 0
.LBB31_381:
	s_mov_b64 s[10:11], 0
.LBB31_382:
	s_and_b64 vcc, exec, s[10:11]
	s_cbranch_vccz .LBB31_394
; %bb.383:
	s_cmp_lt_i32 s12, 27
	s_mov_b64 s[4:5], -1
	s_cbranch_scc1 .LBB31_389
; %bb.384:
	s_cmp_gt_i32 s12, 27
	s_cbranch_scc0 .LBB31_386
; %bb.385:
	v_mov_b32_e32 v2, s18
	s_mov_b64 s[4:5], 0
	global_store_dword v[6:7], v2, off
.LBB31_386:
	s_andn2_b64 vcc, exec, s[4:5]
	s_cbranch_vccnz .LBB31_388
; %bb.387:
	v_mov_b32_e32 v2, s18
	global_store_short v[6:7], v2, off
.LBB31_388:
	s_mov_b64 s[4:5], 0
.LBB31_389:
	s_andn2_b64 vcc, exec, s[4:5]
	s_cbranch_vccnz .LBB31_394
; %bb.390:
	s_andn2_b64 vcc, exec, s[52:53]
	v_mov_b32_e32 v2, 0x80
	s_cbranch_vccnz .LBB31_393
; %bb.391:
	s_or_b64 s[4:5], s[2:3], s[54:55]
	s_andn2_b64 vcc, exec, s[4:5]
	v_mov_b32_e32 v2, 0
	s_cbranch_vccnz .LBB31_393
; %bb.392:
	v_mov_b32_e32 v2, s88
	v_cndmask_b32_e64 v2, v14, v2, s[2:3]
	v_or_b32_e32 v2, v2, v11
.LBB31_393:
	global_store_byte v[6:7], v2, off
.LBB31_394:
	s_mov_b64 s[10:11], 0
.LBB31_395:
	s_mov_b64 s[2:3], 0
	s_and_b64 vcc, exec, s[10:11]
	s_cbranch_vccz .LBB31_417
; %bb.396:
	s_cmp_gt_i32 s12, 22
	s_mov_b64 s[4:5], -1
	s_cbranch_scc0 .LBB31_409
; %bb.397:
	s_cmp_lt_i32 s12, 24
	s_cbranch_scc1 .LBB31_406
; %bb.398:
	s_cmp_gt_i32 s12, 24
	s_cbranch_scc0 .LBB31_403
; %bb.399:
	s_andn2_b64 vcc, exec, s[48:49]
	v_mov_b32_e32 v2, 0x80
	s_cbranch_vccnz .LBB31_402
; %bb.400:
	s_or_b64 s[4:5], s[0:1], s[50:51]
	s_andn2_b64 vcc, exec, s[4:5]
	v_mov_b32_e32 v2, 0
	s_cbranch_vccnz .LBB31_402
; %bb.401:
	v_mov_b32_e32 v2, s86
	v_cndmask_b32_e64 v2, v13, v2, s[0:1]
	v_or_b32_e32 v2, v2, v11
.LBB31_402:
	s_mov_b64 s[4:5], 0
	global_store_byte v[6:7], v2, off
.LBB31_403:
	s_and_b64 vcc, exec, s[4:5]
	s_cbranch_vccz .LBB31_405
; %bb.404:
	s_and_b64 s[0:1], s[46:47], exec
	s_cselect_b32 s4, s83, s82
	s_and_b64 s[0:1], s[44:45], exec
	s_cselect_b32 s0, s87, s4
	v_or_b32_e32 v2, s0, v11
	global_store_byte v[6:7], v2, off
.LBB31_405:
	s_mov_b64 s[4:5], 0
.LBB31_406:
	s_andn2_b64 vcc, exec, s[4:5]
	s_cbranch_vccnz .LBB31_408
; %bb.407:
	s_and_b64 s[0:1], s[42:43], exec
	s_cselect_b32 s4, s84, s81
	s_and_b64 s[0:1], s[40:41], exec
	s_cselect_b32 s0, s85, s4
	v_or_b32_e32 v2, s0, v11
	global_store_byte v[6:7], v2, off
.LBB31_408:
	s_mov_b64 s[4:5], 0
.LBB31_409:
	s_andn2_b64 vcc, exec, s[4:5]
	s_mov_b64 s[0:1], 0
	s_cbranch_vccnz .LBB31_418
; %bb.410:
	s_cmp_gt_i32 s12, 14
	s_mov_b64 s[4:5], -1
	s_cbranch_scc0 .LBB31_414
; %bb.411:
	s_cmp_eq_u32 s12, 15
	s_mov_b64 s[8:9], -1
	s_cbranch_scc0 .LBB31_413
; %bb.412:
	global_store_short v[6:7], v12, off
	s_mov_b64 s[8:9], 0
.LBB31_413:
	s_mov_b64 s[4:5], 0
.LBB31_414:
	s_and_b64 vcc, exec, s[4:5]
	s_cbranch_vccz .LBB31_418
; %bb.415:
	s_cmp_lg_u32 s12, 11
	s_cselect_b64 s[4:5], -1, 0
	s_andn2_b64 s[8:9], s[8:9], exec
	s_and_b64 s[4:5], s[4:5], exec
	s_mov_b64 s[0:1], -1
	s_or_b64 s[8:9], s[8:9], s[4:5]
	s_branch .LBB31_418
.LBB31_416:
	s_mov_b64 s[0:1], 0
	s_mov_b64 s[2:3], -1
	s_mov_b64 s[8:9], s[76:77]
	s_branch .LBB31_418
.LBB31_417:
	s_mov_b64 s[0:1], 0
.LBB31_418:
	s_and_b64 s[14:15], s[2:3], exec
	s_and_b64 s[10:11], s[0:1], exec
	s_andn2_b64 s[0:1], s[76:77], exec
	s_and_b64 s[2:3], s[8:9], exec
	s_or_b64 s[12:13], s[0:1], s[2:3]
.LBB31_419:
	s_or_b64 exec, exec, s[78:79]
	s_andn2_b64 s[0:1], s[76:77], exec
	s_and_b64 s[2:3], s[12:13], exec
	s_and_b64 s[14:15], s[14:15], exec
	;; [unrolled: 1-line block ×3, first 2 shown]
	s_or_b64 s[76:77], s[0:1], s[2:3]
.LBB31_420:
	s_or_b64 exec, exec, s[74:75]
	s_andn2_b64 s[0:1], s[70:71], exec
	s_and_b64 s[2:3], s[76:77], exec
	s_and_b64 s[12:13], s[14:15], exec
	;; [unrolled: 1-line block ×3, first 2 shown]
	s_or_b64 s[70:71], s[0:1], s[2:3]
.LBB31_421:
	s_or_b64 exec, exec, s[72:73]
	s_andn2_b64 s[0:1], s[66:67], exec
	s_and_b64 s[2:3], s[70:71], exec
	s_and_b64 s[8:9], s[12:13], exec
	;; [unrolled: 1-line block ×3, first 2 shown]
	s_or_b64 s[66:67], s[0:1], s[2:3]
	s_or_b64 exec, exec, s[68:69]
	s_mov_b64 s[0:1], 0
	s_and_saveexec_b64 s[2:3], s[66:67]
	s_cbranch_execz .LBB31_122
.LBB31_422:
	s_mov_b64 s[0:1], exec
	s_andn2_b64 s[72:73], s[72:73], exec
	s_trap 2
	s_or_b64 exec, exec, s[2:3]
	s_and_saveexec_b64 s[2:3], s[72:73]
	s_xor_b64 s[2:3], exec, s[2:3]
	s_cbranch_execnz .LBB31_123
.LBB31_423:
	s_or_b64 exec, exec, s[2:3]
	s_and_saveexec_b64 s[2:3], s[8:9]
	s_xor_b64 s[2:3], exec, s[2:3]
	s_cbranch_execz .LBB31_461
.LBB31_424:
	s_sext_i32_i16 s8, s24
	s_cmp_lt_i32 s8, 5
	s_mov_b64 s[4:5], -1
	s_cbranch_scc1 .LBB31_445
; %bb.425:
	s_cmp_lt_i32 s8, 8
	s_cbranch_scc1 .LBB31_435
; %bb.426:
	s_cmp_lt_i32 s8, 9
	s_cbranch_scc1 .LBB31_432
; %bb.427:
	s_cmp_gt_i32 s8, 9
	s_cbranch_scc0 .LBB31_429
; %bb.428:
	v_mov_b32_e32 v2, 0
	v_mov_b32_e32 v3, v2
	s_mov_b64 s[4:5], 0
	global_store_dwordx4 v[6:7], v[0:3], off
.LBB31_429:
	s_andn2_b64 vcc, exec, s[4:5]
	s_cbranch_vccnz .LBB31_431
; %bb.430:
	v_mov_b32_e32 v5, 0
	global_store_dwordx2 v[6:7], v[4:5], off
.LBB31_431:
	s_mov_b64 s[4:5], 0
.LBB31_432:
	s_andn2_b64 vcc, exec, s[4:5]
	s_cbranch_vccnz .LBB31_434
; %bb.433:
	global_store_dword v[6:7], v9, off
.LBB31_434:
	s_mov_b64 s[4:5], 0
.LBB31_435:
	s_andn2_b64 vcc, exec, s[4:5]
	s_cbranch_vccnz .LBB31_444
; %bb.436:
	s_sext_i32_i16 s8, s24
	s_cmp_lt_i32 s8, 6
	s_mov_b64 s[4:5], -1
	s_cbranch_scc1 .LBB31_442
; %bb.437:
	s_cmp_gt_i32 s8, 6
	s_cbranch_scc0 .LBB31_439
; %bb.438:
	s_mov_b64 s[4:5], 0
	global_store_dwordx2 v[6:7], v[0:1], off
.LBB31_439:
	s_andn2_b64 vcc, exec, s[4:5]
	s_cbranch_vccnz .LBB31_441
; %bb.440:
	global_store_dword v[6:7], v4, off
.LBB31_441:
	s_mov_b64 s[4:5], 0
.LBB31_442:
	s_andn2_b64 vcc, exec, s[4:5]
	s_cbranch_vccnz .LBB31_444
; %bb.443:
	global_store_short v[6:7], v9, off
.LBB31_444:
	s_mov_b64 s[4:5], 0
.LBB31_445:
	s_andn2_b64 vcc, exec, s[4:5]
	s_cbranch_vccnz .LBB31_461
; %bb.446:
	s_sext_i32_i16 s8, s24
	s_cmp_lt_i32 s8, 2
	s_mov_b64 s[4:5], -1
	s_cbranch_scc1 .LBB31_456
; %bb.447:
	s_cmp_lt_i32 s8, 3
	s_cbranch_scc1 .LBB31_453
; %bb.448:
	s_cmp_gt_i32 s8, 3
	s_cbranch_scc0 .LBB31_450
; %bb.449:
	v_mov_b32_e32 v0, s18
	v_mov_b32_e32 v1, s19
	s_mov_b64 s[4:5], 0
	global_store_dwordx2 v[6:7], v[0:1], off
.LBB31_450:
	s_andn2_b64 vcc, exec, s[4:5]
	s_cbranch_vccnz .LBB31_452
; %bb.451:
	v_mov_b32_e32 v0, s18
	global_store_dword v[6:7], v0, off
.LBB31_452:
	s_mov_b64 s[4:5], 0
.LBB31_453:
	s_andn2_b64 vcc, exec, s[4:5]
	s_cbranch_vccnz .LBB31_455
; %bb.454:
	v_mov_b32_e32 v0, s18
	global_store_short v[6:7], v0, off
.LBB31_455:
	s_mov_b64 s[4:5], 0
.LBB31_456:
	s_andn2_b64 vcc, exec, s[4:5]
	s_cbranch_vccnz .LBB31_461
; %bb.457:
	s_sext_i32_i16 s4, s24
	s_cmp_gt_i32 s4, 0
	s_mov_b64 s[4:5], -1
	s_cbranch_scc0 .LBB31_459
; %bb.458:
	v_mov_b32_e32 v0, s18
	s_mov_b64 s[4:5], 0
	global_store_byte v[6:7], v0, off
.LBB31_459:
	s_andn2_b64 vcc, exec, s[4:5]
	s_cbranch_vccnz .LBB31_461
; %bb.460:
	v_mov_b32_e32 v0, s18
	global_store_byte v[6:7], v0, off
.LBB31_461:
	s_or_b64 exec, exec, s[2:3]
	s_waitcnt lgkmcnt(0)
	s_and_b64 s[20:21], s[0:1], exec
                                        ; implicit-def: $vgpr9
                                        ; implicit-def: $vgpr8
.LBB31_462:
	s_or_saveexec_b64 s[22:23], s[38:39]
	s_mov_b64 s[0:1], 0
                                        ; implicit-def: $sgpr14
                                        ; implicit-def: $vgpr0_vgpr1
                                        ; implicit-def: $sgpr2_sgpr3
	s_xor_b64 exec, exec, s[22:23]
	s_cbranch_execz .LBB31_945
; %bb.463:
	v_cndmask_b32_e64 v0, 0, 1, s[36:37]
	v_cmp_ne_u32_e64 s[0:1], 1, v0
	s_andn2_b64 vcc, exec, s[36:37]
	s_cbranch_vccnz .LBB31_469
; %bb.464:
	s_cmp_lg_u32 s33, 0
	s_mov_b32 s26, 0
	s_cbranch_scc0 .LBB31_470
; %bb.465:
	s_min_u32 s27, s80, 15
	s_add_i32 s27, s27, 1
	s_cmp_eq_u32 s80, 2
	s_cbranch_scc1 .LBB31_471
; %bb.466:
	s_and_b32 s26, s27, 28
	s_add_u32 s2, s34, 0xc4
	s_addc_u32 s3, s35, 0
	s_mov_b32 s28, 0
	v_mov_b32_e32 v6, 0
	s_mov_b64 s[24:25], s[34:35]
	v_mov_b32_e32 v0, v8
.LBB31_467:                             ; =>This Inner Loop Header: Depth=1
	s_load_dwordx8 s[4:11], s[24:25], 0x4
	s_load_dwordx4 s[12:15], s[24:25], 0x24
	s_load_dwordx4 s[16:19], s[2:3], 0x0
	s_add_u32 s24, s24, 48
	s_addc_u32 s25, s25, 0
	s_waitcnt lgkmcnt(0)
	v_mul_hi_u32 v1, s5, v0
	s_add_i32 s28, s28, 4
	s_add_u32 s2, s2, 16
	s_addc_u32 s3, s3, 0
	v_add_u32_e32 v1, v0, v1
	v_lshrrev_b32_e32 v1, s6, v1
	v_mul_lo_u32 v2, v1, s4
	v_mul_hi_u32 v3, s8, v1
	s_cmp_lg_u32 s26, s28
	v_sub_u32_e32 v0, v0, v2
	v_add_u32_e32 v2, v1, v3
	v_lshrrev_b32_e32 v2, s9, v2
	v_mul_lo_u32 v3, v0, s16
	v_mul_hi_u32 v0, s11, v2
	v_mul_lo_u32 v5, v2, s7
	v_add_u32_e32 v0, v2, v0
	v_lshrrev_b32_e32 v4, s12, v0
	v_mul_hi_u32 v0, s14, v4
	v_sub_u32_e32 v1, v1, v5
	v_mul_lo_u32 v5, v4, s10
	v_mul_lo_u32 v1, v1, s17
	v_add_u32_e32 v0, v4, v0
	v_lshrrev_b32_e32 v0, s15, v0
	v_mul_lo_u32 v7, v0, s13
	v_sub_u32_e32 v2, v2, v5
	v_mul_lo_u32 v2, v2, s18
	v_add3_u32 v1, v3, v6, v1
	v_sub_u32_e32 v4, v4, v7
	v_mul_lo_u32 v4, v4, s19
	v_add3_u32 v6, v2, v1, v4
	s_cbranch_scc1 .LBB31_467
; %bb.468:
	s_and_b32 s6, s27, 3
	s_cmp_eq_u32 s6, 0
	s_cbranch_scc0 .LBB31_472
	s_branch .LBB31_474
.LBB31_469:
                                        ; implicit-def: $vgpr6
	s_branch .LBB31_475
.LBB31_470:
	v_mov_b32_e32 v6, 0
	s_branch .LBB31_474
.LBB31_471:
	v_mov_b32_e32 v6, 0
	v_mov_b32_e32 v0, v8
	s_and_b32 s6, s27, 3
	s_cmp_eq_u32 s6, 0
	s_cbranch_scc1 .LBB31_474
.LBB31_472:
	s_lshl_b32 s2, s26, 2
	s_add_u32 s2, s34, s2
	s_addc_u32 s3, s35, 0
	s_add_u32 s2, s2, 0xc4
	s_addc_u32 s3, s3, 0
	s_mul_i32 s4, s26, 12
	s_add_u32 s4, s34, s4
	s_addc_u32 s5, s35, 0
.LBB31_473:                             ; =>This Inner Loop Header: Depth=1
	s_load_dwordx2 s[8:9], s[4:5], 0x4
	s_load_dword s7, s[4:5], 0xc
	s_add_u32 s4, s4, 12
	s_addc_u32 s5, s5, 0
	s_waitcnt lgkmcnt(0)
	v_mul_hi_u32 v1, s9, v0
	s_load_dword s9, s[2:3], 0x0
	s_add_u32 s2, s2, 4
	s_addc_u32 s3, s3, 0
	v_add_u32_e32 v1, v0, v1
	v_lshrrev_b32_e32 v1, s7, v1
	v_mul_lo_u32 v2, v1, s8
	s_add_i32 s6, s6, -1
	s_cmp_lg_u32 s6, 0
	v_sub_u32_e32 v0, v0, v2
	s_waitcnt lgkmcnt(0)
	v_mad_u64_u32 v[6:7], s[8:9], v0, s9, v[6:7]
	v_mov_b32_e32 v0, v1
	s_cbranch_scc1 .LBB31_473
.LBB31_474:
	s_cbranch_execnz .LBB31_477
.LBB31_475:
	s_load_dwordx4 s[4:7], s[34:35], 0x4
	s_load_dword s2, s[34:35], 0xc4
	s_cmp_lt_u32 s33, 2
	s_waitcnt lgkmcnt(0)
	v_mul_hi_u32 v0, s5, v8
	v_add_u32_e32 v0, v8, v0
	v_lshrrev_b32_e32 v0, s6, v0
	v_mul_lo_u32 v1, v0, s4
	v_sub_u32_e32 v1, v8, v1
	v_mul_lo_u32 v6, v1, s2
	s_cbranch_scc1 .LBB31_477
; %bb.476:
	s_load_dwordx4 s[4:7], s[34:35], 0x10
	s_load_dword s2, s[34:35], 0xc8
	s_waitcnt lgkmcnt(0)
	v_mul_hi_u32 v1, s5, v0
	v_add_u32_e32 v1, v0, v1
	v_lshrrev_b32_e32 v1, s6, v1
	v_mul_lo_u32 v1, v1, s4
	v_sub_u32_e32 v0, v0, v1
	v_mad_u64_u32 v[6:7], s[2:3], v0, s2, v[6:7]
.LBB31_477:
	s_and_b64 vcc, exec, s[0:1]
	v_add_u32_e32 v0, 0x80, v8
	s_cbranch_vccnz .LBB31_483
; %bb.478:
	s_cmp_lg_u32 s33, 0
	s_mov_b32 s26, 0
	s_cbranch_scc0 .LBB31_484
; %bb.479:
	s_min_u32 s27, s80, 15
	s_add_i32 s27, s27, 1
	s_cmp_eq_u32 s80, 2
	s_cbranch_scc1 .LBB31_485
; %bb.480:
	s_and_b32 s26, s27, 28
	s_add_u32 s2, s34, 0xc4
	s_addc_u32 s3, s35, 0
	s_mov_b32 s28, 0
	v_mov_b32_e32 v4, 0
	s_mov_b64 s[24:25], s[34:35]
	v_mov_b32_e32 v1, v0
.LBB31_481:                             ; =>This Inner Loop Header: Depth=1
	s_load_dwordx8 s[4:11], s[24:25], 0x4
	s_load_dwordx4 s[12:15], s[24:25], 0x24
	s_load_dwordx4 s[16:19], s[2:3], 0x0
	s_add_u32 s24, s24, 48
	s_addc_u32 s25, s25, 0
	s_waitcnt lgkmcnt(0)
	v_mul_hi_u32 v2, s5, v1
	s_add_i32 s28, s28, 4
	s_add_u32 s2, s2, 16
	s_addc_u32 s3, s3, 0
	v_add_u32_e32 v2, v1, v2
	v_lshrrev_b32_e32 v2, s6, v2
	v_mul_lo_u32 v3, v2, s4
	v_mul_hi_u32 v5, s8, v2
	s_cmp_lg_u32 s26, s28
	v_sub_u32_e32 v1, v1, v3
	v_add_u32_e32 v3, v2, v5
	v_lshrrev_b32_e32 v3, s9, v3
	v_mul_lo_u32 v5, v1, s16
	v_mul_hi_u32 v1, s11, v3
	v_mul_lo_u32 v10, v3, s7
	v_add_u32_e32 v1, v3, v1
	v_lshrrev_b32_e32 v7, s12, v1
	v_mul_hi_u32 v1, s14, v7
	v_sub_u32_e32 v2, v2, v10
	v_mul_lo_u32 v10, v7, s10
	v_mul_lo_u32 v2, v2, s17
	v_add_u32_e32 v1, v7, v1
	v_lshrrev_b32_e32 v1, s15, v1
	v_mul_lo_u32 v11, v1, s13
	v_sub_u32_e32 v3, v3, v10
	v_mul_lo_u32 v3, v3, s18
	v_add3_u32 v2, v5, v4, v2
	v_sub_u32_e32 v7, v7, v11
	v_mul_lo_u32 v7, v7, s19
	v_add3_u32 v4, v3, v2, v7
	s_cbranch_scc1 .LBB31_481
; %bb.482:
	s_and_b32 s6, s27, 3
	s_cmp_eq_u32 s6, 0
	s_cbranch_scc0 .LBB31_486
	s_branch .LBB31_488
.LBB31_483:
                                        ; implicit-def: $vgpr4
	s_branch .LBB31_489
.LBB31_484:
	v_mov_b32_e32 v4, 0
	s_branch .LBB31_488
.LBB31_485:
	v_mov_b32_e32 v4, 0
	v_mov_b32_e32 v1, v0
	s_and_b32 s6, s27, 3
	s_cmp_eq_u32 s6, 0
	s_cbranch_scc1 .LBB31_488
.LBB31_486:
	s_lshl_b32 s2, s26, 2
	s_add_u32 s2, s34, s2
	s_addc_u32 s3, s35, 0
	s_add_u32 s2, s2, 0xc4
	s_addc_u32 s3, s3, 0
	s_mul_i32 s4, s26, 12
	s_add_u32 s4, s34, s4
	s_addc_u32 s5, s35, 0
.LBB31_487:                             ; =>This Inner Loop Header: Depth=1
	s_load_dwordx2 s[8:9], s[4:5], 0x4
	s_load_dword s7, s[4:5], 0xc
	s_add_u32 s4, s4, 12
	s_addc_u32 s5, s5, 0
	s_waitcnt lgkmcnt(0)
	v_mul_hi_u32 v2, s9, v1
	s_load_dword s9, s[2:3], 0x0
	s_add_u32 s2, s2, 4
	s_addc_u32 s3, s3, 0
	v_add_u32_e32 v2, v1, v2
	v_lshrrev_b32_e32 v2, s7, v2
	v_mul_lo_u32 v3, v2, s8
	s_add_i32 s6, s6, -1
	s_cmp_lg_u32 s6, 0
	v_sub_u32_e32 v1, v1, v3
	s_waitcnt lgkmcnt(0)
	v_mad_u64_u32 v[4:5], s[8:9], v1, s9, v[4:5]
	v_mov_b32_e32 v1, v2
	s_cbranch_scc1 .LBB31_487
.LBB31_488:
	s_cbranch_execnz .LBB31_491
.LBB31_489:
	s_load_dwordx4 s[4:7], s[34:35], 0x4
	s_load_dword s2, s[34:35], 0xc4
	s_cmp_lt_u32 s33, 2
	s_waitcnt lgkmcnt(0)
	v_mul_hi_u32 v1, s5, v0
	v_add_u32_e32 v1, v0, v1
	v_lshrrev_b32_e32 v1, s6, v1
	v_mul_lo_u32 v2, v1, s4
	v_sub_u32_e32 v0, v0, v2
	v_mul_lo_u32 v4, v0, s2
	s_cbranch_scc1 .LBB31_491
; %bb.490:
	s_load_dwordx4 s[4:7], s[34:35], 0x10
	s_load_dword s2, s[34:35], 0xc8
	s_waitcnt lgkmcnt(0)
	v_mul_hi_u32 v0, s5, v1
	v_add_u32_e32 v0, v1, v0
	v_lshrrev_b32_e32 v0, s6, v0
	v_mul_lo_u32 v0, v0, s4
	v_sub_u32_e32 v0, v1, v0
	v_mad_u64_u32 v[4:5], s[2:3], v0, s2, v[4:5]
.LBB31_491:
	s_and_b64 vcc, exec, s[0:1]
	v_add_u32_e32 v0, 0x100, v8
	s_cbranch_vccnz .LBB31_497
; %bb.492:
	s_cmp_lg_u32 s33, 0
	s_mov_b32 s26, 0
	s_cbranch_scc0 .LBB31_498
; %bb.493:
	s_min_u32 s27, s80, 15
	s_add_i32 s27, s27, 1
	s_cmp_eq_u32 s80, 2
	s_cbranch_scc1 .LBB31_499
; %bb.494:
	s_and_b32 s26, s27, 28
	s_add_u32 s2, s34, 0xc4
	s_addc_u32 s3, s35, 0
	s_mov_b32 s28, 0
	v_mov_b32_e32 v2, 0
	s_mov_b64 s[24:25], s[34:35]
	v_mov_b32_e32 v1, v0
.LBB31_495:                             ; =>This Inner Loop Header: Depth=1
	s_load_dwordx8 s[4:11], s[24:25], 0x4
	s_load_dwordx4 s[12:15], s[24:25], 0x24
	s_load_dwordx4 s[16:19], s[2:3], 0x0
	s_add_u32 s24, s24, 48
	s_addc_u32 s25, s25, 0
	s_waitcnt lgkmcnt(0)
	v_mul_hi_u32 v3, s5, v1
	s_add_i32 s28, s28, 4
	s_add_u32 s2, s2, 16
	s_addc_u32 s3, s3, 0
	v_add_u32_e32 v3, v1, v3
	v_lshrrev_b32_e32 v3, s6, v3
	v_mul_lo_u32 v5, v3, s4
	v_mul_hi_u32 v7, s8, v3
	s_cmp_lg_u32 s26, s28
	v_sub_u32_e32 v1, v1, v5
	v_add_u32_e32 v5, v3, v7
	v_lshrrev_b32_e32 v5, s9, v5
	v_mul_lo_u32 v7, v1, s16
	v_mul_hi_u32 v1, s11, v5
	v_mul_lo_u32 v10, v5, s7
	v_add_u32_e32 v1, v5, v1
	v_lshrrev_b32_e32 v8, s12, v1
	v_mul_hi_u32 v1, s14, v8
	v_sub_u32_e32 v3, v3, v10
	v_mul_lo_u32 v10, v8, s10
	v_mul_lo_u32 v3, v3, s17
	v_add_u32_e32 v1, v8, v1
	v_lshrrev_b32_e32 v1, s15, v1
	v_mul_lo_u32 v11, v1, s13
	v_sub_u32_e32 v5, v5, v10
	v_mul_lo_u32 v5, v5, s18
	v_add3_u32 v2, v7, v2, v3
	v_sub_u32_e32 v8, v8, v11
	v_mul_lo_u32 v8, v8, s19
	v_add3_u32 v2, v5, v2, v8
	s_cbranch_scc1 .LBB31_495
; %bb.496:
	s_and_b32 s6, s27, 3
	s_cmp_eq_u32 s6, 0
	s_cbranch_scc0 .LBB31_500
	s_branch .LBB31_502
.LBB31_497:
                                        ; implicit-def: $vgpr2
	s_branch .LBB31_503
.LBB31_498:
	v_mov_b32_e32 v2, 0
	s_branch .LBB31_502
.LBB31_499:
	v_mov_b32_e32 v2, 0
	v_mov_b32_e32 v1, v0
	s_and_b32 s6, s27, 3
	s_cmp_eq_u32 s6, 0
	s_cbranch_scc1 .LBB31_502
.LBB31_500:
	s_lshl_b32 s2, s26, 2
	s_add_u32 s2, s34, s2
	s_addc_u32 s3, s35, 0
	s_add_u32 s2, s2, 0xc4
	s_addc_u32 s3, s3, 0
	s_mul_i32 s4, s26, 12
	s_add_u32 s4, s34, s4
	s_addc_u32 s5, s35, 0
.LBB31_501:                             ; =>This Inner Loop Header: Depth=1
	s_load_dwordx2 s[8:9], s[4:5], 0x4
	s_load_dword s7, s[4:5], 0xc
	s_add_u32 s4, s4, 12
	s_addc_u32 s5, s5, 0
	s_waitcnt lgkmcnt(0)
	v_mul_hi_u32 v3, s9, v1
	s_load_dword s9, s[2:3], 0x0
	s_add_u32 s2, s2, 4
	s_addc_u32 s3, s3, 0
	v_add_u32_e32 v3, v1, v3
	v_lshrrev_b32_e32 v5, s7, v3
	v_mul_lo_u32 v3, v5, s8
	s_add_i32 s6, s6, -1
	s_cmp_lg_u32 s6, 0
	v_sub_u32_e32 v1, v1, v3
	s_waitcnt lgkmcnt(0)
	v_mad_u64_u32 v[2:3], s[8:9], v1, s9, v[2:3]
	v_mov_b32_e32 v1, v5
	s_cbranch_scc1 .LBB31_501
.LBB31_502:
	s_cbranch_execnz .LBB31_505
.LBB31_503:
	s_load_dwordx4 s[4:7], s[34:35], 0x4
	s_load_dword s2, s[34:35], 0xc4
	s_cmp_lt_u32 s33, 2
	s_waitcnt lgkmcnt(0)
	v_mul_hi_u32 v1, s5, v0
	v_add_u32_e32 v1, v0, v1
	v_lshrrev_b32_e32 v1, s6, v1
	v_mul_lo_u32 v2, v1, s4
	v_sub_u32_e32 v0, v0, v2
	v_mul_lo_u32 v2, v0, s2
	s_cbranch_scc1 .LBB31_505
; %bb.504:
	s_load_dwordx4 s[4:7], s[34:35], 0x10
	s_load_dword s2, s[34:35], 0xc8
	s_waitcnt lgkmcnt(0)
	v_mul_hi_u32 v0, s5, v1
	v_add_u32_e32 v0, v1, v0
	v_lshrrev_b32_e32 v0, s6, v0
	v_mul_lo_u32 v0, v0, s4
	v_sub_u32_e32 v0, v1, v0
	v_mad_u64_u32 v[2:3], s[2:3], v0, s2, v[2:3]
.LBB31_505:
	s_and_b64 vcc, exec, s[0:1]
	s_cbranch_vccnz .LBB31_511
; %bb.506:
	s_cmp_lg_u32 s33, 0
	s_mov_b32 s24, 0
	s_cbranch_scc0 .LBB31_512
; %bb.507:
	s_min_u32 s25, s80, 15
	s_add_i32 s25, s25, 1
	s_cmp_eq_u32 s80, 2
	s_cbranch_scc1 .LBB31_513
; %bb.508:
	s_and_b32 s24, s25, 28
	s_add_u32 s16, s34, 0xc4
	s_addc_u32 s17, s35, 0
	s_mov_b32 s26, 0
	v_mov_b32_e32 v0, 0
	s_mov_b64 s[18:19], s[34:35]
	v_mov_b32_e32 v1, v9
.LBB31_509:                             ; =>This Inner Loop Header: Depth=1
	s_load_dwordx8 s[0:7], s[18:19], 0x4
	s_load_dwordx4 s[8:11], s[18:19], 0x24
	s_load_dwordx4 s[12:15], s[16:17], 0x0
	s_add_u32 s18, s18, 48
	s_addc_u32 s19, s19, 0
	s_waitcnt lgkmcnt(0)
	v_mul_hi_u32 v3, s1, v1
	s_add_i32 s26, s26, 4
	s_add_u32 s16, s16, 16
	s_addc_u32 s17, s17, 0
	v_add_u32_e32 v3, v1, v3
	v_lshrrev_b32_e32 v3, s2, v3
	v_mul_lo_u32 v5, v3, s0
	v_mul_hi_u32 v7, s4, v3
	s_cmp_lg_u32 s24, s26
	v_sub_u32_e32 v1, v1, v5
	v_add_u32_e32 v5, v3, v7
	v_lshrrev_b32_e32 v5, s5, v5
	v_mul_lo_u32 v7, v1, s12
	v_mul_hi_u32 v1, s7, v5
	v_mul_lo_u32 v10, v5, s3
	v_add_u32_e32 v1, v5, v1
	v_lshrrev_b32_e32 v8, s8, v1
	v_mul_hi_u32 v1, s10, v8
	v_sub_u32_e32 v3, v3, v10
	v_mul_lo_u32 v10, v8, s6
	v_mul_lo_u32 v3, v3, s13
	v_add_u32_e32 v1, v8, v1
	v_lshrrev_b32_e32 v1, s11, v1
	v_mul_lo_u32 v11, v1, s9
	v_sub_u32_e32 v5, v5, v10
	v_mul_lo_u32 v5, v5, s14
	v_add3_u32 v0, v7, v0, v3
	v_sub_u32_e32 v8, v8, v11
	v_mul_lo_u32 v8, v8, s15
	v_add3_u32 v0, v5, v0, v8
	s_cbranch_scc1 .LBB31_509
; %bb.510:
	s_and_b32 s4, s25, 3
	s_cmp_eq_u32 s4, 0
	s_cbranch_scc0 .LBB31_514
	s_branch .LBB31_516
.LBB31_511:
                                        ; implicit-def: $vgpr0
	s_branch .LBB31_517
.LBB31_512:
	v_mov_b32_e32 v0, 0
	s_branch .LBB31_516
.LBB31_513:
	v_mov_b32_e32 v0, 0
	v_mov_b32_e32 v1, v9
	s_and_b32 s4, s25, 3
	s_cmp_eq_u32 s4, 0
	s_cbranch_scc1 .LBB31_516
.LBB31_514:
	s_lshl_b32 s0, s24, 2
	s_add_u32 s0, s34, s0
	s_addc_u32 s1, s35, 0
	s_add_u32 s0, s0, 0xc4
	s_addc_u32 s1, s1, 0
	s_mul_i32 s2, s24, 12
	s_add_u32 s2, s34, s2
	s_addc_u32 s3, s35, 0
.LBB31_515:                             ; =>This Inner Loop Header: Depth=1
	s_load_dwordx2 s[6:7], s[2:3], 0x4
	s_load_dword s5, s[2:3], 0xc
	s_add_u32 s2, s2, 12
	s_addc_u32 s3, s3, 0
	s_waitcnt lgkmcnt(0)
	v_mul_hi_u32 v3, s7, v1
	s_load_dword s7, s[0:1], 0x0
	s_add_u32 s0, s0, 4
	s_addc_u32 s1, s1, 0
	v_add_u32_e32 v3, v1, v3
	v_lshrrev_b32_e32 v3, s5, v3
	v_mul_lo_u32 v5, v3, s6
	s_add_i32 s4, s4, -1
	s_cmp_lg_u32 s4, 0
	v_sub_u32_e32 v1, v1, v5
	s_waitcnt lgkmcnt(0)
	v_mad_u64_u32 v[0:1], s[6:7], v1, s7, v[0:1]
	v_mov_b32_e32 v1, v3
	s_cbranch_scc1 .LBB31_515
.LBB31_516:
	s_cbranch_execnz .LBB31_519
.LBB31_517:
	s_load_dwordx4 s[0:3], s[34:35], 0x4
	s_waitcnt lgkmcnt(0)
	s_load_dword s3, s[34:35], 0xc4
	s_cmp_lt_u32 s33, 2
	v_mul_hi_u32 v0, s1, v9
	v_add_u32_e32 v0, v9, v0
	v_lshrrev_b32_e32 v1, s2, v0
	v_mul_lo_u32 v0, v1, s0
	v_sub_u32_e32 v0, v9, v0
	s_waitcnt lgkmcnt(0)
	v_mul_lo_u32 v0, v0, s3
	s_cbranch_scc1 .LBB31_519
; %bb.518:
	s_load_dwordx4 s[0:3], s[34:35], 0x10
	s_waitcnt lgkmcnt(0)
	s_load_dword s3, s[34:35], 0xc8
	v_mul_hi_u32 v3, s1, v1
	v_add_u32_e32 v3, v1, v3
	v_lshrrev_b32_e32 v3, s2, v3
	v_mul_lo_u32 v3, v3, s0
	v_sub_u32_e32 v1, v1, v3
	s_waitcnt lgkmcnt(0)
	v_mad_u64_u32 v[0:1], s[0:1], v1, s3, v[0:1]
.LBB31_519:
	s_load_dwordx4 s[0:3], s[34:35], 0x108
	s_load_dword s4, s[34:35], 0x118
	s_waitcnt lgkmcnt(0)
	v_mov_b32_e32 v1, s1
	s_and_b32 s14, s4, 0xff
	v_add_co_u32_e32 v5, vcc, s0, v6
	s_cmp_lt_i32 s14, 11
	v_addc_co_u32_e32 v6, vcc, 0, v1, vcc
	s_cbranch_scc1 .LBB31_547
; %bb.520:
	s_and_b32 s12, 0xffff, s14
	s_mov_b64 s[10:11], -1
	s_mov_b64 s[6:7], 0
	s_cmp_gt_i32 s12, 25
	s_mov_b64 s[8:9], 0
	s_mov_b64 s[4:5], 0
	s_cbranch_scc0 .LBB31_557
; %bb.521:
	s_cmp_gt_i32 s12, 28
	s_cbranch_scc0 .LBB31_536
; %bb.522:
	s_cmp_gt_i32 s12, 43
	;; [unrolled: 3-line block ×3, first 2 shown]
	s_cbranch_scc0 .LBB31_526
; %bb.524:
	s_mov_b64 s[4:5], -1
	s_mov_b64 s[10:11], 0
	s_cmp_eq_u32 s12, 46
	s_cbranch_scc0 .LBB31_526
; %bb.525:
	s_xor_b32 s5, s2, s3
	s_flbit_i32 s4, s3
	s_ashr_i32 s5, s5, 31
	s_add_i32 s4, s4, -1
	s_add_i32 s5, s5, 32
	s_min_u32 s8, s4, s5
	s_lshl_b64 s[4:5], s[2:3], s8
	s_min_u32 s4, s4, 1
	s_or_b32 s4, s5, s4
	v_cvt_f32_i32_e32 v1, s4
	s_sub_i32 s4, 32, s8
	s_mov_b64 s[8:9], -1
	v_ldexp_f32 v1, v1, s4
	v_bfe_u32 v3, v1, 16, 1
	v_add_u32_e32 v1, v1, v3
	v_add_u32_e32 v1, 0x7fff, v1
	v_lshrrev_b32_e32 v1, 16, v1
	global_store_dword v[5:6], v1, off
	s_mov_b64 s[4:5], 0
.LBB31_526:
	s_and_b64 vcc, exec, s[10:11]
	s_cbranch_vccz .LBB31_531
; %bb.527:
	s_cmp_eq_u32 s12, 44
	s_mov_b64 s[4:5], -1
	s_cbranch_scc0 .LBB31_531
; %bb.528:
	s_xor_b32 s5, s2, s3
	s_flbit_i32 s4, s3
	s_ashr_i32 s5, s5, 31
	s_add_i32 s4, s4, -1
	s_add_i32 s5, s5, 32
	s_min_u32 s8, s4, s5
	s_lshl_b64 s[4:5], s[2:3], s8
	s_min_u32 s4, s4, 1
	s_or_b32 s4, s5, s4
	v_cvt_f32_i32_e32 v1, s4
	s_sub_i32 s4, 32, s8
	v_mov_b32_e32 v3, 0xff
	v_ldexp_f32 v1, v1, s4
	v_readfirstlane_b32 s4, v1
	s_bfe_u32 s5, s4, 0x80017
	s_cmpk_eq_i32 s5, 0xff
	s_cbranch_scc1 .LBB31_530
; %bb.529:
	s_bitcmp1_b32 s4, 22
	s_cselect_b64 s[8:9], -1, 0
	s_and_b32 s4, s4, 0x3fffff
	s_or_b32 s4, s5, s4
	s_cmp_lg_u32 s4, 0
	s_cselect_b64 s[4:5], -1, 0
	s_and_b64 s[4:5], s[8:9], s[4:5]
	v_lshrrev_b32_e32 v1, 23, v1
	v_cndmask_b32_e64 v3, 0, 1, s[4:5]
	v_add_u32_e32 v3, v1, v3
.LBB31_530:
	s_mov_b64 s[4:5], 0
	s_mov_b64 s[8:9], -1
	global_store_byte v[5:6], v3, off
.LBB31_531:
	s_mov_b64 s[10:11], 0
.LBB31_532:
	s_and_b64 vcc, exec, s[10:11]
	s_cbranch_vccz .LBB31_535
; %bb.533:
	s_cmp_eq_u32 s12, 29
	s_mov_b64 s[4:5], -1
	s_cbranch_scc0 .LBB31_535
; %bb.534:
	v_mov_b32_e32 v8, s3
	v_mov_b32_e32 v7, s2
	global_store_dwordx2 v[5:6], v[7:8], off
	s_mov_b64 s[4:5], 0
	s_mov_b64 s[8:9], -1
.LBB31_535:
	s_mov_b64 s[10:11], 0
.LBB31_536:
	s_and_b64 vcc, exec, s[10:11]
	s_cbranch_vccz .LBB31_556
; %bb.537:
	s_cmp_lt_i32 s12, 27
	s_mov_b64 s[8:9], -1
	s_cbranch_scc1 .LBB31_543
; %bb.538:
	s_cmp_gt_i32 s12, 27
	s_cbranch_scc0 .LBB31_540
; %bb.539:
	v_mov_b32_e32 v1, s2
	s_mov_b64 s[8:9], 0
	global_store_dword v[5:6], v1, off
.LBB31_540:
	s_andn2_b64 vcc, exec, s[8:9]
	s_cbranch_vccnz .LBB31_542
; %bb.541:
	v_mov_b32_e32 v1, s2
	global_store_short v[5:6], v1, off
.LBB31_542:
	s_mov_b64 s[8:9], 0
.LBB31_543:
	s_andn2_b64 vcc, exec, s[8:9]
	s_cbranch_vccnz .LBB31_555
; %bb.544:
	s_xor_b32 s9, s2, s3
	s_flbit_i32 s8, s3
	s_ashr_i32 s9, s9, 31
	s_add_i32 s8, s8, -1
	s_add_i32 s9, s9, 32
	s_min_u32 s10, s8, s9
	s_lshl_b64 s[8:9], s[2:3], s10
	s_min_u32 s8, s8, 1
	s_or_b32 s8, s9, s8
	v_cvt_f32_i32_e32 v1, s8
	s_sub_i32 s8, 32, s10
	v_mov_b32_e32 v3, 0x80
	v_ldexp_f32 v1, v1, s8
	v_readfirstlane_b32 s13, v1
	s_and_b32 s8, s13, 0x7fffffff
	s_cmp_gt_u32 s8, 0x437fffff
	s_cbranch_scc1 .LBB31_554
; %bb.545:
	s_cmp_gt_u32 s8, 0x3bffffff
	s_cbranch_scc0 .LBB31_549
; %bb.546:
	s_bfe_u32 s8, s13, 0x10014
	s_add_i32 s8, s13, s8
	s_add_i32 s8, s8, 0x487ffff
	s_lshr_b32 s15, s8, 20
	s_mov_b64 s[10:11], 0
	s_mov_b64 s[8:9], -1
	s_branch .LBB31_550
.LBB31_547:
	s_mov_b64 s[8:9], 0
	s_mov_b64 s[4:5], s[20:21]
	s_cbranch_execnz .LBB31_607
.LBB31_548:
	s_andn2_b64 vcc, exec, s[8:9]
	s_cbranch_vccz .LBB31_645
	s_branch .LBB31_943
.LBB31_549:
	s_mov_b64 s[10:11], -1
	s_mov_b64 s[8:9], 0
                                        ; implicit-def: $sgpr15
.LBB31_550:
	s_andn2_b64 vcc, exec, s[10:11]
	v_mov_b32_e32 v1, s15
	s_cbranch_vccnz .LBB31_552
; %bb.551:
	v_mov_b32_e32 v1, 0x46000000
	v_add_f32_e64 v1, |s13|, v1
	v_and_b32_e32 v1, 0xff, v1
	v_cmp_ne_u32_e64 s[8:9], 0, v1
.LBB31_552:
	s_andn2_b64 vcc, exec, s[8:9]
	v_mov_b32_e32 v3, 0
	s_cbranch_vccnz .LBB31_554
; %bb.553:
	s_lshr_b32 s8, s13, 24
	s_and_b32 s8, s8, 0x80
	v_or_b32_e32 v3, s8, v1
.LBB31_554:
	global_store_byte v[5:6], v3, off
.LBB31_555:
	s_mov_b64 s[8:9], -1
.LBB31_556:
	s_mov_b64 s[10:11], 0
.LBB31_557:
	s_and_b64 vcc, exec, s[10:11]
	s_cbranch_vccz .LBB31_603
; %bb.558:
	s_cmp_gt_i32 s12, 22
	s_mov_b64 s[6:7], -1
	s_cbranch_scc0 .LBB31_596
; %bb.559:
	s_cmp_lt_i32 s12, 24
	s_cbranch_scc1 .LBB31_583
; %bb.560:
	s_cmp_gt_i32 s12, 24
	s_cbranch_scc0 .LBB31_570
; %bb.561:
	s_xor_b32 s7, s2, s3
	s_flbit_i32 s6, s3
	s_ashr_i32 s7, s7, 31
	s_add_i32 s6, s6, -1
	s_add_i32 s7, s7, 32
	s_min_u32 s8, s6, s7
	s_lshl_b64 s[6:7], s[2:3], s8
	s_min_u32 s6, s6, 1
	s_or_b32 s6, s7, s6
	v_cvt_f32_i32_e32 v1, s6
	s_sub_i32 s6, 32, s8
	v_mov_b32_e32 v3, 0x80
	v_ldexp_f32 v1, v1, s6
	v_readfirstlane_b32 s10, v1
	s_and_b32 s6, s10, 0x7fffffff
	s_cmp_gt_u32 s6, 0x477fffff
	s_cbranch_scc1 .LBB31_569
; %bb.562:
	s_cmp_gt_u32 s6, 0x37ffffff
	s_cbranch_scc0 .LBB31_564
; %bb.563:
	s_bfe_u32 s6, s10, 0x10015
	s_add_i32 s6, s10, s6
	s_add_i32 s6, s6, 0x88fffff
	s_lshr_b32 s11, s6, 21
	s_mov_b64 s[8:9], 0
	s_mov_b64 s[6:7], -1
	s_branch .LBB31_565
.LBB31_564:
	s_mov_b64 s[8:9], -1
	s_mov_b64 s[6:7], 0
                                        ; implicit-def: $sgpr11
.LBB31_565:
	s_andn2_b64 vcc, exec, s[8:9]
	v_mov_b32_e32 v1, s11
	s_cbranch_vccnz .LBB31_567
; %bb.566:
	v_mov_b32_e32 v1, 0x42800000
	v_add_f32_e64 v1, |s10|, v1
	v_and_b32_e32 v1, 0xff, v1
	v_cmp_ne_u32_e64 s[6:7], 0, v1
.LBB31_567:
	s_andn2_b64 vcc, exec, s[6:7]
	v_mov_b32_e32 v3, 0
	s_cbranch_vccnz .LBB31_569
; %bb.568:
	s_lshr_b32 s6, s10, 24
	s_and_b32 s6, s6, 0x80
	v_or_b32_e32 v3, s6, v1
.LBB31_569:
	s_mov_b64 s[6:7], 0
	global_store_byte v[5:6], v3, off
.LBB31_570:
	s_and_b64 vcc, exec, s[6:7]
	s_cbranch_vccz .LBB31_582
; %bb.571:
	s_xor_b32 s7, s2, s3
	s_flbit_i32 s6, s3
	s_ashr_i32 s7, s7, 31
	s_add_i32 s6, s6, -1
	s_add_i32 s7, s7, 32
	s_min_u32 s8, s6, s7
	s_lshl_b64 s[6:7], s[2:3], s8
	s_min_u32 s6, s6, 1
	s_or_b32 s6, s7, s6
	v_cvt_f32_i32_e32 v1, s6
	s_sub_i32 s6, 32, s8
	v_ldexp_f32 v1, v1, s6
	v_readfirstlane_b32 s8, v1
	s_and_b32 s9, s8, 0x7fffffff
	s_cmp_lt_u32 s9, 0x43f00000
	s_cbranch_scc0 .LBB31_574
; %bb.572:
	s_cmp_gt_u32 s9, 0x3c7fffff
	s_cbranch_scc0 .LBB31_575
; %bb.573:
	s_bfe_u32 s6, s8, 0x10014
	s_add_i32 s6, s8, s6
	s_add_i32 s6, s6, 0x407ffff
	s_lshr_b32 s7, s6, 20
	s_and_b32 s6, s6, 0xff00000
	s_cmp_lg_u32 s6, 0x7f00000
	s_cselect_b32 s10, s7, 0x7e
	s_mov_b64 s[6:7], 0
	s_branch .LBB31_576
.LBB31_574:
	s_mov_b64 s[6:7], -1
                                        ; implicit-def: $vgpr3
	s_branch .LBB31_579
.LBB31_575:
	s_mov_b64 s[6:7], -1
                                        ; implicit-def: $sgpr10
.LBB31_576:
	s_andn2_b64 vcc, exec, s[6:7]
	v_mov_b32_e32 v3, s10
	s_cbranch_vccnz .LBB31_578
; %bb.577:
	s_mov_b32 s6, 0x46800000
	v_add_f32_e64 v3, |v1|, s6
.LBB31_578:
	s_mov_b64 s[6:7], 0
.LBB31_579:
	s_andn2_b64 vcc, exec, s[6:7]
	s_cbranch_vccnz .LBB31_581
; %bb.580:
	s_cmp_gt_u32 s9, 0x7f800000
	s_movk_i32 s6, 0x7f
	s_cselect_b32 s6, s6, 0x7e
	v_mov_b32_e32 v3, s6
.LBB31_581:
	s_lshr_b32 s6, s8, 24
	s_and_b32 s6, s6, 0x80
	v_or_b32_e32 v1, s6, v3
	global_store_byte v[5:6], v1, off
.LBB31_582:
	s_mov_b64 s[6:7], 0
.LBB31_583:
	s_andn2_b64 vcc, exec, s[6:7]
	s_cbranch_vccnz .LBB31_595
; %bb.584:
	s_xor_b32 s7, s2, s3
	s_flbit_i32 s6, s3
	s_ashr_i32 s7, s7, 31
	s_add_i32 s6, s6, -1
	s_add_i32 s7, s7, 32
	s_min_u32 s8, s6, s7
	s_lshl_b64 s[6:7], s[2:3], s8
	s_min_u32 s6, s6, 1
	s_or_b32 s6, s7, s6
	v_cvt_f32_i32_e32 v1, s6
	s_sub_i32 s6, 32, s8
	v_ldexp_f32 v1, v1, s6
	v_readfirstlane_b32 s8, v1
	s_and_b32 s9, s8, 0x7fffffff
	s_cmp_lt_u32 s9, 0x47800000
	s_cbranch_scc0 .LBB31_587
; %bb.585:
	s_cmp_gt_u32 s9, 0x387fffff
	s_cbranch_scc0 .LBB31_588
; %bb.586:
	s_bfe_u32 s6, s8, 0x10015
	s_add_i32 s6, s8, s6
	s_add_i32 s6, s6, 0x80fffff
	s_lshr_b32 s10, s6, 21
	s_mov_b64 s[6:7], 0
	s_branch .LBB31_589
.LBB31_587:
	s_mov_b64 s[6:7], -1
                                        ; implicit-def: $vgpr3
	s_branch .LBB31_592
.LBB31_588:
	s_mov_b64 s[6:7], -1
                                        ; implicit-def: $sgpr10
.LBB31_589:
	s_andn2_b64 vcc, exec, s[6:7]
	v_mov_b32_e32 v3, s10
	s_cbranch_vccnz .LBB31_591
; %bb.590:
	s_mov_b32 s6, 0x43000000
	v_add_f32_e64 v3, |v1|, s6
.LBB31_591:
	s_mov_b64 s[6:7], 0
.LBB31_592:
	s_andn2_b64 vcc, exec, s[6:7]
	s_cbranch_vccnz .LBB31_594
; %bb.593:
	s_cmp_gt_u32 s9, 0x7f800000
	s_movk_i32 s6, 0x7f
	s_cselect_b32 s6, s6, 0x7c
	v_mov_b32_e32 v3, s6
.LBB31_594:
	s_lshr_b32 s6, s8, 24
	s_and_b32 s6, s6, 0x80
	v_or_b32_e32 v1, s6, v3
	global_store_byte v[5:6], v1, off
.LBB31_595:
	s_mov_b64 s[6:7], 0
	s_mov_b64 s[8:9], -1
.LBB31_596:
	s_andn2_b64 vcc, exec, s[6:7]
	s_mov_b64 s[6:7], 0
	s_cbranch_vccnz .LBB31_603
; %bb.597:
	s_cmp_gt_i32 s12, 14
	s_mov_b64 s[10:11], -1
	s_cbranch_scc0 .LBB31_601
; %bb.598:
	s_cmp_eq_u32 s12, 15
	s_mov_b64 s[4:5], -1
	s_cbranch_scc0 .LBB31_600
; %bb.599:
	s_xor_b32 s5, s2, s3
	s_flbit_i32 s4, s3
	s_ashr_i32 s5, s5, 31
	s_add_i32 s4, s4, -1
	s_add_i32 s5, s5, 32
	s_min_u32 s6, s4, s5
	s_lshl_b64 s[4:5], s[2:3], s6
	s_min_u32 s4, s4, 1
	s_or_b32 s4, s5, s4
	v_cvt_f32_i32_e32 v1, s4
	s_sub_i32 s4, 32, s6
	s_mov_b64 s[8:9], -1
	v_ldexp_f32 v1, v1, s4
	v_bfe_u32 v3, v1, 16, 1
	v_add_u32_e32 v1, v1, v3
	v_add_u32_e32 v1, 0x7fff, v1
	global_store_short_d16_hi v[5:6], v1, off
	s_mov_b64 s[4:5], 0
.LBB31_600:
	s_mov_b64 s[10:11], 0
.LBB31_601:
	s_mov_b64 s[6:7], 0
	s_and_b64 vcc, exec, s[10:11]
	s_cbranch_vccz .LBB31_603
; %bb.602:
	s_cmp_lg_u32 s12, 11
	s_mov_b64 s[6:7], -1
	s_cselect_b64 s[4:5], -1, 0
.LBB31_603:
	s_and_b64 vcc, exec, s[4:5]
	s_mov_b64 s[4:5], s[20:21]
	s_cbranch_vccnz .LBB31_675
; %bb.604:
	s_andn2_b64 vcc, exec, s[6:7]
	s_cbranch_vccnz .LBB31_606
.LBB31_605:
	s_cmp_lg_u64 s[2:3], 0
	s_cselect_b64 s[6:7], -1, 0
	v_cndmask_b32_e64 v1, 0, 1, s[6:7]
	global_store_byte v[5:6], v1, off
	s_mov_b64 s[8:9], -1
.LBB31_606:
	s_branch .LBB31_548
.LBB31_607:
	s_and_b32 s8, 0xffff, s14
	s_cmp_lt_i32 s8, 5
	s_mov_b64 s[6:7], -1
	s_cbranch_scc1 .LBB31_628
; %bb.608:
	s_cmp_lt_i32 s8, 8
	s_cbranch_scc1 .LBB31_618
; %bb.609:
	s_cmp_lt_i32 s8, 9
	s_cbranch_scc1 .LBB31_615
; %bb.610:
	s_cmp_gt_i32 s8, 9
	s_cbranch_scc0 .LBB31_612
; %bb.611:
	v_cvt_f64_i32_e32 v[7:8], s3
	v_cvt_f64_u32_e32 v[9:10], s2
	s_mov_b64 s[6:7], 0
	v_ldexp_f64 v[7:8], v[7:8], 32
	v_add_f64 v[7:8], v[7:8], v[9:10]
	v_mov_b32_e32 v9, 0
	v_mov_b32_e32 v10, v9
	global_store_dwordx4 v[5:6], v[7:10], off
.LBB31_612:
	s_andn2_b64 vcc, exec, s[6:7]
	s_cbranch_vccnz .LBB31_614
; %bb.613:
	s_xor_b32 s7, s2, s3
	s_flbit_i32 s6, s3
	s_ashr_i32 s7, s7, 31
	s_add_i32 s6, s6, -1
	s_add_i32 s7, s7, 32
	s_min_u32 s9, s6, s7
	s_lshl_b64 s[6:7], s[2:3], s9
	s_min_u32 s6, s6, 1
	s_or_b32 s6, s7, s6
	v_cvt_f32_i32_e32 v1, s6
	s_sub_i32 s6, 32, s9
	v_mov_b32_e32 v8, 0
	v_ldexp_f32 v7, v1, s6
	global_store_dwordx2 v[5:6], v[7:8], off
.LBB31_614:
	s_mov_b64 s[6:7], 0
.LBB31_615:
	s_andn2_b64 vcc, exec, s[6:7]
	s_cbranch_vccnz .LBB31_617
; %bb.616:
	s_xor_b32 s7, s2, s3
	s_flbit_i32 s6, s3
	s_ashr_i32 s7, s7, 31
	s_add_i32 s6, s6, -1
	s_add_i32 s7, s7, 32
	s_min_u32 s9, s6, s7
	s_lshl_b64 s[6:7], s[2:3], s9
	s_min_u32 s6, s6, 1
	s_or_b32 s6, s7, s6
	v_cvt_f32_i32_e32 v1, s6
	s_sub_i32 s6, 32, s9
	v_ldexp_f32 v1, v1, s6
	v_cvt_f16_f32_e32 v1, v1
	global_store_dword v[5:6], v1, off
.LBB31_617:
	s_mov_b64 s[6:7], 0
.LBB31_618:
	s_andn2_b64 vcc, exec, s[6:7]
	s_cbranch_vccnz .LBB31_627
; %bb.619:
	s_cmp_lt_i32 s8, 6
	s_mov_b64 s[6:7], -1
	s_cbranch_scc1 .LBB31_625
; %bb.620:
	s_cmp_gt_i32 s8, 6
	s_cbranch_scc0 .LBB31_622
; %bb.621:
	v_cvt_f64_i32_e32 v[7:8], s3
	v_cvt_f64_u32_e32 v[9:10], s2
	s_mov_b64 s[6:7], 0
	v_ldexp_f64 v[7:8], v[7:8], 32
	v_add_f64 v[7:8], v[7:8], v[9:10]
	global_store_dwordx2 v[5:6], v[7:8], off
.LBB31_622:
	s_andn2_b64 vcc, exec, s[6:7]
	s_cbranch_vccnz .LBB31_624
; %bb.623:
	s_xor_b32 s7, s2, s3
	s_flbit_i32 s6, s3
	s_ashr_i32 s7, s7, 31
	s_add_i32 s6, s6, -1
	s_add_i32 s7, s7, 32
	s_min_u32 s9, s6, s7
	s_lshl_b64 s[6:7], s[2:3], s9
	s_min_u32 s6, s6, 1
	s_or_b32 s6, s7, s6
	v_cvt_f32_i32_e32 v1, s6
	s_sub_i32 s6, 32, s9
	v_ldexp_f32 v1, v1, s6
	global_store_dword v[5:6], v1, off
.LBB31_624:
	s_mov_b64 s[6:7], 0
.LBB31_625:
	s_andn2_b64 vcc, exec, s[6:7]
	s_cbranch_vccnz .LBB31_627
; %bb.626:
	s_xor_b32 s7, s2, s3
	s_flbit_i32 s6, s3
	s_ashr_i32 s7, s7, 31
	s_add_i32 s6, s6, -1
	s_add_i32 s7, s7, 32
	s_min_u32 s9, s6, s7
	s_lshl_b64 s[6:7], s[2:3], s9
	s_min_u32 s6, s6, 1
	s_or_b32 s6, s7, s6
	v_cvt_f32_i32_e32 v1, s6
	s_sub_i32 s6, 32, s9
	v_ldexp_f32 v1, v1, s6
	v_cvt_f16_f32_e32 v1, v1
	global_store_short v[5:6], v1, off
.LBB31_627:
	s_mov_b64 s[6:7], 0
.LBB31_628:
	s_andn2_b64 vcc, exec, s[6:7]
	s_cbranch_vccnz .LBB31_644
; %bb.629:
	s_cmp_lt_i32 s8, 2
	s_mov_b64 s[6:7], -1
	s_cbranch_scc1 .LBB31_639
; %bb.630:
	s_cmp_lt_i32 s8, 3
	s_cbranch_scc1 .LBB31_636
; %bb.631:
	s_cmp_gt_i32 s8, 3
	s_cbranch_scc0 .LBB31_633
; %bb.632:
	v_mov_b32_e32 v8, s3
	v_mov_b32_e32 v7, s2
	global_store_dwordx2 v[5:6], v[7:8], off
	s_mov_b64 s[6:7], 0
.LBB31_633:
	s_andn2_b64 vcc, exec, s[6:7]
	s_cbranch_vccnz .LBB31_635
; %bb.634:
	v_mov_b32_e32 v1, s2
	global_store_dword v[5:6], v1, off
.LBB31_635:
	s_mov_b64 s[6:7], 0
.LBB31_636:
	s_andn2_b64 vcc, exec, s[6:7]
	s_cbranch_vccnz .LBB31_638
; %bb.637:
	v_mov_b32_e32 v1, s2
	global_store_short v[5:6], v1, off
.LBB31_638:
	s_mov_b64 s[6:7], 0
.LBB31_639:
	s_andn2_b64 vcc, exec, s[6:7]
	s_cbranch_vccnz .LBB31_644
; %bb.640:
	s_cmp_gt_i32 s8, 0
	s_mov_b64 s[6:7], -1
	s_cbranch_scc0 .LBB31_642
; %bb.641:
	v_mov_b32_e32 v1, s2
	global_store_byte v[5:6], v1, off
	s_mov_b64 s[6:7], 0
.LBB31_642:
	s_andn2_b64 vcc, exec, s[6:7]
	s_cbranch_vccnz .LBB31_644
; %bb.643:
	v_mov_b32_e32 v1, s2
	global_store_byte v[5:6], v1, off
.LBB31_644:
.LBB31_645:
	v_mov_b32_e32 v1, s1
	s_and_b32 s15, 0xffff, s14
	v_add_co_u32_e32 v3, vcc, s0, v4
	s_cmp_lt_i32 s15, 11
	v_addc_co_u32_e32 v4, vcc, 0, v1, vcc
	s_cbranch_scc1 .LBB31_673
; %bb.646:
	s_mov_b64 s[12:13], -1
	s_mov_b64 s[8:9], 0
	s_cmp_gt_i32 s15, 25
	s_mov_b64 s[10:11], 0
	s_mov_b64 s[6:7], 0
	s_cbranch_scc0 .LBB31_684
; %bb.647:
	s_cmp_gt_i32 s15, 28
	s_cbranch_scc0 .LBB31_662
; %bb.648:
	s_cmp_gt_i32 s15, 43
	s_cbranch_scc0 .LBB31_658
; %bb.649:
	s_cmp_gt_i32 s15, 45
	s_cbranch_scc0 .LBB31_652
; %bb.650:
	s_mov_b64 s[6:7], -1
	s_mov_b64 s[12:13], 0
	s_cmp_eq_u32 s15, 46
	s_cbranch_scc0 .LBB31_652
; %bb.651:
	s_xor_b32 s7, s2, s3
	s_flbit_i32 s6, s3
	s_ashr_i32 s7, s7, 31
	s_add_i32 s6, s6, -1
	s_add_i32 s7, s7, 32
	s_min_u32 s10, s6, s7
	s_lshl_b64 s[6:7], s[2:3], s10
	s_min_u32 s6, s6, 1
	s_or_b32 s6, s7, s6
	v_cvt_f32_i32_e32 v1, s6
	s_sub_i32 s6, 32, s10
	s_mov_b64 s[10:11], -1
	v_ldexp_f32 v1, v1, s6
	v_bfe_u32 v5, v1, 16, 1
	v_add_u32_e32 v1, v1, v5
	v_add_u32_e32 v1, 0x7fff, v1
	v_lshrrev_b32_e32 v1, 16, v1
	global_store_dword v[3:4], v1, off
	s_mov_b64 s[6:7], 0
.LBB31_652:
	s_and_b64 vcc, exec, s[12:13]
	s_cbranch_vccz .LBB31_657
; %bb.653:
	s_cmp_eq_u32 s15, 44
	s_mov_b64 s[6:7], -1
	s_cbranch_scc0 .LBB31_657
; %bb.654:
	s_xor_b32 s7, s2, s3
	s_flbit_i32 s6, s3
	s_ashr_i32 s7, s7, 31
	s_add_i32 s6, s6, -1
	s_add_i32 s7, s7, 32
	s_min_u32 s10, s6, s7
	s_lshl_b64 s[6:7], s[2:3], s10
	s_min_u32 s6, s6, 1
	s_or_b32 s6, s7, s6
	v_cvt_f32_i32_e32 v1, s6
	s_sub_i32 s6, 32, s10
	v_mov_b32_e32 v5, 0xff
	v_ldexp_f32 v1, v1, s6
	v_readfirstlane_b32 s6, v1
	s_bfe_u32 s7, s6, 0x80017
	s_cmpk_eq_i32 s7, 0xff
	s_cbranch_scc1 .LBB31_656
; %bb.655:
	s_bitcmp1_b32 s6, 22
	s_cselect_b64 s[10:11], -1, 0
	s_and_b32 s6, s6, 0x3fffff
	s_or_b32 s6, s7, s6
	s_cmp_lg_u32 s6, 0
	s_cselect_b64 s[6:7], -1, 0
	s_and_b64 s[6:7], s[10:11], s[6:7]
	v_lshrrev_b32_e32 v1, 23, v1
	v_cndmask_b32_e64 v5, 0, 1, s[6:7]
	v_add_u32_e32 v5, v1, v5
.LBB31_656:
	s_mov_b64 s[6:7], 0
	s_mov_b64 s[10:11], -1
	global_store_byte v[3:4], v5, off
.LBB31_657:
	s_mov_b64 s[12:13], 0
.LBB31_658:
	s_and_b64 vcc, exec, s[12:13]
	s_cbranch_vccz .LBB31_661
; %bb.659:
	s_cmp_eq_u32 s15, 29
	s_mov_b64 s[6:7], -1
	s_cbranch_scc0 .LBB31_661
; %bb.660:
	v_mov_b32_e32 v6, s3
	v_mov_b32_e32 v5, s2
	global_store_dwordx2 v[3:4], v[5:6], off
	s_mov_b64 s[6:7], 0
	s_mov_b64 s[10:11], -1
.LBB31_661:
	s_mov_b64 s[12:13], 0
.LBB31_662:
	s_and_b64 vcc, exec, s[12:13]
	s_cbranch_vccz .LBB31_683
; %bb.663:
	s_cmp_lt_i32 s15, 27
	s_mov_b64 s[10:11], -1
	s_cbranch_scc1 .LBB31_669
; %bb.664:
	s_cmp_gt_i32 s15, 27
	s_cbranch_scc0 .LBB31_666
; %bb.665:
	v_mov_b32_e32 v1, s2
	s_mov_b64 s[10:11], 0
	global_store_dword v[3:4], v1, off
.LBB31_666:
	s_andn2_b64 vcc, exec, s[10:11]
	s_cbranch_vccnz .LBB31_668
; %bb.667:
	v_mov_b32_e32 v1, s2
	global_store_short v[3:4], v1, off
.LBB31_668:
	s_mov_b64 s[10:11], 0
.LBB31_669:
	s_andn2_b64 vcc, exec, s[10:11]
	s_cbranch_vccnz .LBB31_682
; %bb.670:
	s_xor_b32 s11, s2, s3
	s_flbit_i32 s10, s3
	s_ashr_i32 s11, s11, 31
	s_add_i32 s10, s10, -1
	s_add_i32 s11, s11, 32
	s_min_u32 s12, s10, s11
	s_lshl_b64 s[10:11], s[2:3], s12
	s_min_u32 s10, s10, 1
	s_or_b32 s10, s11, s10
	v_cvt_f32_i32_e32 v1, s10
	s_sub_i32 s10, 32, s12
	v_mov_b32_e32 v5, 0x80
	v_ldexp_f32 v1, v1, s10
	v_readfirstlane_b32 s16, v1
	s_and_b32 s10, s16, 0x7fffffff
	s_cmp_gt_u32 s10, 0x437fffff
	s_cbranch_scc1 .LBB31_681
; %bb.671:
	s_cmp_gt_u32 s10, 0x3bffffff
	s_cbranch_scc0 .LBB31_676
; %bb.672:
	s_bfe_u32 s10, s16, 0x10014
	s_add_i32 s10, s16, s10
	s_add_i32 s10, s10, 0x487ffff
	s_lshr_b32 s17, s10, 20
	s_mov_b64 s[12:13], 0
	s_mov_b64 s[10:11], -1
	s_branch .LBB31_677
.LBB31_673:
	s_mov_b64 s[10:11], 0
	s_cbranch_execnz .LBB31_734
.LBB31_674:
	s_andn2_b64 vcc, exec, s[10:11]
	s_cbranch_vccz .LBB31_772
	s_branch .LBB31_943
.LBB31_675:
	s_or_b64 s[4:5], s[20:21], exec
	s_trap 2
	s_cbranch_execz .LBB31_605
	s_branch .LBB31_606
.LBB31_676:
	s_mov_b64 s[12:13], -1
	s_mov_b64 s[10:11], 0
                                        ; implicit-def: $sgpr17
.LBB31_677:
	s_andn2_b64 vcc, exec, s[12:13]
	v_mov_b32_e32 v1, s17
	s_cbranch_vccnz .LBB31_679
; %bb.678:
	v_mov_b32_e32 v1, 0x46000000
	v_add_f32_e64 v1, |s16|, v1
	v_and_b32_e32 v1, 0xff, v1
	v_cmp_ne_u32_e64 s[10:11], 0, v1
.LBB31_679:
	s_andn2_b64 vcc, exec, s[10:11]
	v_mov_b32_e32 v5, 0
	s_cbranch_vccnz .LBB31_681
; %bb.680:
	s_lshr_b32 s10, s16, 24
	s_and_b32 s10, s10, 0x80
	v_or_b32_e32 v5, s10, v1
.LBB31_681:
	global_store_byte v[3:4], v5, off
.LBB31_682:
	s_mov_b64 s[10:11], -1
.LBB31_683:
	s_mov_b64 s[12:13], 0
.LBB31_684:
	s_and_b64 vcc, exec, s[12:13]
	s_cbranch_vccz .LBB31_730
; %bb.685:
	s_cmp_gt_i32 s15, 22
	s_mov_b64 s[8:9], -1
	s_cbranch_scc0 .LBB31_723
; %bb.686:
	s_cmp_lt_i32 s15, 24
	s_cbranch_scc1 .LBB31_710
; %bb.687:
	s_cmp_gt_i32 s15, 24
	s_cbranch_scc0 .LBB31_697
; %bb.688:
	s_xor_b32 s9, s2, s3
	s_flbit_i32 s8, s3
	s_ashr_i32 s9, s9, 31
	s_add_i32 s8, s8, -1
	s_add_i32 s9, s9, 32
	s_min_u32 s10, s8, s9
	s_lshl_b64 s[8:9], s[2:3], s10
	s_min_u32 s8, s8, 1
	s_or_b32 s8, s9, s8
	v_cvt_f32_i32_e32 v1, s8
	s_sub_i32 s8, 32, s10
	v_mov_b32_e32 v5, 0x80
	v_ldexp_f32 v1, v1, s8
	v_readfirstlane_b32 s12, v1
	s_and_b32 s8, s12, 0x7fffffff
	s_cmp_gt_u32 s8, 0x477fffff
	s_cbranch_scc1 .LBB31_696
; %bb.689:
	s_cmp_gt_u32 s8, 0x37ffffff
	s_cbranch_scc0 .LBB31_691
; %bb.690:
	s_bfe_u32 s8, s12, 0x10015
	s_add_i32 s8, s12, s8
	s_add_i32 s8, s8, 0x88fffff
	s_lshr_b32 s13, s8, 21
	s_mov_b64 s[10:11], 0
	s_mov_b64 s[8:9], -1
	s_branch .LBB31_692
.LBB31_691:
	s_mov_b64 s[10:11], -1
	s_mov_b64 s[8:9], 0
                                        ; implicit-def: $sgpr13
.LBB31_692:
	s_andn2_b64 vcc, exec, s[10:11]
	v_mov_b32_e32 v1, s13
	s_cbranch_vccnz .LBB31_694
; %bb.693:
	v_mov_b32_e32 v1, 0x42800000
	v_add_f32_e64 v1, |s12|, v1
	v_and_b32_e32 v1, 0xff, v1
	v_cmp_ne_u32_e64 s[8:9], 0, v1
.LBB31_694:
	s_andn2_b64 vcc, exec, s[8:9]
	v_mov_b32_e32 v5, 0
	s_cbranch_vccnz .LBB31_696
; %bb.695:
	s_lshr_b32 s8, s12, 24
	s_and_b32 s8, s8, 0x80
	v_or_b32_e32 v5, s8, v1
.LBB31_696:
	s_mov_b64 s[8:9], 0
	global_store_byte v[3:4], v5, off
.LBB31_697:
	s_and_b64 vcc, exec, s[8:9]
	s_cbranch_vccz .LBB31_709
; %bb.698:
	s_xor_b32 s9, s2, s3
	s_flbit_i32 s8, s3
	s_ashr_i32 s9, s9, 31
	s_add_i32 s8, s8, -1
	s_add_i32 s9, s9, 32
	s_min_u32 s10, s8, s9
	s_lshl_b64 s[8:9], s[2:3], s10
	s_min_u32 s8, s8, 1
	s_or_b32 s8, s9, s8
	v_cvt_f32_i32_e32 v1, s8
	s_sub_i32 s8, 32, s10
	v_ldexp_f32 v1, v1, s8
	v_readfirstlane_b32 s10, v1
	s_and_b32 s11, s10, 0x7fffffff
	s_cmp_lt_u32 s11, 0x43f00000
	s_cbranch_scc0 .LBB31_701
; %bb.699:
	s_cmp_gt_u32 s11, 0x3c7fffff
	s_cbranch_scc0 .LBB31_702
; %bb.700:
	s_bfe_u32 s8, s10, 0x10014
	s_add_i32 s8, s10, s8
	s_add_i32 s8, s8, 0x407ffff
	s_lshr_b32 s9, s8, 20
	s_and_b32 s8, s8, 0xff00000
	s_cmp_lg_u32 s8, 0x7f00000
	s_cselect_b32 s12, s9, 0x7e
	s_mov_b64 s[8:9], 0
	s_branch .LBB31_703
.LBB31_701:
	s_mov_b64 s[8:9], -1
                                        ; implicit-def: $vgpr5
	s_branch .LBB31_706
.LBB31_702:
	s_mov_b64 s[8:9], -1
                                        ; implicit-def: $sgpr12
.LBB31_703:
	s_andn2_b64 vcc, exec, s[8:9]
	v_mov_b32_e32 v5, s12
	s_cbranch_vccnz .LBB31_705
; %bb.704:
	s_mov_b32 s8, 0x46800000
	v_add_f32_e64 v5, |v1|, s8
.LBB31_705:
	s_mov_b64 s[8:9], 0
.LBB31_706:
	s_andn2_b64 vcc, exec, s[8:9]
	s_cbranch_vccnz .LBB31_708
; %bb.707:
	s_cmp_gt_u32 s11, 0x7f800000
	s_movk_i32 s8, 0x7f
	s_cselect_b32 s8, s8, 0x7e
	v_mov_b32_e32 v5, s8
.LBB31_708:
	s_lshr_b32 s8, s10, 24
	s_and_b32 s8, s8, 0x80
	v_or_b32_e32 v1, s8, v5
	global_store_byte v[3:4], v1, off
.LBB31_709:
	s_mov_b64 s[8:9], 0
.LBB31_710:
	s_andn2_b64 vcc, exec, s[8:9]
	s_cbranch_vccnz .LBB31_722
; %bb.711:
	s_xor_b32 s9, s2, s3
	s_flbit_i32 s8, s3
	s_ashr_i32 s9, s9, 31
	s_add_i32 s8, s8, -1
	s_add_i32 s9, s9, 32
	s_min_u32 s10, s8, s9
	s_lshl_b64 s[8:9], s[2:3], s10
	s_min_u32 s8, s8, 1
	s_or_b32 s8, s9, s8
	v_cvt_f32_i32_e32 v1, s8
	s_sub_i32 s8, 32, s10
	v_ldexp_f32 v1, v1, s8
	v_readfirstlane_b32 s10, v1
	s_and_b32 s11, s10, 0x7fffffff
	s_cmp_lt_u32 s11, 0x47800000
	s_cbranch_scc0 .LBB31_714
; %bb.712:
	s_cmp_gt_u32 s11, 0x387fffff
	s_cbranch_scc0 .LBB31_715
; %bb.713:
	s_bfe_u32 s8, s10, 0x10015
	s_add_i32 s8, s10, s8
	s_add_i32 s8, s8, 0x80fffff
	s_lshr_b32 s12, s8, 21
	s_mov_b64 s[8:9], 0
	s_branch .LBB31_716
.LBB31_714:
	s_mov_b64 s[8:9], -1
                                        ; implicit-def: $vgpr5
	s_branch .LBB31_719
.LBB31_715:
	s_mov_b64 s[8:9], -1
                                        ; implicit-def: $sgpr12
.LBB31_716:
	s_andn2_b64 vcc, exec, s[8:9]
	v_mov_b32_e32 v5, s12
	s_cbranch_vccnz .LBB31_718
; %bb.717:
	s_mov_b32 s8, 0x43000000
	v_add_f32_e64 v5, |v1|, s8
.LBB31_718:
	s_mov_b64 s[8:9], 0
.LBB31_719:
	s_andn2_b64 vcc, exec, s[8:9]
	s_cbranch_vccnz .LBB31_721
; %bb.720:
	s_cmp_gt_u32 s11, 0x7f800000
	s_movk_i32 s8, 0x7f
	s_cselect_b32 s8, s8, 0x7c
	v_mov_b32_e32 v5, s8
.LBB31_721:
	s_lshr_b32 s8, s10, 24
	s_and_b32 s8, s8, 0x80
	v_or_b32_e32 v1, s8, v5
	global_store_byte v[3:4], v1, off
.LBB31_722:
	s_mov_b64 s[8:9], 0
	s_mov_b64 s[10:11], -1
.LBB31_723:
	s_andn2_b64 vcc, exec, s[8:9]
	s_mov_b64 s[8:9], 0
	s_cbranch_vccnz .LBB31_730
; %bb.724:
	s_cmp_gt_i32 s15, 14
	s_mov_b64 s[12:13], -1
	s_cbranch_scc0 .LBB31_728
; %bb.725:
	s_cmp_eq_u32 s15, 15
	s_mov_b64 s[6:7], -1
	s_cbranch_scc0 .LBB31_727
; %bb.726:
	s_xor_b32 s7, s2, s3
	s_flbit_i32 s6, s3
	s_ashr_i32 s7, s7, 31
	s_add_i32 s6, s6, -1
	s_add_i32 s7, s7, 32
	s_min_u32 s8, s6, s7
	s_lshl_b64 s[6:7], s[2:3], s8
	s_min_u32 s6, s6, 1
	s_or_b32 s6, s7, s6
	v_cvt_f32_i32_e32 v1, s6
	s_sub_i32 s6, 32, s8
	s_mov_b64 s[10:11], -1
	v_ldexp_f32 v1, v1, s6
	v_bfe_u32 v5, v1, 16, 1
	v_add_u32_e32 v1, v1, v5
	v_add_u32_e32 v1, 0x7fff, v1
	global_store_short_d16_hi v[3:4], v1, off
	s_mov_b64 s[6:7], 0
.LBB31_727:
	s_mov_b64 s[12:13], 0
.LBB31_728:
	s_mov_b64 s[8:9], 0
	s_and_b64 vcc, exec, s[12:13]
	s_cbranch_vccz .LBB31_730
; %bb.729:
	s_cmp_lg_u32 s15, 11
	s_mov_b64 s[8:9], -1
	s_cselect_b64 s[6:7], -1, 0
.LBB31_730:
	s_and_b64 vcc, exec, s[6:7]
	s_cbranch_vccnz .LBB31_832
; %bb.731:
	s_andn2_b64 vcc, exec, s[8:9]
	s_cbranch_vccnz .LBB31_733
.LBB31_732:
	s_cmp_lg_u64 s[2:3], 0
	s_cselect_b64 s[6:7], -1, 0
	v_cndmask_b32_e64 v1, 0, 1, s[6:7]
	s_mov_b64 s[10:11], -1
	global_store_byte v[3:4], v1, off
.LBB31_733:
	s_branch .LBB31_674
.LBB31_734:
	s_cmp_lt_i32 s15, 5
	s_mov_b64 s[6:7], -1
	s_cbranch_scc1 .LBB31_755
; %bb.735:
	s_cmp_lt_i32 s15, 8
	s_cbranch_scc1 .LBB31_745
; %bb.736:
	s_cmp_lt_i32 s15, 9
	s_cbranch_scc1 .LBB31_742
; %bb.737:
	s_cmp_gt_i32 s15, 9
	s_cbranch_scc0 .LBB31_739
; %bb.738:
	v_cvt_f64_i32_e32 v[5:6], s3
	v_cvt_f64_u32_e32 v[7:8], s2
	s_mov_b64 s[6:7], 0
	v_ldexp_f64 v[5:6], v[5:6], 32
	v_add_f64 v[5:6], v[5:6], v[7:8]
	v_mov_b32_e32 v7, 0
	v_mov_b32_e32 v8, v7
	global_store_dwordx4 v[3:4], v[5:8], off
.LBB31_739:
	s_andn2_b64 vcc, exec, s[6:7]
	s_cbranch_vccnz .LBB31_741
; %bb.740:
	s_xor_b32 s7, s2, s3
	s_flbit_i32 s6, s3
	s_ashr_i32 s7, s7, 31
	s_add_i32 s6, s6, -1
	s_add_i32 s7, s7, 32
	s_min_u32 s8, s6, s7
	s_lshl_b64 s[6:7], s[2:3], s8
	s_min_u32 s6, s6, 1
	s_or_b32 s6, s7, s6
	v_cvt_f32_i32_e32 v1, s6
	s_sub_i32 s6, 32, s8
	v_mov_b32_e32 v6, 0
	v_ldexp_f32 v5, v1, s6
	global_store_dwordx2 v[3:4], v[5:6], off
.LBB31_741:
	s_mov_b64 s[6:7], 0
.LBB31_742:
	s_andn2_b64 vcc, exec, s[6:7]
	s_cbranch_vccnz .LBB31_744
; %bb.743:
	s_xor_b32 s7, s2, s3
	s_flbit_i32 s6, s3
	s_ashr_i32 s7, s7, 31
	s_add_i32 s6, s6, -1
	s_add_i32 s7, s7, 32
	s_min_u32 s8, s6, s7
	s_lshl_b64 s[6:7], s[2:3], s8
	s_min_u32 s6, s6, 1
	s_or_b32 s6, s7, s6
	v_cvt_f32_i32_e32 v1, s6
	s_sub_i32 s6, 32, s8
	v_ldexp_f32 v1, v1, s6
	v_cvt_f16_f32_e32 v1, v1
	global_store_dword v[3:4], v1, off
.LBB31_744:
	s_mov_b64 s[6:7], 0
.LBB31_745:
	s_andn2_b64 vcc, exec, s[6:7]
	s_cbranch_vccnz .LBB31_754
; %bb.746:
	s_cmp_lt_i32 s15, 6
	s_mov_b64 s[6:7], -1
	s_cbranch_scc1 .LBB31_752
; %bb.747:
	s_cmp_gt_i32 s15, 6
	s_cbranch_scc0 .LBB31_749
; %bb.748:
	v_cvt_f64_i32_e32 v[5:6], s3
	v_cvt_f64_u32_e32 v[7:8], s2
	s_mov_b64 s[6:7], 0
	v_ldexp_f64 v[5:6], v[5:6], 32
	v_add_f64 v[5:6], v[5:6], v[7:8]
	global_store_dwordx2 v[3:4], v[5:6], off
.LBB31_749:
	s_andn2_b64 vcc, exec, s[6:7]
	s_cbranch_vccnz .LBB31_751
; %bb.750:
	s_xor_b32 s7, s2, s3
	s_flbit_i32 s6, s3
	s_ashr_i32 s7, s7, 31
	s_add_i32 s6, s6, -1
	s_add_i32 s7, s7, 32
	s_min_u32 s8, s6, s7
	s_lshl_b64 s[6:7], s[2:3], s8
	s_min_u32 s6, s6, 1
	s_or_b32 s6, s7, s6
	v_cvt_f32_i32_e32 v1, s6
	s_sub_i32 s6, 32, s8
	v_ldexp_f32 v1, v1, s6
	global_store_dword v[3:4], v1, off
.LBB31_751:
	s_mov_b64 s[6:7], 0
.LBB31_752:
	s_andn2_b64 vcc, exec, s[6:7]
	s_cbranch_vccnz .LBB31_754
; %bb.753:
	s_xor_b32 s7, s2, s3
	s_flbit_i32 s6, s3
	s_ashr_i32 s7, s7, 31
	s_add_i32 s6, s6, -1
	s_add_i32 s7, s7, 32
	s_min_u32 s8, s6, s7
	s_lshl_b64 s[6:7], s[2:3], s8
	s_min_u32 s6, s6, 1
	s_or_b32 s6, s7, s6
	v_cvt_f32_i32_e32 v1, s6
	s_sub_i32 s6, 32, s8
	v_ldexp_f32 v1, v1, s6
	v_cvt_f16_f32_e32 v1, v1
	global_store_short v[3:4], v1, off
.LBB31_754:
	s_mov_b64 s[6:7], 0
.LBB31_755:
	s_andn2_b64 vcc, exec, s[6:7]
	s_cbranch_vccnz .LBB31_771
; %bb.756:
	s_cmp_lt_i32 s15, 2
	s_mov_b64 s[6:7], -1
	s_cbranch_scc1 .LBB31_766
; %bb.757:
	s_cmp_lt_i32 s15, 3
	s_cbranch_scc1 .LBB31_763
; %bb.758:
	s_cmp_gt_i32 s15, 3
	s_cbranch_scc0 .LBB31_760
; %bb.759:
	v_mov_b32_e32 v6, s3
	v_mov_b32_e32 v5, s2
	global_store_dwordx2 v[3:4], v[5:6], off
	s_mov_b64 s[6:7], 0
.LBB31_760:
	s_andn2_b64 vcc, exec, s[6:7]
	s_cbranch_vccnz .LBB31_762
; %bb.761:
	v_mov_b32_e32 v1, s2
	global_store_dword v[3:4], v1, off
.LBB31_762:
	s_mov_b64 s[6:7], 0
.LBB31_763:
	s_andn2_b64 vcc, exec, s[6:7]
	s_cbranch_vccnz .LBB31_765
; %bb.764:
	v_mov_b32_e32 v1, s2
	global_store_short v[3:4], v1, off
.LBB31_765:
	s_mov_b64 s[6:7], 0
.LBB31_766:
	s_andn2_b64 vcc, exec, s[6:7]
	s_cbranch_vccnz .LBB31_771
; %bb.767:
	s_cmp_gt_i32 s15, 0
	s_mov_b64 s[6:7], -1
	s_cbranch_scc0 .LBB31_769
; %bb.768:
	v_mov_b32_e32 v1, s2
	global_store_byte v[3:4], v1, off
	s_mov_b64 s[6:7], 0
.LBB31_769:
	s_andn2_b64 vcc, exec, s[6:7]
	s_cbranch_vccnz .LBB31_771
; %bb.770:
	v_mov_b32_e32 v1, s2
	global_store_byte v[3:4], v1, off
.LBB31_771:
.LBB31_772:
	v_mov_b32_e32 v3, s1
	v_add_co_u32_e32 v1, vcc, s0, v2
	s_cmp_lt_i32 s15, 11
	v_addc_co_u32_e32 v2, vcc, 0, v3, vcc
	s_cbranch_scc1 .LBB31_800
; %bb.773:
	s_mov_b64 s[12:13], -1
	s_mov_b64 s[8:9], 0
	s_cmp_gt_i32 s15, 25
	s_mov_b64 s[10:11], 0
	s_mov_b64 s[6:7], 0
	s_cbranch_scc0 .LBB31_841
; %bb.774:
	s_cmp_gt_i32 s15, 28
	s_cbranch_scc0 .LBB31_789
; %bb.775:
	s_cmp_gt_i32 s15, 43
	;; [unrolled: 3-line block ×3, first 2 shown]
	s_cbranch_scc0 .LBB31_779
; %bb.777:
	s_mov_b64 s[6:7], -1
	s_mov_b64 s[12:13], 0
	s_cmp_eq_u32 s15, 46
	s_cbranch_scc0 .LBB31_779
; %bb.778:
	s_xor_b32 s7, s2, s3
	s_flbit_i32 s6, s3
	s_ashr_i32 s7, s7, 31
	s_add_i32 s6, s6, -1
	s_add_i32 s7, s7, 32
	s_min_u32 s10, s6, s7
	s_lshl_b64 s[6:7], s[2:3], s10
	s_min_u32 s6, s6, 1
	s_or_b32 s6, s7, s6
	v_cvt_f32_i32_e32 v3, s6
	s_sub_i32 s6, 32, s10
	s_mov_b64 s[10:11], -1
	v_ldexp_f32 v3, v3, s6
	v_bfe_u32 v4, v3, 16, 1
	v_add_u32_e32 v3, v3, v4
	v_add_u32_e32 v3, 0x7fff, v3
	v_lshrrev_b32_e32 v3, 16, v3
	global_store_dword v[1:2], v3, off
	s_mov_b64 s[6:7], 0
.LBB31_779:
	s_and_b64 vcc, exec, s[12:13]
	s_cbranch_vccz .LBB31_784
; %bb.780:
	s_cmp_eq_u32 s15, 44
	s_mov_b64 s[6:7], -1
	s_cbranch_scc0 .LBB31_784
; %bb.781:
	s_xor_b32 s7, s2, s3
	s_flbit_i32 s6, s3
	s_ashr_i32 s7, s7, 31
	s_add_i32 s6, s6, -1
	s_add_i32 s7, s7, 32
	s_min_u32 s10, s6, s7
	s_lshl_b64 s[6:7], s[2:3], s10
	s_min_u32 s6, s6, 1
	s_or_b32 s6, s7, s6
	v_cvt_f32_i32_e32 v3, s6
	s_sub_i32 s6, 32, s10
	v_mov_b32_e32 v4, 0xff
	v_ldexp_f32 v3, v3, s6
	v_readfirstlane_b32 s6, v3
	s_bfe_u32 s7, s6, 0x80017
	s_cmpk_eq_i32 s7, 0xff
	s_cbranch_scc1 .LBB31_783
; %bb.782:
	s_bitcmp1_b32 s6, 22
	s_cselect_b64 s[10:11], -1, 0
	s_and_b32 s6, s6, 0x3fffff
	s_or_b32 s6, s7, s6
	s_cmp_lg_u32 s6, 0
	s_cselect_b64 s[6:7], -1, 0
	s_and_b64 s[6:7], s[10:11], s[6:7]
	v_lshrrev_b32_e32 v3, 23, v3
	v_cndmask_b32_e64 v4, 0, 1, s[6:7]
	v_add_u32_e32 v4, v3, v4
.LBB31_783:
	s_mov_b64 s[6:7], 0
	s_mov_b64 s[10:11], -1
	global_store_byte v[1:2], v4, off
.LBB31_784:
	s_mov_b64 s[12:13], 0
.LBB31_785:
	s_and_b64 vcc, exec, s[12:13]
	s_cbranch_vccz .LBB31_788
; %bb.786:
	s_cmp_eq_u32 s15, 29
	s_mov_b64 s[6:7], -1
	s_cbranch_scc0 .LBB31_788
; %bb.787:
	v_mov_b32_e32 v4, s3
	v_mov_b32_e32 v3, s2
	global_store_dwordx2 v[1:2], v[3:4], off
	s_mov_b64 s[6:7], 0
	s_mov_b64 s[10:11], -1
.LBB31_788:
	s_mov_b64 s[12:13], 0
.LBB31_789:
	s_and_b64 vcc, exec, s[12:13]
	s_cbranch_vccz .LBB31_840
; %bb.790:
	s_cmp_lt_i32 s15, 27
	s_mov_b64 s[10:11], -1
	s_cbranch_scc1 .LBB31_796
; %bb.791:
	s_cmp_gt_i32 s15, 27
	s_cbranch_scc0 .LBB31_793
; %bb.792:
	v_mov_b32_e32 v3, s2
	s_mov_b64 s[10:11], 0
	global_store_dword v[1:2], v3, off
.LBB31_793:
	s_andn2_b64 vcc, exec, s[10:11]
	s_cbranch_vccnz .LBB31_795
; %bb.794:
	v_mov_b32_e32 v3, s2
	global_store_short v[1:2], v3, off
.LBB31_795:
	s_mov_b64 s[10:11], 0
.LBB31_796:
	s_andn2_b64 vcc, exec, s[10:11]
	s_cbranch_vccnz .LBB31_839
; %bb.797:
	s_xor_b32 s11, s2, s3
	s_flbit_i32 s10, s3
	s_ashr_i32 s11, s11, 31
	s_add_i32 s10, s10, -1
	s_add_i32 s11, s11, 32
	s_min_u32 s12, s10, s11
	s_lshl_b64 s[10:11], s[2:3], s12
	s_min_u32 s10, s10, 1
	s_or_b32 s10, s11, s10
	v_cvt_f32_i32_e32 v3, s10
	s_sub_i32 s10, 32, s12
	v_mov_b32_e32 v4, 0x80
	v_ldexp_f32 v3, v3, s10
	v_readfirstlane_b32 s16, v3
	s_and_b32 s10, s16, 0x7fffffff
	s_cmp_gt_u32 s10, 0x437fffff
	s_cbranch_scc1 .LBB31_838
; %bb.798:
	s_cmp_gt_u32 s10, 0x3bffffff
	s_cbranch_scc0 .LBB31_833
; %bb.799:
	s_bfe_u32 s10, s16, 0x10014
	s_add_i32 s10, s16, s10
	s_add_i32 s10, s10, 0x487ffff
	s_lshr_b32 s17, s10, 20
	s_mov_b64 s[12:13], 0
	s_mov_b64 s[10:11], -1
	s_branch .LBB31_834
.LBB31_800:
	s_mov_b64 s[10:11], 0
	s_cbranch_execnz .LBB31_905
.LBB31_801:
	s_andn2_b64 vcc, exec, s[10:11]
	s_cbranch_vccnz .LBB31_943
.LBB31_802:
	v_mov_b32_e32 v1, s1
	v_add_co_u32_e32 v0, vcc, s0, v0
	s_cmp_lt_i32 s15, 11
	v_addc_co_u32_e32 v1, vcc, 0, v1, vcc
	s_cbranch_scc1 .LBB31_831
; %bb.803:
	s_mov_b64 s[8:9], -1
	s_mov_b64 s[6:7], 0
	s_cmp_gt_i32 s15, 25
	s_mov_b64 s[0:1], 0
	s_cbranch_scc0 .LBB31_855
; %bb.804:
	s_cmp_gt_i32 s15, 28
	s_cbranch_scc0 .LBB31_820
; %bb.805:
	s_cmp_gt_i32 s15, 43
	;; [unrolled: 3-line block ×3, first 2 shown]
	s_cbranch_scc0 .LBB31_810
; %bb.807:
	s_cmp_eq_u32 s15, 46
	s_mov_b64 s[0:1], -1
	s_cbranch_scc0 .LBB31_809
; %bb.808:
	s_xor_b32 s1, s2, s3
	s_flbit_i32 s0, s3
	s_ashr_i32 s1, s1, 31
	s_add_i32 s0, s0, -1
	s_add_i32 s1, s1, 32
	s_min_u32 s8, s0, s1
	s_lshl_b64 s[0:1], s[2:3], s8
	s_min_u32 s0, s0, 1
	s_or_b32 s0, s1, s0
	v_cvt_f32_i32_e32 v2, s0
	s_sub_i32 s0, 32, s8
	v_ldexp_f32 v2, v2, s0
	v_bfe_u32 v3, v2, 16, 1
	v_add_u32_e32 v2, v2, v3
	v_add_u32_e32 v2, 0x7fff, v2
	v_lshrrev_b32_e32 v2, 16, v2
	global_store_dword v[0:1], v2, off
	s_mov_b64 s[0:1], 0
.LBB31_809:
	s_mov_b64 s[8:9], 0
.LBB31_810:
	s_and_b64 vcc, exec, s[8:9]
	s_cbranch_vccz .LBB31_815
; %bb.811:
	s_cmp_eq_u32 s15, 44
	s_mov_b64 s[0:1], -1
	s_cbranch_scc0 .LBB31_815
; %bb.812:
	s_xor_b32 s1, s2, s3
	s_flbit_i32 s0, s3
	s_ashr_i32 s1, s1, 31
	s_add_i32 s0, s0, -1
	s_add_i32 s1, s1, 32
	s_min_u32 s8, s0, s1
	s_lshl_b64 s[0:1], s[2:3], s8
	s_min_u32 s0, s0, 1
	s_or_b32 s0, s1, s0
	v_cvt_f32_i32_e32 v2, s0
	s_sub_i32 s0, 32, s8
	v_mov_b32_e32 v3, 0xff
	v_ldexp_f32 v2, v2, s0
	v_readfirstlane_b32 s0, v2
	s_bfe_u32 s1, s0, 0x80017
	s_cmpk_eq_i32 s1, 0xff
	s_cbranch_scc1 .LBB31_814
; %bb.813:
	s_bitcmp1_b32 s0, 22
	s_cselect_b64 s[8:9], -1, 0
	s_and_b32 s0, s0, 0x3fffff
	s_or_b32 s0, s1, s0
	s_cmp_lg_u32 s0, 0
	s_cselect_b64 s[0:1], -1, 0
	s_and_b64 s[0:1], s[8:9], s[0:1]
	v_lshrrev_b32_e32 v2, 23, v2
	v_cndmask_b32_e64 v3, 0, 1, s[0:1]
	v_add_u32_e32 v3, v2, v3
.LBB31_814:
	s_mov_b64 s[0:1], 0
	global_store_byte v[0:1], v3, off
.LBB31_815:
	s_mov_b64 s[8:9], 0
.LBB31_816:
	s_and_b64 vcc, exec, s[8:9]
	s_cbranch_vccz .LBB31_819
; %bb.817:
	s_cmp_eq_u32 s15, 29
	s_mov_b64 s[0:1], -1
	s_cbranch_scc0 .LBB31_819
; %bb.818:
	v_mov_b32_e32 v2, s2
	v_mov_b32_e32 v3, s3
	global_store_dwordx2 v[0:1], v[2:3], off
	s_mov_b64 s[0:1], 0
.LBB31_819:
	s_mov_b64 s[8:9], 0
.LBB31_820:
	s_and_b64 vcc, exec, s[8:9]
	s_cbranch_vccz .LBB31_854
; %bb.821:
	s_cmp_lt_i32 s15, 27
	s_mov_b64 s[8:9], -1
	s_cbranch_scc1 .LBB31_827
; %bb.822:
	s_cmp_gt_i32 s15, 27
	s_cbranch_scc0 .LBB31_824
; %bb.823:
	v_mov_b32_e32 v2, s2
	global_store_dword v[0:1], v2, off
	s_mov_b64 s[8:9], 0
.LBB31_824:
	s_andn2_b64 vcc, exec, s[8:9]
	s_cbranch_vccnz .LBB31_826
; %bb.825:
	v_mov_b32_e32 v2, s2
	global_store_short v[0:1], v2, off
.LBB31_826:
	s_mov_b64 s[8:9], 0
.LBB31_827:
	s_andn2_b64 vcc, exec, s[8:9]
	s_cbranch_vccnz .LBB31_854
; %bb.828:
	s_xor_b32 s9, s2, s3
	s_flbit_i32 s8, s3
	s_ashr_i32 s9, s9, 31
	s_add_i32 s8, s8, -1
	s_add_i32 s9, s9, 32
	s_min_u32 s10, s8, s9
	s_lshl_b64 s[8:9], s[2:3], s10
	s_min_u32 s8, s8, 1
	s_or_b32 s8, s9, s8
	v_cvt_f32_i32_e32 v2, s8
	s_sub_i32 s8, 32, s10
	v_mov_b32_e32 v3, 0x80
	v_ldexp_f32 v2, v2, s8
	v_readfirstlane_b32 s12, v2
	s_and_b32 s8, s12, 0x7fffffff
	s_cmp_gt_u32 s8, 0x437fffff
	s_cbranch_scc1 .LBB31_853
; %bb.829:
	s_cmp_gt_u32 s8, 0x3bffffff
	s_cbranch_scc0 .LBB31_848
; %bb.830:
	s_bfe_u32 s8, s12, 0x10014
	s_add_i32 s8, s12, s8
	s_add_i32 s8, s8, 0x487ffff
	s_lshr_b32 s13, s8, 20
	s_mov_b64 s[10:11], 0
	s_mov_b64 s[8:9], -1
	s_branch .LBB31_849
.LBB31_831:
	s_mov_b64 s[6:7], 0
	s_mov_b64 s[0:1], -1
	s_branch .LBB31_944
.LBB31_832:
	s_trap 2
	s_or_b64 s[4:5], s[4:5], exec
	s_cbranch_execz .LBB31_732
	s_branch .LBB31_733
.LBB31_833:
	s_mov_b64 s[12:13], -1
	s_mov_b64 s[10:11], 0
                                        ; implicit-def: $sgpr17
.LBB31_834:
	s_andn2_b64 vcc, exec, s[12:13]
	v_mov_b32_e32 v3, s17
	s_cbranch_vccnz .LBB31_836
; %bb.835:
	v_mov_b32_e32 v3, 0x46000000
	v_add_f32_e64 v3, |s16|, v3
	v_and_b32_e32 v3, 0xff, v3
	v_cmp_ne_u32_e64 s[10:11], 0, v3
.LBB31_836:
	s_andn2_b64 vcc, exec, s[10:11]
	v_mov_b32_e32 v4, 0
	s_cbranch_vccnz .LBB31_838
; %bb.837:
	s_lshr_b32 s10, s16, 24
	s_and_b32 s10, s10, 0x80
	v_or_b32_e32 v4, s10, v3
.LBB31_838:
	global_store_byte v[1:2], v4, off
.LBB31_839:
	s_mov_b64 s[10:11], -1
.LBB31_840:
	s_mov_b64 s[12:13], 0
.LBB31_841:
	s_and_b64 vcc, exec, s[12:13]
	s_cbranch_vccz .LBB31_901
; %bb.842:
	s_cmp_gt_i32 s15, 22
	s_mov_b64 s[8:9], -1
	s_cbranch_scc0 .LBB31_894
; %bb.843:
	s_cmp_lt_i32 s15, 24
	s_cbranch_scc1 .LBB31_881
; %bb.844:
	s_cmp_gt_i32 s15, 24
	s_cbranch_scc0 .LBB31_868
; %bb.845:
	s_xor_b32 s9, s2, s3
	s_flbit_i32 s8, s3
	s_ashr_i32 s9, s9, 31
	s_add_i32 s8, s8, -1
	s_add_i32 s9, s9, 32
	s_min_u32 s10, s8, s9
	s_lshl_b64 s[8:9], s[2:3], s10
	s_min_u32 s8, s8, 1
	s_or_b32 s8, s9, s8
	v_cvt_f32_i32_e32 v3, s8
	s_sub_i32 s8, 32, s10
	v_mov_b32_e32 v4, 0x80
	v_ldexp_f32 v3, v3, s8
	v_readfirstlane_b32 s12, v3
	s_and_b32 s8, s12, 0x7fffffff
	s_cmp_gt_u32 s8, 0x477fffff
	s_cbranch_scc1 .LBB31_867
; %bb.846:
	s_cmp_gt_u32 s8, 0x37ffffff
	s_cbranch_scc0 .LBB31_862
; %bb.847:
	s_bfe_u32 s8, s12, 0x10015
	s_add_i32 s8, s12, s8
	s_add_i32 s8, s8, 0x88fffff
	s_lshr_b32 s13, s8, 21
	s_mov_b64 s[10:11], 0
	s_mov_b64 s[8:9], -1
	s_branch .LBB31_863
.LBB31_848:
	s_mov_b64 s[10:11], -1
	s_mov_b64 s[8:9], 0
                                        ; implicit-def: $sgpr13
.LBB31_849:
	s_andn2_b64 vcc, exec, s[10:11]
	v_mov_b32_e32 v2, s13
	s_cbranch_vccnz .LBB31_851
; %bb.850:
	v_mov_b32_e32 v2, 0x46000000
	v_add_f32_e64 v2, |s12|, v2
	v_and_b32_e32 v2, 0xff, v2
	v_cmp_ne_u32_e64 s[8:9], 0, v2
.LBB31_851:
	s_andn2_b64 vcc, exec, s[8:9]
	v_mov_b32_e32 v3, 0
	s_cbranch_vccnz .LBB31_853
; %bb.852:
	s_lshr_b32 s8, s12, 24
	s_and_b32 s8, s8, 0x80
	v_or_b32_e32 v3, s8, v2
.LBB31_853:
	global_store_byte v[0:1], v3, off
.LBB31_854:
	s_mov_b64 s[8:9], 0
.LBB31_855:
	s_and_b64 vcc, exec, s[8:9]
	s_cbranch_vccz .LBB31_1028
; %bb.856:
	s_cmp_gt_i32 s15, 22
	s_mov_b64 s[6:7], -1
	s_cbranch_scc0 .LBB31_1021
; %bb.857:
	s_cmp_lt_i32 s15, 24
	s_cbranch_scc1 .LBB31_1008
; %bb.858:
	s_cmp_gt_i32 s15, 24
	s_cbranch_scc0 .LBB31_995
; %bb.859:
	s_xor_b32 s7, s2, s3
	s_flbit_i32 s6, s3
	s_ashr_i32 s7, s7, 31
	s_add_i32 s6, s6, -1
	s_add_i32 s7, s7, 32
	s_min_u32 s8, s6, s7
	s_lshl_b64 s[6:7], s[2:3], s8
	s_min_u32 s6, s6, 1
	s_or_b32 s6, s7, s6
	v_cvt_f32_i32_e32 v2, s6
	s_sub_i32 s6, 32, s8
	v_mov_b32_e32 v3, 0x80
	v_ldexp_f32 v2, v2, s6
	v_readfirstlane_b32 s10, v2
	s_and_b32 s6, s10, 0x7fffffff
	s_cmp_gt_u32 s6, 0x477fffff
	s_cbranch_scc1 .LBB31_994
; %bb.860:
	s_cmp_gt_u32 s6, 0x37ffffff
	s_cbranch_scc0 .LBB31_989
; %bb.861:
	s_bfe_u32 s6, s10, 0x10015
	s_add_i32 s6, s10, s6
	s_add_i32 s6, s6, 0x88fffff
	s_lshr_b32 s11, s6, 21
	s_mov_b64 s[8:9], 0
	s_mov_b64 s[6:7], -1
	s_branch .LBB31_990
.LBB31_862:
	s_mov_b64 s[10:11], -1
	s_mov_b64 s[8:9], 0
                                        ; implicit-def: $sgpr13
.LBB31_863:
	s_andn2_b64 vcc, exec, s[10:11]
	v_mov_b32_e32 v3, s13
	s_cbranch_vccnz .LBB31_865
; %bb.864:
	v_mov_b32_e32 v3, 0x42800000
	v_add_f32_e64 v3, |s12|, v3
	v_and_b32_e32 v3, 0xff, v3
	v_cmp_ne_u32_e64 s[8:9], 0, v3
.LBB31_865:
	s_andn2_b64 vcc, exec, s[8:9]
	v_mov_b32_e32 v4, 0
	s_cbranch_vccnz .LBB31_867
; %bb.866:
	s_lshr_b32 s8, s12, 24
	s_and_b32 s8, s8, 0x80
	v_or_b32_e32 v4, s8, v3
.LBB31_867:
	s_mov_b64 s[8:9], 0
	global_store_byte v[1:2], v4, off
.LBB31_868:
	s_and_b64 vcc, exec, s[8:9]
	s_cbranch_vccz .LBB31_880
; %bb.869:
	s_xor_b32 s9, s2, s3
	s_flbit_i32 s8, s3
	s_ashr_i32 s9, s9, 31
	s_add_i32 s8, s8, -1
	s_add_i32 s9, s9, 32
	s_min_u32 s10, s8, s9
	s_lshl_b64 s[8:9], s[2:3], s10
	s_min_u32 s8, s8, 1
	s_or_b32 s8, s9, s8
	v_cvt_f32_i32_e32 v3, s8
	s_sub_i32 s8, 32, s10
	v_ldexp_f32 v3, v3, s8
	v_readfirstlane_b32 s10, v3
	s_and_b32 s11, s10, 0x7fffffff
	s_cmp_lt_u32 s11, 0x43f00000
	s_cbranch_scc0 .LBB31_872
; %bb.870:
	s_cmp_gt_u32 s11, 0x3c7fffff
	s_cbranch_scc0 .LBB31_873
; %bb.871:
	s_bfe_u32 s8, s10, 0x10014
	s_add_i32 s8, s10, s8
	s_add_i32 s8, s8, 0x407ffff
	s_lshr_b32 s9, s8, 20
	s_and_b32 s8, s8, 0xff00000
	s_cmp_lg_u32 s8, 0x7f00000
	s_cselect_b32 s12, s9, 0x7e
	s_mov_b64 s[8:9], 0
	s_branch .LBB31_874
.LBB31_872:
	s_mov_b64 s[8:9], -1
                                        ; implicit-def: $vgpr4
	s_branch .LBB31_877
.LBB31_873:
	s_mov_b64 s[8:9], -1
                                        ; implicit-def: $sgpr12
.LBB31_874:
	s_andn2_b64 vcc, exec, s[8:9]
	v_mov_b32_e32 v4, s12
	s_cbranch_vccnz .LBB31_876
; %bb.875:
	s_mov_b32 s8, 0x46800000
	v_add_f32_e64 v4, |v3|, s8
.LBB31_876:
	s_mov_b64 s[8:9], 0
.LBB31_877:
	s_andn2_b64 vcc, exec, s[8:9]
	s_cbranch_vccnz .LBB31_879
; %bb.878:
	s_cmp_gt_u32 s11, 0x7f800000
	s_movk_i32 s8, 0x7f
	s_cselect_b32 s8, s8, 0x7e
	v_mov_b32_e32 v4, s8
.LBB31_879:
	s_lshr_b32 s8, s10, 24
	s_and_b32 s8, s8, 0x80
	v_or_b32_e32 v3, s8, v4
	global_store_byte v[1:2], v3, off
.LBB31_880:
	s_mov_b64 s[8:9], 0
.LBB31_881:
	s_andn2_b64 vcc, exec, s[8:9]
	s_cbranch_vccnz .LBB31_893
; %bb.882:
	s_xor_b32 s9, s2, s3
	s_flbit_i32 s8, s3
	s_ashr_i32 s9, s9, 31
	s_add_i32 s8, s8, -1
	s_add_i32 s9, s9, 32
	s_min_u32 s10, s8, s9
	s_lshl_b64 s[8:9], s[2:3], s10
	s_min_u32 s8, s8, 1
	s_or_b32 s8, s9, s8
	v_cvt_f32_i32_e32 v3, s8
	s_sub_i32 s8, 32, s10
	v_ldexp_f32 v3, v3, s8
	v_readfirstlane_b32 s10, v3
	s_and_b32 s11, s10, 0x7fffffff
	s_cmp_lt_u32 s11, 0x47800000
	s_cbranch_scc0 .LBB31_885
; %bb.883:
	s_cmp_gt_u32 s11, 0x387fffff
	s_cbranch_scc0 .LBB31_886
; %bb.884:
	s_bfe_u32 s8, s10, 0x10015
	s_add_i32 s8, s10, s8
	s_add_i32 s8, s8, 0x80fffff
	s_lshr_b32 s12, s8, 21
	s_mov_b64 s[8:9], 0
	s_branch .LBB31_887
.LBB31_885:
	s_mov_b64 s[8:9], -1
                                        ; implicit-def: $vgpr4
	s_branch .LBB31_890
.LBB31_886:
	s_mov_b64 s[8:9], -1
                                        ; implicit-def: $sgpr12
.LBB31_887:
	s_andn2_b64 vcc, exec, s[8:9]
	v_mov_b32_e32 v4, s12
	s_cbranch_vccnz .LBB31_889
; %bb.888:
	s_mov_b32 s8, 0x43000000
	v_add_f32_e64 v4, |v3|, s8
.LBB31_889:
	s_mov_b64 s[8:9], 0
.LBB31_890:
	s_andn2_b64 vcc, exec, s[8:9]
	s_cbranch_vccnz .LBB31_892
; %bb.891:
	s_cmp_gt_u32 s11, 0x7f800000
	s_movk_i32 s8, 0x7f
	s_cselect_b32 s8, s8, 0x7c
	v_mov_b32_e32 v4, s8
.LBB31_892:
	s_lshr_b32 s8, s10, 24
	s_and_b32 s8, s8, 0x80
	v_or_b32_e32 v3, s8, v4
	global_store_byte v[1:2], v3, off
.LBB31_893:
	s_mov_b64 s[8:9], 0
	s_mov_b64 s[10:11], -1
.LBB31_894:
	s_andn2_b64 vcc, exec, s[8:9]
	s_mov_b64 s[8:9], 0
	s_cbranch_vccnz .LBB31_901
; %bb.895:
	s_cmp_gt_i32 s15, 14
	s_mov_b64 s[12:13], -1
	s_cbranch_scc0 .LBB31_899
; %bb.896:
	s_cmp_eq_u32 s15, 15
	s_mov_b64 s[6:7], -1
	s_cbranch_scc0 .LBB31_898
; %bb.897:
	s_xor_b32 s7, s2, s3
	s_flbit_i32 s6, s3
	s_ashr_i32 s7, s7, 31
	s_add_i32 s6, s6, -1
	s_add_i32 s7, s7, 32
	s_min_u32 s8, s6, s7
	s_lshl_b64 s[6:7], s[2:3], s8
	s_min_u32 s6, s6, 1
	s_or_b32 s6, s7, s6
	v_cvt_f32_i32_e32 v3, s6
	s_sub_i32 s6, 32, s8
	s_mov_b64 s[10:11], -1
	v_ldexp_f32 v3, v3, s6
	v_bfe_u32 v4, v3, 16, 1
	v_add_u32_e32 v3, v3, v4
	v_add_u32_e32 v3, 0x7fff, v3
	global_store_short_d16_hi v[1:2], v3, off
	s_mov_b64 s[6:7], 0
.LBB31_898:
	s_mov_b64 s[12:13], 0
.LBB31_899:
	s_mov_b64 s[8:9], 0
	s_and_b64 vcc, exec, s[12:13]
	s_cbranch_vccz .LBB31_901
; %bb.900:
	s_cmp_lg_u32 s15, 11
	s_mov_b64 s[8:9], -1
	s_cselect_b64 s[6:7], -1, 0
.LBB31_901:
	s_and_b64 vcc, exec, s[6:7]
	s_cbranch_vccnz .LBB31_988
; %bb.902:
	s_andn2_b64 vcc, exec, s[8:9]
	s_cbranch_vccnz .LBB31_904
.LBB31_903:
	s_cmp_lg_u64 s[2:3], 0
	s_cselect_b64 s[6:7], -1, 0
	v_cndmask_b32_e64 v3, 0, 1, s[6:7]
	s_mov_b64 s[10:11], -1
	global_store_byte v[1:2], v3, off
.LBB31_904:
	s_branch .LBB31_801
.LBB31_905:
	s_cmp_lt_i32 s15, 5
	s_mov_b64 s[6:7], -1
	s_cbranch_scc1 .LBB31_926
; %bb.906:
	s_cmp_lt_i32 s15, 8
	s_cbranch_scc1 .LBB31_916
; %bb.907:
	s_cmp_lt_i32 s15, 9
	s_cbranch_scc1 .LBB31_913
; %bb.908:
	s_cmp_gt_i32 s15, 9
	s_cbranch_scc0 .LBB31_910
; %bb.909:
	v_cvt_f64_i32_e32 v[3:4], s3
	v_cvt_f64_u32_e32 v[5:6], s2
	s_mov_b64 s[6:7], 0
	v_ldexp_f64 v[3:4], v[3:4], 32
	v_add_f64 v[3:4], v[3:4], v[5:6]
	v_mov_b32_e32 v5, 0
	v_mov_b32_e32 v6, v5
	global_store_dwordx4 v[1:2], v[3:6], off
.LBB31_910:
	s_andn2_b64 vcc, exec, s[6:7]
	s_cbranch_vccnz .LBB31_912
; %bb.911:
	s_xor_b32 s7, s2, s3
	s_flbit_i32 s6, s3
	s_ashr_i32 s7, s7, 31
	s_add_i32 s6, s6, -1
	s_add_i32 s7, s7, 32
	s_min_u32 s8, s6, s7
	s_lshl_b64 s[6:7], s[2:3], s8
	s_min_u32 s6, s6, 1
	s_or_b32 s6, s7, s6
	v_cvt_f32_i32_e32 v3, s6
	s_sub_i32 s6, 32, s8
	v_mov_b32_e32 v4, 0
	v_ldexp_f32 v3, v3, s6
	global_store_dwordx2 v[1:2], v[3:4], off
.LBB31_912:
	s_mov_b64 s[6:7], 0
.LBB31_913:
	s_andn2_b64 vcc, exec, s[6:7]
	s_cbranch_vccnz .LBB31_915
; %bb.914:
	s_xor_b32 s7, s2, s3
	s_flbit_i32 s6, s3
	s_ashr_i32 s7, s7, 31
	s_add_i32 s6, s6, -1
	s_add_i32 s7, s7, 32
	s_min_u32 s8, s6, s7
	s_lshl_b64 s[6:7], s[2:3], s8
	s_min_u32 s6, s6, 1
	s_or_b32 s6, s7, s6
	v_cvt_f32_i32_e32 v3, s6
	s_sub_i32 s6, 32, s8
	v_ldexp_f32 v3, v3, s6
	v_cvt_f16_f32_e32 v3, v3
	global_store_dword v[1:2], v3, off
.LBB31_915:
	s_mov_b64 s[6:7], 0
.LBB31_916:
	s_andn2_b64 vcc, exec, s[6:7]
	s_cbranch_vccnz .LBB31_925
; %bb.917:
	s_cmp_lt_i32 s15, 6
	s_mov_b64 s[6:7], -1
	s_cbranch_scc1 .LBB31_923
; %bb.918:
	s_cmp_gt_i32 s15, 6
	s_cbranch_scc0 .LBB31_920
; %bb.919:
	v_cvt_f64_i32_e32 v[3:4], s3
	v_cvt_f64_u32_e32 v[5:6], s2
	s_mov_b64 s[6:7], 0
	v_ldexp_f64 v[3:4], v[3:4], 32
	v_add_f64 v[3:4], v[3:4], v[5:6]
	global_store_dwordx2 v[1:2], v[3:4], off
.LBB31_920:
	s_andn2_b64 vcc, exec, s[6:7]
	s_cbranch_vccnz .LBB31_922
; %bb.921:
	s_xor_b32 s7, s2, s3
	s_flbit_i32 s6, s3
	s_ashr_i32 s7, s7, 31
	s_add_i32 s6, s6, -1
	s_add_i32 s7, s7, 32
	s_min_u32 s8, s6, s7
	s_lshl_b64 s[6:7], s[2:3], s8
	s_min_u32 s6, s6, 1
	s_or_b32 s6, s7, s6
	v_cvt_f32_i32_e32 v3, s6
	s_sub_i32 s6, 32, s8
	v_ldexp_f32 v3, v3, s6
	global_store_dword v[1:2], v3, off
.LBB31_922:
	s_mov_b64 s[6:7], 0
.LBB31_923:
	s_andn2_b64 vcc, exec, s[6:7]
	s_cbranch_vccnz .LBB31_925
; %bb.924:
	s_xor_b32 s7, s2, s3
	s_flbit_i32 s6, s3
	s_ashr_i32 s7, s7, 31
	s_add_i32 s6, s6, -1
	s_add_i32 s7, s7, 32
	s_min_u32 s8, s6, s7
	s_lshl_b64 s[6:7], s[2:3], s8
	s_min_u32 s6, s6, 1
	s_or_b32 s6, s7, s6
	v_cvt_f32_i32_e32 v3, s6
	s_sub_i32 s6, 32, s8
	v_ldexp_f32 v3, v3, s6
	v_cvt_f16_f32_e32 v3, v3
	global_store_short v[1:2], v3, off
.LBB31_925:
	s_mov_b64 s[6:7], 0
.LBB31_926:
	s_andn2_b64 vcc, exec, s[6:7]
	s_cbranch_vccnz .LBB31_942
; %bb.927:
	s_cmp_lt_i32 s15, 2
	s_mov_b64 s[6:7], -1
	s_cbranch_scc1 .LBB31_937
; %bb.928:
	s_cmp_lt_i32 s15, 3
	s_cbranch_scc1 .LBB31_934
; %bb.929:
	s_cmp_gt_i32 s15, 3
	s_cbranch_scc0 .LBB31_931
; %bb.930:
	v_mov_b32_e32 v4, s3
	v_mov_b32_e32 v3, s2
	global_store_dwordx2 v[1:2], v[3:4], off
	s_mov_b64 s[6:7], 0
.LBB31_931:
	s_andn2_b64 vcc, exec, s[6:7]
	s_cbranch_vccnz .LBB31_933
; %bb.932:
	v_mov_b32_e32 v3, s2
	global_store_dword v[1:2], v3, off
.LBB31_933:
	s_mov_b64 s[6:7], 0
.LBB31_934:
	s_andn2_b64 vcc, exec, s[6:7]
	s_cbranch_vccnz .LBB31_936
; %bb.935:
	v_mov_b32_e32 v3, s2
	global_store_short v[1:2], v3, off
.LBB31_936:
	s_mov_b64 s[6:7], 0
.LBB31_937:
	s_andn2_b64 vcc, exec, s[6:7]
	s_cbranch_vccnz .LBB31_942
; %bb.938:
	s_cmp_gt_i32 s15, 0
	s_mov_b64 s[6:7], -1
	s_cbranch_scc0 .LBB31_940
; %bb.939:
	v_mov_b32_e32 v3, s2
	global_store_byte v[1:2], v3, off
	s_mov_b64 s[6:7], 0
.LBB31_940:
	s_andn2_b64 vcc, exec, s[6:7]
	s_cbranch_vccnz .LBB31_942
; %bb.941:
	v_mov_b32_e32 v3, s2
	global_store_byte v[1:2], v3, off
.LBB31_942:
	s_branch .LBB31_802
.LBB31_943:
	s_mov_b64 s[0:1], 0
	s_mov_b64 s[6:7], 0
                                        ; implicit-def: $sgpr14
                                        ; implicit-def: $vgpr0_vgpr1
.LBB31_944:
	s_andn2_b64 s[8:9], s[20:21], exec
	s_and_b64 s[4:5], s[4:5], exec
	s_and_b64 s[0:1], s[0:1], exec
	;; [unrolled: 1-line block ×3, first 2 shown]
	s_or_b64 s[20:21], s[8:9], s[4:5]
.LBB31_945:
	s_or_b64 exec, exec, s[22:23]
	s_and_saveexec_b64 s[4:5], s[20:21]
	s_cbranch_execz .LBB31_948
; %bb.946:
	; divergent unreachable
	s_or_b64 exec, exec, s[4:5]
	s_and_saveexec_b64 s[4:5], s[6:7]
	s_xor_b64 s[4:5], exec, s[4:5]
	s_cbranch_execnz .LBB31_949
.LBB31_947:
	s_or_b64 exec, exec, s[4:5]
	s_and_saveexec_b64 s[4:5], s[0:1]
	s_cbranch_execnz .LBB31_950
	s_branch .LBB31_987
.LBB31_948:
	s_or_b64 exec, exec, s[4:5]
	s_and_saveexec_b64 s[4:5], s[6:7]
	s_xor_b64 s[4:5], exec, s[4:5]
	s_cbranch_execz .LBB31_947
.LBB31_949:
	s_cmp_lg_u64 s[2:3], 0
	s_cselect_b64 s[6:7], -1, 0
	v_cndmask_b32_e64 v2, 0, 1, s[6:7]
	global_store_byte v[0:1], v2, off
	s_or_b64 exec, exec, s[4:5]
	s_and_saveexec_b64 s[4:5], s[0:1]
	s_cbranch_execz .LBB31_987
.LBB31_950:
	s_sext_i32_i16 s4, s14
	s_cmp_lt_i32 s4, 5
	s_mov_b64 s[0:1], -1
	s_cbranch_scc1 .LBB31_971
; %bb.951:
	s_cmp_lt_i32 s4, 8
	s_cbranch_scc1 .LBB31_961
; %bb.952:
	s_cmp_lt_i32 s4, 9
	s_cbranch_scc1 .LBB31_958
; %bb.953:
	s_cmp_gt_i32 s4, 9
	s_cbranch_scc0 .LBB31_955
; %bb.954:
	v_cvt_f64_i32_e32 v[2:3], s3
	v_cvt_f64_u32_e32 v[4:5], s2
	s_mov_b64 s[0:1], 0
	v_ldexp_f64 v[2:3], v[2:3], 32
	v_add_f64 v[2:3], v[2:3], v[4:5]
	v_mov_b32_e32 v4, 0
	v_mov_b32_e32 v5, v4
	global_store_dwordx4 v[0:1], v[2:5], off
.LBB31_955:
	s_andn2_b64 vcc, exec, s[0:1]
	s_cbranch_vccnz .LBB31_957
; %bb.956:
	s_xor_b32 s1, s2, s3
	s_flbit_i32 s0, s3
	s_ashr_i32 s1, s1, 31
	s_add_i32 s0, s0, -1
	s_add_i32 s1, s1, 32
	s_min_u32 s4, s0, s1
	s_lshl_b64 s[0:1], s[2:3], s4
	s_min_u32 s0, s0, 1
	s_or_b32 s0, s1, s0
	v_cvt_f32_i32_e32 v2, s0
	s_sub_i32 s0, 32, s4
	v_mov_b32_e32 v3, 0
	v_ldexp_f32 v2, v2, s0
	global_store_dwordx2 v[0:1], v[2:3], off
.LBB31_957:
	s_mov_b64 s[0:1], 0
.LBB31_958:
	s_andn2_b64 vcc, exec, s[0:1]
	s_cbranch_vccnz .LBB31_960
; %bb.959:
	s_xor_b32 s1, s2, s3
	s_flbit_i32 s0, s3
	s_ashr_i32 s1, s1, 31
	s_add_i32 s0, s0, -1
	s_add_i32 s1, s1, 32
	s_min_u32 s4, s0, s1
	s_lshl_b64 s[0:1], s[2:3], s4
	s_min_u32 s0, s0, 1
	s_or_b32 s0, s1, s0
	v_cvt_f32_i32_e32 v2, s0
	s_sub_i32 s0, 32, s4
	v_ldexp_f32 v2, v2, s0
	v_cvt_f16_f32_e32 v2, v2
	global_store_dword v[0:1], v2, off
.LBB31_960:
	s_mov_b64 s[0:1], 0
.LBB31_961:
	s_andn2_b64 vcc, exec, s[0:1]
	s_cbranch_vccnz .LBB31_970
; %bb.962:
	s_sext_i32_i16 s4, s14
	s_cmp_lt_i32 s4, 6
	s_mov_b64 s[0:1], -1
	s_cbranch_scc1 .LBB31_968
; %bb.963:
	s_cmp_gt_i32 s4, 6
	s_cbranch_scc0 .LBB31_965
; %bb.964:
	v_cvt_f64_i32_e32 v[2:3], s3
	v_cvt_f64_u32_e32 v[4:5], s2
	s_mov_b64 s[0:1], 0
	v_ldexp_f64 v[2:3], v[2:3], 32
	v_add_f64 v[2:3], v[2:3], v[4:5]
	global_store_dwordx2 v[0:1], v[2:3], off
.LBB31_965:
	s_andn2_b64 vcc, exec, s[0:1]
	s_cbranch_vccnz .LBB31_967
; %bb.966:
	s_xor_b32 s1, s2, s3
	s_flbit_i32 s0, s3
	s_ashr_i32 s1, s1, 31
	s_add_i32 s0, s0, -1
	s_add_i32 s1, s1, 32
	s_min_u32 s4, s0, s1
	s_lshl_b64 s[0:1], s[2:3], s4
	s_min_u32 s0, s0, 1
	s_or_b32 s0, s1, s0
	v_cvt_f32_i32_e32 v2, s0
	s_sub_i32 s0, 32, s4
	v_ldexp_f32 v2, v2, s0
	global_store_dword v[0:1], v2, off
.LBB31_967:
	s_mov_b64 s[0:1], 0
.LBB31_968:
	s_andn2_b64 vcc, exec, s[0:1]
	s_cbranch_vccnz .LBB31_970
; %bb.969:
	s_xor_b32 s1, s2, s3
	s_flbit_i32 s0, s3
	s_ashr_i32 s1, s1, 31
	s_add_i32 s0, s0, -1
	s_add_i32 s1, s1, 32
	s_min_u32 s4, s0, s1
	s_lshl_b64 s[0:1], s[2:3], s4
	s_min_u32 s0, s0, 1
	s_or_b32 s0, s1, s0
	v_cvt_f32_i32_e32 v2, s0
	s_sub_i32 s0, 32, s4
	v_ldexp_f32 v2, v2, s0
	v_cvt_f16_f32_e32 v2, v2
	global_store_short v[0:1], v2, off
.LBB31_970:
	s_mov_b64 s[0:1], 0
.LBB31_971:
	s_andn2_b64 vcc, exec, s[0:1]
	s_cbranch_vccnz .LBB31_987
; %bb.972:
	s_sext_i32_i16 s4, s14
	s_cmp_lt_i32 s4, 2
	s_mov_b64 s[0:1], -1
	s_cbranch_scc1 .LBB31_982
; %bb.973:
	s_cmp_lt_i32 s4, 3
	s_cbranch_scc1 .LBB31_979
; %bb.974:
	s_cmp_gt_i32 s4, 3
	s_cbranch_scc0 .LBB31_976
; %bb.975:
	v_mov_b32_e32 v2, s2
	v_mov_b32_e32 v3, s3
	global_store_dwordx2 v[0:1], v[2:3], off
	s_mov_b64 s[0:1], 0
.LBB31_976:
	s_andn2_b64 vcc, exec, s[0:1]
	s_cbranch_vccnz .LBB31_978
; %bb.977:
	v_mov_b32_e32 v2, s2
	global_store_dword v[0:1], v2, off
.LBB31_978:
	s_mov_b64 s[0:1], 0
.LBB31_979:
	s_andn2_b64 vcc, exec, s[0:1]
	s_cbranch_vccnz .LBB31_981
; %bb.980:
	v_mov_b32_e32 v2, s2
	global_store_short v[0:1], v2, off
.LBB31_981:
	s_mov_b64 s[0:1], 0
.LBB31_982:
	s_andn2_b64 vcc, exec, s[0:1]
	s_cbranch_vccnz .LBB31_987
; %bb.983:
	s_sext_i32_i16 s0, s14
	s_cmp_gt_i32 s0, 0
	s_mov_b64 s[0:1], -1
	s_cbranch_scc0 .LBB31_985
; %bb.984:
	v_mov_b32_e32 v2, s2
	global_store_byte v[0:1], v2, off
	s_mov_b64 s[0:1], 0
.LBB31_985:
	s_andn2_b64 vcc, exec, s[0:1]
	s_cbranch_vccnz .LBB31_987
; %bb.986:
	v_mov_b32_e32 v2, s2
	global_store_byte v[0:1], v2, off
	s_endpgm
.LBB31_987:
	s_endpgm
.LBB31_988:
	s_trap 2
	s_or_b64 s[4:5], s[4:5], exec
	s_cbranch_execz .LBB31_903
	s_branch .LBB31_904
.LBB31_989:
	s_mov_b64 s[8:9], -1
	s_mov_b64 s[6:7], 0
                                        ; implicit-def: $sgpr11
.LBB31_990:
	s_andn2_b64 vcc, exec, s[8:9]
	v_mov_b32_e32 v2, s11
	s_cbranch_vccnz .LBB31_992
; %bb.991:
	v_mov_b32_e32 v2, 0x42800000
	v_add_f32_e64 v2, |s10|, v2
	v_and_b32_e32 v2, 0xff, v2
	v_cmp_ne_u32_e64 s[6:7], 0, v2
.LBB31_992:
	s_andn2_b64 vcc, exec, s[6:7]
	v_mov_b32_e32 v3, 0
	s_cbranch_vccnz .LBB31_994
; %bb.993:
	s_lshr_b32 s6, s10, 24
	s_and_b32 s6, s6, 0x80
	v_or_b32_e32 v3, s6, v2
.LBB31_994:
	s_mov_b64 s[6:7], 0
	global_store_byte v[0:1], v3, off
.LBB31_995:
	s_and_b64 vcc, exec, s[6:7]
	s_cbranch_vccz .LBB31_1007
; %bb.996:
	s_xor_b32 s7, s2, s3
	s_flbit_i32 s6, s3
	s_ashr_i32 s7, s7, 31
	s_add_i32 s6, s6, -1
	s_add_i32 s7, s7, 32
	s_min_u32 s8, s6, s7
	s_lshl_b64 s[6:7], s[2:3], s8
	s_min_u32 s6, s6, 1
	s_or_b32 s6, s7, s6
	v_cvt_f32_i32_e32 v2, s6
	s_sub_i32 s6, 32, s8
	v_ldexp_f32 v2, v2, s6
	v_readfirstlane_b32 s8, v2
	s_and_b32 s9, s8, 0x7fffffff
	s_cmp_lt_u32 s9, 0x43f00000
	s_cbranch_scc0 .LBB31_999
; %bb.997:
	s_cmp_gt_u32 s9, 0x3c7fffff
	s_cbranch_scc0 .LBB31_1000
; %bb.998:
	s_bfe_u32 s6, s8, 0x10014
	s_add_i32 s6, s8, s6
	s_add_i32 s6, s6, 0x407ffff
	s_lshr_b32 s7, s6, 20
	s_and_b32 s6, s6, 0xff00000
	s_cmp_lg_u32 s6, 0x7f00000
	s_cselect_b32 s10, s7, 0x7e
	s_mov_b64 s[6:7], 0
	s_branch .LBB31_1001
.LBB31_999:
	s_mov_b64 s[6:7], -1
                                        ; implicit-def: $vgpr3
	s_branch .LBB31_1004
.LBB31_1000:
	s_mov_b64 s[6:7], -1
                                        ; implicit-def: $sgpr10
.LBB31_1001:
	s_andn2_b64 vcc, exec, s[6:7]
	v_mov_b32_e32 v3, s10
	s_cbranch_vccnz .LBB31_1003
; %bb.1002:
	s_mov_b32 s6, 0x46800000
	v_add_f32_e64 v3, |v2|, s6
.LBB31_1003:
	s_mov_b64 s[6:7], 0
.LBB31_1004:
	s_andn2_b64 vcc, exec, s[6:7]
	s_cbranch_vccnz .LBB31_1006
; %bb.1005:
	s_cmp_gt_u32 s9, 0x7f800000
	s_movk_i32 s6, 0x7f
	s_cselect_b32 s6, s6, 0x7e
	v_mov_b32_e32 v3, s6
.LBB31_1006:
	s_lshr_b32 s6, s8, 24
	s_and_b32 s6, s6, 0x80
	v_or_b32_e32 v2, s6, v3
	global_store_byte v[0:1], v2, off
.LBB31_1007:
	s_mov_b64 s[6:7], 0
.LBB31_1008:
	s_andn2_b64 vcc, exec, s[6:7]
	s_cbranch_vccnz .LBB31_1020
; %bb.1009:
	s_xor_b32 s7, s2, s3
	s_flbit_i32 s6, s3
	s_ashr_i32 s7, s7, 31
	s_add_i32 s6, s6, -1
	s_add_i32 s7, s7, 32
	s_min_u32 s8, s6, s7
	s_lshl_b64 s[6:7], s[2:3], s8
	s_min_u32 s6, s6, 1
	s_or_b32 s6, s7, s6
	v_cvt_f32_i32_e32 v2, s6
	s_sub_i32 s6, 32, s8
	v_ldexp_f32 v2, v2, s6
	v_readfirstlane_b32 s8, v2
	s_and_b32 s9, s8, 0x7fffffff
	s_cmp_lt_u32 s9, 0x47800000
	s_cbranch_scc0 .LBB31_1012
; %bb.1010:
	s_cmp_gt_u32 s9, 0x387fffff
	s_cbranch_scc0 .LBB31_1013
; %bb.1011:
	s_bfe_u32 s6, s8, 0x10015
	s_add_i32 s6, s8, s6
	s_add_i32 s6, s6, 0x80fffff
	s_lshr_b32 s10, s6, 21
	s_mov_b64 s[6:7], 0
	s_branch .LBB31_1014
.LBB31_1012:
	s_mov_b64 s[6:7], -1
                                        ; implicit-def: $vgpr3
	s_branch .LBB31_1017
.LBB31_1013:
	s_mov_b64 s[6:7], -1
                                        ; implicit-def: $sgpr10
.LBB31_1014:
	s_andn2_b64 vcc, exec, s[6:7]
	v_mov_b32_e32 v3, s10
	s_cbranch_vccnz .LBB31_1016
; %bb.1015:
	s_mov_b32 s6, 0x43000000
	v_add_f32_e64 v3, |v2|, s6
.LBB31_1016:
	s_mov_b64 s[6:7], 0
.LBB31_1017:
	s_andn2_b64 vcc, exec, s[6:7]
	s_cbranch_vccnz .LBB31_1019
; %bb.1018:
	s_cmp_gt_u32 s9, 0x7f800000
	s_movk_i32 s6, 0x7f
	s_cselect_b32 s6, s6, 0x7c
	v_mov_b32_e32 v3, s6
.LBB31_1019:
	s_lshr_b32 s6, s8, 24
	s_and_b32 s6, s6, 0x80
	v_or_b32_e32 v2, s6, v3
	global_store_byte v[0:1], v2, off
.LBB31_1020:
	s_mov_b64 s[6:7], 0
.LBB31_1021:
	s_andn2_b64 vcc, exec, s[6:7]
	s_mov_b64 s[6:7], 0
	s_cbranch_vccnz .LBB31_1028
; %bb.1022:
	s_cmp_gt_i32 s15, 14
	s_mov_b64 s[8:9], -1
	s_cbranch_scc0 .LBB31_1026
; %bb.1023:
	s_cmp_eq_u32 s15, 15
	s_mov_b64 s[0:1], -1
	s_cbranch_scc0 .LBB31_1025
; %bb.1024:
	s_xor_b32 s1, s2, s3
	s_flbit_i32 s0, s3
	s_ashr_i32 s1, s1, 31
	s_add_i32 s0, s0, -1
	s_add_i32 s1, s1, 32
	s_min_u32 s6, s0, s1
	s_lshl_b64 s[0:1], s[2:3], s6
	s_min_u32 s0, s0, 1
	s_or_b32 s0, s1, s0
	v_cvt_f32_i32_e32 v2, s0
	s_sub_i32 s0, 32, s6
	v_ldexp_f32 v2, v2, s0
	v_bfe_u32 v3, v2, 16, 1
	v_add_u32_e32 v2, v2, v3
	v_add_u32_e32 v2, 0x7fff, v2
	global_store_short_d16_hi v[0:1], v2, off
	s_mov_b64 s[0:1], 0
.LBB31_1025:
	s_mov_b64 s[8:9], 0
.LBB31_1026:
	s_mov_b64 s[6:7], 0
	s_and_b64 vcc, exec, s[8:9]
	s_cbranch_vccz .LBB31_1028
; %bb.1027:
	s_cmp_lg_u32 s15, 11
	s_mov_b64 s[6:7], -1
	s_cselect_b64 s[0:1], -1, 0
.LBB31_1028:
	s_and_b64 vcc, exec, s[0:1]
	s_cbranch_vccnz .LBB31_1030
.LBB31_1029:
	s_mov_b64 s[0:1], 0
	s_branch .LBB31_944
.LBB31_1030:
	s_mov_b64 s[6:7], 0
	s_or_b64 s[4:5], s[4:5], exec
	s_trap 2
	s_branch .LBB31_1029
	.section	.rodata,"a",@progbits
	.p2align	6, 0x0
	.amdhsa_kernel _ZN2at6native32elementwise_kernel_manual_unrollILi128ELi4EZNS0_15gpu_kernel_implINS0_11FillFunctorIlEEEEvRNS_18TensorIteratorBaseERKT_EUlibE0_EEviT1_
		.amdhsa_group_segment_fixed_size 0
		.amdhsa_private_segment_fixed_size 0
		.amdhsa_kernarg_size 296
		.amdhsa_user_sgpr_count 6
		.amdhsa_user_sgpr_private_segment_buffer 1
		.amdhsa_user_sgpr_dispatch_ptr 0
		.amdhsa_user_sgpr_queue_ptr 0
		.amdhsa_user_sgpr_kernarg_segment_ptr 1
		.amdhsa_user_sgpr_dispatch_id 0
		.amdhsa_user_sgpr_flat_scratch_init 0
		.amdhsa_user_sgpr_private_segment_size 0
		.amdhsa_uses_dynamic_stack 0
		.amdhsa_system_sgpr_private_segment_wavefront_offset 0
		.amdhsa_system_sgpr_workgroup_id_x 1
		.amdhsa_system_sgpr_workgroup_id_y 0
		.amdhsa_system_sgpr_workgroup_id_z 0
		.amdhsa_system_sgpr_workgroup_info 0
		.amdhsa_system_vgpr_workitem_id 0
		.amdhsa_next_free_vgpr 19
		.amdhsa_next_free_sgpr 95
		.amdhsa_reserve_vcc 1
		.amdhsa_reserve_flat_scratch 0
		.amdhsa_float_round_mode_32 0
		.amdhsa_float_round_mode_16_64 0
		.amdhsa_float_denorm_mode_32 3
		.amdhsa_float_denorm_mode_16_64 3
		.amdhsa_dx10_clamp 1
		.amdhsa_ieee_mode 1
		.amdhsa_fp16_overflow 0
		.amdhsa_exception_fp_ieee_invalid_op 0
		.amdhsa_exception_fp_denorm_src 0
		.amdhsa_exception_fp_ieee_div_zero 0
		.amdhsa_exception_fp_ieee_overflow 0
		.amdhsa_exception_fp_ieee_underflow 0
		.amdhsa_exception_fp_ieee_inexact 0
		.amdhsa_exception_int_div_zero 0
	.end_amdhsa_kernel
	.section	.text._ZN2at6native32elementwise_kernel_manual_unrollILi128ELi4EZNS0_15gpu_kernel_implINS0_11FillFunctorIlEEEEvRNS_18TensorIteratorBaseERKT_EUlibE0_EEviT1_,"axG",@progbits,_ZN2at6native32elementwise_kernel_manual_unrollILi128ELi4EZNS0_15gpu_kernel_implINS0_11FillFunctorIlEEEEvRNS_18TensorIteratorBaseERKT_EUlibE0_EEviT1_,comdat
.Lfunc_end31:
	.size	_ZN2at6native32elementwise_kernel_manual_unrollILi128ELi4EZNS0_15gpu_kernel_implINS0_11FillFunctorIlEEEEvRNS_18TensorIteratorBaseERKT_EUlibE0_EEviT1_, .Lfunc_end31-_ZN2at6native32elementwise_kernel_manual_unrollILi128ELi4EZNS0_15gpu_kernel_implINS0_11FillFunctorIlEEEEvRNS_18TensorIteratorBaseERKT_EUlibE0_EEviT1_
                                        ; -- End function
	.set _ZN2at6native32elementwise_kernel_manual_unrollILi128ELi4EZNS0_15gpu_kernel_implINS0_11FillFunctorIlEEEEvRNS_18TensorIteratorBaseERKT_EUlibE0_EEviT1_.num_vgpr, 19
	.set _ZN2at6native32elementwise_kernel_manual_unrollILi128ELi4EZNS0_15gpu_kernel_implINS0_11FillFunctorIlEEEEvRNS_18TensorIteratorBaseERKT_EUlibE0_EEviT1_.num_agpr, 0
	.set _ZN2at6native32elementwise_kernel_manual_unrollILi128ELi4EZNS0_15gpu_kernel_implINS0_11FillFunctorIlEEEEvRNS_18TensorIteratorBaseERKT_EUlibE0_EEviT1_.numbered_sgpr, 95
	.set _ZN2at6native32elementwise_kernel_manual_unrollILi128ELi4EZNS0_15gpu_kernel_implINS0_11FillFunctorIlEEEEvRNS_18TensorIteratorBaseERKT_EUlibE0_EEviT1_.num_named_barrier, 0
	.set _ZN2at6native32elementwise_kernel_manual_unrollILi128ELi4EZNS0_15gpu_kernel_implINS0_11FillFunctorIlEEEEvRNS_18TensorIteratorBaseERKT_EUlibE0_EEviT1_.private_seg_size, 0
	.set _ZN2at6native32elementwise_kernel_manual_unrollILi128ELi4EZNS0_15gpu_kernel_implINS0_11FillFunctorIlEEEEvRNS_18TensorIteratorBaseERKT_EUlibE0_EEviT1_.uses_vcc, 1
	.set _ZN2at6native32elementwise_kernel_manual_unrollILi128ELi4EZNS0_15gpu_kernel_implINS0_11FillFunctorIlEEEEvRNS_18TensorIteratorBaseERKT_EUlibE0_EEviT1_.uses_flat_scratch, 0
	.set _ZN2at6native32elementwise_kernel_manual_unrollILi128ELi4EZNS0_15gpu_kernel_implINS0_11FillFunctorIlEEEEvRNS_18TensorIteratorBaseERKT_EUlibE0_EEviT1_.has_dyn_sized_stack, 0
	.set _ZN2at6native32elementwise_kernel_manual_unrollILi128ELi4EZNS0_15gpu_kernel_implINS0_11FillFunctorIlEEEEvRNS_18TensorIteratorBaseERKT_EUlibE0_EEviT1_.has_recursion, 0
	.set _ZN2at6native32elementwise_kernel_manual_unrollILi128ELi4EZNS0_15gpu_kernel_implINS0_11FillFunctorIlEEEEvRNS_18TensorIteratorBaseERKT_EUlibE0_EEviT1_.has_indirect_call, 0
	.section	.AMDGPU.csdata,"",@progbits
; Kernel info:
; codeLenInByte = 19236
; TotalNumSgprs: 99
; NumVgprs: 19
; ScratchSize: 0
; MemoryBound: 0
; FloatMode: 240
; IeeeMode: 1
; LDSByteSize: 0 bytes/workgroup (compile time only)
; SGPRBlocks: 12
; VGPRBlocks: 4
; NumSGPRsForWavesPerEU: 99
; NumVGPRsForWavesPerEU: 19
; Occupancy: 8
; WaveLimiterHint : 1
; COMPUTE_PGM_RSRC2:SCRATCH_EN: 0
; COMPUTE_PGM_RSRC2:USER_SGPR: 6
; COMPUTE_PGM_RSRC2:TRAP_HANDLER: 0
; COMPUTE_PGM_RSRC2:TGID_X_EN: 1
; COMPUTE_PGM_RSRC2:TGID_Y_EN: 0
; COMPUTE_PGM_RSRC2:TGID_Z_EN: 0
; COMPUTE_PGM_RSRC2:TIDIG_COMP_CNT: 0
	.section	.text._ZN2at6native29vectorized_elementwise_kernelILi16ENS0_11FillFunctorIsEESt5arrayIPcLm1EEEEviT0_T1_,"axG",@progbits,_ZN2at6native29vectorized_elementwise_kernelILi16ENS0_11FillFunctorIsEESt5arrayIPcLm1EEEEviT0_T1_,comdat
	.protected	_ZN2at6native29vectorized_elementwise_kernelILi16ENS0_11FillFunctorIsEESt5arrayIPcLm1EEEEviT0_T1_ ; -- Begin function _ZN2at6native29vectorized_elementwise_kernelILi16ENS0_11FillFunctorIsEESt5arrayIPcLm1EEEEviT0_T1_
	.globl	_ZN2at6native29vectorized_elementwise_kernelILi16ENS0_11FillFunctorIsEESt5arrayIPcLm1EEEEviT0_T1_
	.p2align	8
	.type	_ZN2at6native29vectorized_elementwise_kernelILi16ENS0_11FillFunctorIsEESt5arrayIPcLm1EEEEviT0_T1_,@function
_ZN2at6native29vectorized_elementwise_kernelILi16ENS0_11FillFunctorIsEESt5arrayIPcLm1EEEEviT0_T1_: ; @_ZN2at6native29vectorized_elementwise_kernelILi16ENS0_11FillFunctorIsEESt5arrayIPcLm1EEEEviT0_T1_
; %bb.0:
	s_load_dwordx4 s[8:11], s[4:5], 0x0
	s_lshl_b32 s2, s6, 11
	s_mov_b64 s[0:1], -1
	s_waitcnt lgkmcnt(0)
	s_sub_i32 s4, s8, s2
	s_cmpk_gt_i32 s4, 0x7ff
	s_cbranch_scc0 .LBB32_2
; %bb.1:
	s_ashr_i32 s3, s2, 31
	s_lshl_b64 s[0:1], s[2:3], 1
	s_add_u32 s0, s10, s0
	s_pack_ll_b32_b16 s3, s9, s9
	s_addc_u32 s1, s11, s1
	v_lshlrev_b32_e32 v5, 4, v0
	v_mov_b32_e32 v1, s3
	v_mov_b32_e32 v2, s3
	;; [unrolled: 1-line block ×4, first 2 shown]
	global_store_dwordx4 v5, v[1:4], s[0:1]
	s_mov_b64 s[0:1], 0
.LBB32_2:
	s_andn2_b64 vcc, exec, s[0:1]
	s_cbranch_vccnz .LBB32_12
; %bb.3:
	s_and_b32 s0, 0xffff, s9
	v_mov_b32_e32 v1, s0
	v_cmp_gt_i32_e32 vcc, s4, v0
	v_cndmask_b32_e32 v2, 0, v1, vcc
	v_or_b32_e32 v5, 0x100, v0
	v_mov_b32_e32 v6, 0x5040100
	v_perm_b32 v3, s9, v2, v6
	v_cmp_gt_i32_e64 s[0:1], s4, v5
	v_cndmask_b32_e64 v4, v2, v3, s[0:1]
	v_or_b32_e32 v2, 0x200, v0
	v_cmp_gt_i32_e64 s[0:1], s4, v2
	v_cndmask_b32_e64 v2, 0, v1, s[0:1]
	v_or_b32_e32 v3, 0x300, v0
	v_perm_b32 v7, s9, v2, v6
	v_cmp_gt_i32_e64 s[0:1], s4, v3
	v_cndmask_b32_e64 v3, v2, v7, s[0:1]
	v_or_b32_e32 v2, 0x400, v0
	v_cmp_gt_i32_e64 s[0:1], s4, v2
	v_cndmask_b32_e64 v2, 0, v1, s[0:1]
	v_or_b32_e32 v7, 0x500, v0
	v_perm_b32 v8, s9, v2, v6
	v_cmp_gt_i32_e64 s[0:1], s4, v7
	v_or_b32_e32 v7, 0x600, v0
	v_cndmask_b32_e64 v2, v2, v8, s[0:1]
	v_cmp_gt_i32_e64 s[0:1], s4, v7
	v_cndmask_b32_e64 v1, 0, v1, s[0:1]
	v_or_b32_e32 v7, 0x700, v0
	v_perm_b32 v6, s9, v1, v6
	v_cmp_gt_i32_e64 s[0:1], s4, v7
	v_cndmask_b32_e64 v1, v1, v6, s[0:1]
	s_and_saveexec_b64 s[0:1], vcc
	s_cbranch_execnz .LBB32_13
; %bb.4:
	s_or_b64 exec, exec, s[0:1]
	v_cmp_gt_i32_e32 vcc, s4, v0
	s_and_saveexec_b64 s[0:1], vcc
	s_cbranch_execnz .LBB32_14
.LBB32_5:
	s_or_b64 exec, exec, s[0:1]
	v_cmp_gt_i32_e32 vcc, s4, v0
	s_and_saveexec_b64 s[0:1], vcc
	s_cbranch_execnz .LBB32_15
.LBB32_6:
	s_or_b64 exec, exec, s[0:1]
	v_cmp_gt_i32_e32 vcc, s4, v0
	s_and_saveexec_b64 s[0:1], vcc
	s_cbranch_execnz .LBB32_16
.LBB32_7:
	s_or_b64 exec, exec, s[0:1]
	v_cmp_gt_i32_e32 vcc, s4, v0
	s_and_saveexec_b64 s[0:1], vcc
	s_cbranch_execnz .LBB32_17
.LBB32_8:
	s_or_b64 exec, exec, s[0:1]
	v_cmp_gt_i32_e32 vcc, s4, v0
	s_and_saveexec_b64 s[0:1], vcc
	s_cbranch_execnz .LBB32_18
.LBB32_9:
	s_or_b64 exec, exec, s[0:1]
	v_cmp_gt_i32_e32 vcc, s4, v0
	s_and_saveexec_b64 s[0:1], vcc
	s_cbranch_execnz .LBB32_19
.LBB32_10:
	s_or_b64 exec, exec, s[0:1]
	v_cmp_gt_i32_e32 vcc, s4, v0
	s_and_saveexec_b64 s[0:1], vcc
	s_cbranch_execz .LBB32_12
.LBB32_11:
	v_add_u32_e32 v2, s2, v0
	v_mov_b32_e32 v3, 0
	v_lshlrev_b64 v[2:3], 1, v[2:3]
	v_mov_b32_e32 v0, s11
	v_add_co_u32_e32 v2, vcc, s10, v2
	v_addc_co_u32_e32 v3, vcc, v0, v3, vcc
	global_store_short_d16_hi v[2:3], v1, off
.LBB32_12:
	s_endpgm
.LBB32_13:
	v_or_b32_e32 v6, s2, v0
	v_mov_b32_e32 v7, 0
	v_lshlrev_b64 v[6:7], 1, v[6:7]
	v_mov_b32_e32 v0, s11
	v_add_co_u32_e32 v6, vcc, s10, v6
	v_addc_co_u32_e32 v7, vcc, v0, v7, vcc
	v_mov_b32_e32 v0, v5
	global_store_short v[6:7], v4, off
	s_or_b64 exec, exec, s[0:1]
	v_cmp_gt_i32_e32 vcc, s4, v0
	s_and_saveexec_b64 s[0:1], vcc
	s_cbranch_execz .LBB32_5
.LBB32_14:
	v_add_u32_e32 v5, s2, v0
	v_mov_b32_e32 v6, 0
	v_lshlrev_b64 v[5:6], 1, v[5:6]
	v_mov_b32_e32 v7, s11
	v_add_co_u32_e32 v5, vcc, s10, v5
	v_addc_co_u32_e32 v6, vcc, v7, v6, vcc
	v_add_u32_e32 v0, 0x100, v0
	global_store_short_d16_hi v[5:6], v4, off
	s_or_b64 exec, exec, s[0:1]
	v_cmp_gt_i32_e32 vcc, s4, v0
	s_and_saveexec_b64 s[0:1], vcc
	s_cbranch_execz .LBB32_6
.LBB32_15:
	v_add_u32_e32 v4, s2, v0
	v_mov_b32_e32 v5, 0
	v_lshlrev_b64 v[4:5], 1, v[4:5]
	v_mov_b32_e32 v6, s11
	v_add_co_u32_e32 v4, vcc, s10, v4
	v_addc_co_u32_e32 v5, vcc, v6, v5, vcc
	v_add_u32_e32 v0, 0x100, v0
	global_store_short v[4:5], v3, off
	s_or_b64 exec, exec, s[0:1]
	v_cmp_gt_i32_e32 vcc, s4, v0
	s_and_saveexec_b64 s[0:1], vcc
	s_cbranch_execz .LBB32_7
.LBB32_16:
	v_add_u32_e32 v4, s2, v0
	v_mov_b32_e32 v5, 0
	v_lshlrev_b64 v[4:5], 1, v[4:5]
	v_mov_b32_e32 v6, s11
	v_add_co_u32_e32 v4, vcc, s10, v4
	v_addc_co_u32_e32 v5, vcc, v6, v5, vcc
	v_add_u32_e32 v0, 0x100, v0
	global_store_short_d16_hi v[4:5], v3, off
	s_or_b64 exec, exec, s[0:1]
	v_cmp_gt_i32_e32 vcc, s4, v0
	s_and_saveexec_b64 s[0:1], vcc
	s_cbranch_execz .LBB32_8
.LBB32_17:
	v_add_u32_e32 v3, s2, v0
	v_mov_b32_e32 v4, 0
	v_lshlrev_b64 v[3:4], 1, v[3:4]
	v_mov_b32_e32 v5, s11
	v_add_co_u32_e32 v3, vcc, s10, v3
	v_addc_co_u32_e32 v4, vcc, v5, v4, vcc
	v_add_u32_e32 v0, 0x100, v0
	global_store_short v[3:4], v2, off
	s_or_b64 exec, exec, s[0:1]
	v_cmp_gt_i32_e32 vcc, s4, v0
	s_and_saveexec_b64 s[0:1], vcc
	s_cbranch_execz .LBB32_9
.LBB32_18:
	v_add_u32_e32 v3, s2, v0
	v_mov_b32_e32 v4, 0
	v_lshlrev_b64 v[3:4], 1, v[3:4]
	v_mov_b32_e32 v5, s11
	v_add_co_u32_e32 v3, vcc, s10, v3
	v_addc_co_u32_e32 v4, vcc, v5, v4, vcc
	v_add_u32_e32 v0, 0x100, v0
	global_store_short_d16_hi v[3:4], v2, off
	s_or_b64 exec, exec, s[0:1]
	v_cmp_gt_i32_e32 vcc, s4, v0
	s_and_saveexec_b64 s[0:1], vcc
	s_cbranch_execz .LBB32_10
.LBB32_19:
	v_add_u32_e32 v2, s2, v0
	v_mov_b32_e32 v3, 0
	v_lshlrev_b64 v[2:3], 1, v[2:3]
	v_mov_b32_e32 v4, s11
	v_add_co_u32_e32 v2, vcc, s10, v2
	v_addc_co_u32_e32 v3, vcc, v4, v3, vcc
	v_add_u32_e32 v0, 0x100, v0
	global_store_short v[2:3], v1, off
	s_or_b64 exec, exec, s[0:1]
	v_cmp_gt_i32_e32 vcc, s4, v0
	s_and_saveexec_b64 s[0:1], vcc
	s_cbranch_execnz .LBB32_11
	s_branch .LBB32_12
	.section	.rodata,"a",@progbits
	.p2align	6, 0x0
	.amdhsa_kernel _ZN2at6native29vectorized_elementwise_kernelILi16ENS0_11FillFunctorIsEESt5arrayIPcLm1EEEEviT0_T1_
		.amdhsa_group_segment_fixed_size 0
		.amdhsa_private_segment_fixed_size 0
		.amdhsa_kernarg_size 16
		.amdhsa_user_sgpr_count 6
		.amdhsa_user_sgpr_private_segment_buffer 1
		.amdhsa_user_sgpr_dispatch_ptr 0
		.amdhsa_user_sgpr_queue_ptr 0
		.amdhsa_user_sgpr_kernarg_segment_ptr 1
		.amdhsa_user_sgpr_dispatch_id 0
		.amdhsa_user_sgpr_flat_scratch_init 0
		.amdhsa_user_sgpr_private_segment_size 0
		.amdhsa_uses_dynamic_stack 0
		.amdhsa_system_sgpr_private_segment_wavefront_offset 0
		.amdhsa_system_sgpr_workgroup_id_x 1
		.amdhsa_system_sgpr_workgroup_id_y 0
		.amdhsa_system_sgpr_workgroup_id_z 0
		.amdhsa_system_sgpr_workgroup_info 0
		.amdhsa_system_vgpr_workitem_id 0
		.amdhsa_next_free_vgpr 9
		.amdhsa_next_free_sgpr 12
		.amdhsa_reserve_vcc 1
		.amdhsa_reserve_flat_scratch 0
		.amdhsa_float_round_mode_32 0
		.amdhsa_float_round_mode_16_64 0
		.amdhsa_float_denorm_mode_32 3
		.amdhsa_float_denorm_mode_16_64 3
		.amdhsa_dx10_clamp 1
		.amdhsa_ieee_mode 1
		.amdhsa_fp16_overflow 0
		.amdhsa_exception_fp_ieee_invalid_op 0
		.amdhsa_exception_fp_denorm_src 0
		.amdhsa_exception_fp_ieee_div_zero 0
		.amdhsa_exception_fp_ieee_overflow 0
		.amdhsa_exception_fp_ieee_underflow 0
		.amdhsa_exception_fp_ieee_inexact 0
		.amdhsa_exception_int_div_zero 0
	.end_amdhsa_kernel
	.section	.text._ZN2at6native29vectorized_elementwise_kernelILi16ENS0_11FillFunctorIsEESt5arrayIPcLm1EEEEviT0_T1_,"axG",@progbits,_ZN2at6native29vectorized_elementwise_kernelILi16ENS0_11FillFunctorIsEESt5arrayIPcLm1EEEEviT0_T1_,comdat
.Lfunc_end32:
	.size	_ZN2at6native29vectorized_elementwise_kernelILi16ENS0_11FillFunctorIsEESt5arrayIPcLm1EEEEviT0_T1_, .Lfunc_end32-_ZN2at6native29vectorized_elementwise_kernelILi16ENS0_11FillFunctorIsEESt5arrayIPcLm1EEEEviT0_T1_
                                        ; -- End function
	.set _ZN2at6native29vectorized_elementwise_kernelILi16ENS0_11FillFunctorIsEESt5arrayIPcLm1EEEEviT0_T1_.num_vgpr, 9
	.set _ZN2at6native29vectorized_elementwise_kernelILi16ENS0_11FillFunctorIsEESt5arrayIPcLm1EEEEviT0_T1_.num_agpr, 0
	.set _ZN2at6native29vectorized_elementwise_kernelILi16ENS0_11FillFunctorIsEESt5arrayIPcLm1EEEEviT0_T1_.numbered_sgpr, 12
	.set _ZN2at6native29vectorized_elementwise_kernelILi16ENS0_11FillFunctorIsEESt5arrayIPcLm1EEEEviT0_T1_.num_named_barrier, 0
	.set _ZN2at6native29vectorized_elementwise_kernelILi16ENS0_11FillFunctorIsEESt5arrayIPcLm1EEEEviT0_T1_.private_seg_size, 0
	.set _ZN2at6native29vectorized_elementwise_kernelILi16ENS0_11FillFunctorIsEESt5arrayIPcLm1EEEEviT0_T1_.uses_vcc, 1
	.set _ZN2at6native29vectorized_elementwise_kernelILi16ENS0_11FillFunctorIsEESt5arrayIPcLm1EEEEviT0_T1_.uses_flat_scratch, 0
	.set _ZN2at6native29vectorized_elementwise_kernelILi16ENS0_11FillFunctorIsEESt5arrayIPcLm1EEEEviT0_T1_.has_dyn_sized_stack, 0
	.set _ZN2at6native29vectorized_elementwise_kernelILi16ENS0_11FillFunctorIsEESt5arrayIPcLm1EEEEviT0_T1_.has_recursion, 0
	.set _ZN2at6native29vectorized_elementwise_kernelILi16ENS0_11FillFunctorIsEESt5arrayIPcLm1EEEEviT0_T1_.has_indirect_call, 0
	.section	.AMDGPU.csdata,"",@progbits
; Kernel info:
; codeLenInByte = 900
; TotalNumSgprs: 16
; NumVgprs: 9
; ScratchSize: 0
; MemoryBound: 0
; FloatMode: 240
; IeeeMode: 1
; LDSByteSize: 0 bytes/workgroup (compile time only)
; SGPRBlocks: 1
; VGPRBlocks: 2
; NumSGPRsForWavesPerEU: 16
; NumVGPRsForWavesPerEU: 9
; Occupancy: 10
; WaveLimiterHint : 0
; COMPUTE_PGM_RSRC2:SCRATCH_EN: 0
; COMPUTE_PGM_RSRC2:USER_SGPR: 6
; COMPUTE_PGM_RSRC2:TRAP_HANDLER: 0
; COMPUTE_PGM_RSRC2:TGID_X_EN: 1
; COMPUTE_PGM_RSRC2:TGID_Y_EN: 0
; COMPUTE_PGM_RSRC2:TGID_Z_EN: 0
; COMPUTE_PGM_RSRC2:TIDIG_COMP_CNT: 0
	.section	.text._ZN2at6native29vectorized_elementwise_kernelILi8ENS0_11FillFunctorIsEESt5arrayIPcLm1EEEEviT0_T1_,"axG",@progbits,_ZN2at6native29vectorized_elementwise_kernelILi8ENS0_11FillFunctorIsEESt5arrayIPcLm1EEEEviT0_T1_,comdat
	.protected	_ZN2at6native29vectorized_elementwise_kernelILi8ENS0_11FillFunctorIsEESt5arrayIPcLm1EEEEviT0_T1_ ; -- Begin function _ZN2at6native29vectorized_elementwise_kernelILi8ENS0_11FillFunctorIsEESt5arrayIPcLm1EEEEviT0_T1_
	.globl	_ZN2at6native29vectorized_elementwise_kernelILi8ENS0_11FillFunctorIsEESt5arrayIPcLm1EEEEviT0_T1_
	.p2align	8
	.type	_ZN2at6native29vectorized_elementwise_kernelILi8ENS0_11FillFunctorIsEESt5arrayIPcLm1EEEEviT0_T1_,@function
_ZN2at6native29vectorized_elementwise_kernelILi8ENS0_11FillFunctorIsEESt5arrayIPcLm1EEEEviT0_T1_: ; @_ZN2at6native29vectorized_elementwise_kernelILi8ENS0_11FillFunctorIsEESt5arrayIPcLm1EEEEviT0_T1_
; %bb.0:
	s_load_dwordx4 s[8:11], s[4:5], 0x0
	s_lshl_b32 s2, s6, 11
	s_mov_b64 s[0:1], -1
	s_waitcnt lgkmcnt(0)
	s_sub_i32 s4, s8, s2
	s_cmpk_gt_i32 s4, 0x7ff
	s_cbranch_scc0 .LBB33_2
; %bb.1:
	s_ashr_i32 s3, s2, 31
	s_lshl_b64 s[0:1], s[2:3], 1
	s_add_u32 s0, s10, s0
	s_pack_ll_b32_b16 s3, s9, s9
	s_addc_u32 s1, s11, s1
	v_lshlrev_b32_e32 v5, 4, v0
	v_mov_b32_e32 v1, s3
	v_mov_b32_e32 v2, s3
	;; [unrolled: 1-line block ×4, first 2 shown]
	global_store_dwordx4 v5, v[1:4], s[0:1]
	s_mov_b64 s[0:1], 0
.LBB33_2:
	s_andn2_b64 vcc, exec, s[0:1]
	s_cbranch_vccnz .LBB33_12
; %bb.3:
	s_and_b32 s0, 0xffff, s9
	v_mov_b32_e32 v1, s0
	v_cmp_gt_i32_e32 vcc, s4, v0
	v_cndmask_b32_e32 v2, 0, v1, vcc
	v_or_b32_e32 v5, 0x100, v0
	v_mov_b32_e32 v6, 0x5040100
	v_perm_b32 v3, s9, v2, v6
	v_cmp_gt_i32_e64 s[0:1], s4, v5
	v_cndmask_b32_e64 v4, v2, v3, s[0:1]
	v_or_b32_e32 v2, 0x200, v0
	v_cmp_gt_i32_e64 s[0:1], s4, v2
	v_cndmask_b32_e64 v2, 0, v1, s[0:1]
	v_or_b32_e32 v3, 0x300, v0
	v_perm_b32 v7, s9, v2, v6
	v_cmp_gt_i32_e64 s[0:1], s4, v3
	v_cndmask_b32_e64 v3, v2, v7, s[0:1]
	v_or_b32_e32 v2, 0x400, v0
	v_cmp_gt_i32_e64 s[0:1], s4, v2
	v_cndmask_b32_e64 v2, 0, v1, s[0:1]
	v_or_b32_e32 v7, 0x500, v0
	v_perm_b32 v8, s9, v2, v6
	v_cmp_gt_i32_e64 s[0:1], s4, v7
	v_or_b32_e32 v7, 0x600, v0
	v_cndmask_b32_e64 v2, v2, v8, s[0:1]
	v_cmp_gt_i32_e64 s[0:1], s4, v7
	v_cndmask_b32_e64 v1, 0, v1, s[0:1]
	v_or_b32_e32 v7, 0x700, v0
	v_perm_b32 v6, s9, v1, v6
	v_cmp_gt_i32_e64 s[0:1], s4, v7
	v_cndmask_b32_e64 v1, v1, v6, s[0:1]
	s_and_saveexec_b64 s[0:1], vcc
	s_cbranch_execnz .LBB33_13
; %bb.4:
	s_or_b64 exec, exec, s[0:1]
	v_cmp_gt_i32_e32 vcc, s4, v0
	s_and_saveexec_b64 s[0:1], vcc
	s_cbranch_execnz .LBB33_14
.LBB33_5:
	s_or_b64 exec, exec, s[0:1]
	v_cmp_gt_i32_e32 vcc, s4, v0
	s_and_saveexec_b64 s[0:1], vcc
	s_cbranch_execnz .LBB33_15
.LBB33_6:
	s_or_b64 exec, exec, s[0:1]
	v_cmp_gt_i32_e32 vcc, s4, v0
	s_and_saveexec_b64 s[0:1], vcc
	s_cbranch_execnz .LBB33_16
.LBB33_7:
	s_or_b64 exec, exec, s[0:1]
	v_cmp_gt_i32_e32 vcc, s4, v0
	s_and_saveexec_b64 s[0:1], vcc
	s_cbranch_execnz .LBB33_17
.LBB33_8:
	s_or_b64 exec, exec, s[0:1]
	v_cmp_gt_i32_e32 vcc, s4, v0
	s_and_saveexec_b64 s[0:1], vcc
	s_cbranch_execnz .LBB33_18
.LBB33_9:
	s_or_b64 exec, exec, s[0:1]
	v_cmp_gt_i32_e32 vcc, s4, v0
	s_and_saveexec_b64 s[0:1], vcc
	s_cbranch_execnz .LBB33_19
.LBB33_10:
	s_or_b64 exec, exec, s[0:1]
	v_cmp_gt_i32_e32 vcc, s4, v0
	s_and_saveexec_b64 s[0:1], vcc
	s_cbranch_execz .LBB33_12
.LBB33_11:
	v_add_u32_e32 v2, s2, v0
	v_mov_b32_e32 v3, 0
	v_lshlrev_b64 v[2:3], 1, v[2:3]
	v_mov_b32_e32 v0, s11
	v_add_co_u32_e32 v2, vcc, s10, v2
	v_addc_co_u32_e32 v3, vcc, v0, v3, vcc
	global_store_short_d16_hi v[2:3], v1, off
.LBB33_12:
	s_endpgm
.LBB33_13:
	v_or_b32_e32 v6, s2, v0
	v_mov_b32_e32 v7, 0
	v_lshlrev_b64 v[6:7], 1, v[6:7]
	v_mov_b32_e32 v0, s11
	v_add_co_u32_e32 v6, vcc, s10, v6
	v_addc_co_u32_e32 v7, vcc, v0, v7, vcc
	v_mov_b32_e32 v0, v5
	global_store_short v[6:7], v4, off
	s_or_b64 exec, exec, s[0:1]
	v_cmp_gt_i32_e32 vcc, s4, v0
	s_and_saveexec_b64 s[0:1], vcc
	s_cbranch_execz .LBB33_5
.LBB33_14:
	v_add_u32_e32 v5, s2, v0
	v_mov_b32_e32 v6, 0
	v_lshlrev_b64 v[5:6], 1, v[5:6]
	v_mov_b32_e32 v7, s11
	v_add_co_u32_e32 v5, vcc, s10, v5
	v_addc_co_u32_e32 v6, vcc, v7, v6, vcc
	v_add_u32_e32 v0, 0x100, v0
	global_store_short_d16_hi v[5:6], v4, off
	s_or_b64 exec, exec, s[0:1]
	v_cmp_gt_i32_e32 vcc, s4, v0
	s_and_saveexec_b64 s[0:1], vcc
	s_cbranch_execz .LBB33_6
.LBB33_15:
	v_add_u32_e32 v4, s2, v0
	v_mov_b32_e32 v5, 0
	v_lshlrev_b64 v[4:5], 1, v[4:5]
	v_mov_b32_e32 v6, s11
	v_add_co_u32_e32 v4, vcc, s10, v4
	v_addc_co_u32_e32 v5, vcc, v6, v5, vcc
	v_add_u32_e32 v0, 0x100, v0
	global_store_short v[4:5], v3, off
	s_or_b64 exec, exec, s[0:1]
	v_cmp_gt_i32_e32 vcc, s4, v0
	s_and_saveexec_b64 s[0:1], vcc
	s_cbranch_execz .LBB33_7
.LBB33_16:
	v_add_u32_e32 v4, s2, v0
	v_mov_b32_e32 v5, 0
	v_lshlrev_b64 v[4:5], 1, v[4:5]
	v_mov_b32_e32 v6, s11
	v_add_co_u32_e32 v4, vcc, s10, v4
	v_addc_co_u32_e32 v5, vcc, v6, v5, vcc
	v_add_u32_e32 v0, 0x100, v0
	global_store_short_d16_hi v[4:5], v3, off
	s_or_b64 exec, exec, s[0:1]
	v_cmp_gt_i32_e32 vcc, s4, v0
	s_and_saveexec_b64 s[0:1], vcc
	s_cbranch_execz .LBB33_8
.LBB33_17:
	v_add_u32_e32 v3, s2, v0
	v_mov_b32_e32 v4, 0
	v_lshlrev_b64 v[3:4], 1, v[3:4]
	v_mov_b32_e32 v5, s11
	v_add_co_u32_e32 v3, vcc, s10, v3
	v_addc_co_u32_e32 v4, vcc, v5, v4, vcc
	v_add_u32_e32 v0, 0x100, v0
	global_store_short v[3:4], v2, off
	s_or_b64 exec, exec, s[0:1]
	v_cmp_gt_i32_e32 vcc, s4, v0
	s_and_saveexec_b64 s[0:1], vcc
	s_cbranch_execz .LBB33_9
.LBB33_18:
	v_add_u32_e32 v3, s2, v0
	v_mov_b32_e32 v4, 0
	v_lshlrev_b64 v[3:4], 1, v[3:4]
	v_mov_b32_e32 v5, s11
	v_add_co_u32_e32 v3, vcc, s10, v3
	v_addc_co_u32_e32 v4, vcc, v5, v4, vcc
	v_add_u32_e32 v0, 0x100, v0
	global_store_short_d16_hi v[3:4], v2, off
	s_or_b64 exec, exec, s[0:1]
	v_cmp_gt_i32_e32 vcc, s4, v0
	s_and_saveexec_b64 s[0:1], vcc
	s_cbranch_execz .LBB33_10
.LBB33_19:
	v_add_u32_e32 v2, s2, v0
	v_mov_b32_e32 v3, 0
	v_lshlrev_b64 v[2:3], 1, v[2:3]
	v_mov_b32_e32 v4, s11
	v_add_co_u32_e32 v2, vcc, s10, v2
	v_addc_co_u32_e32 v3, vcc, v4, v3, vcc
	v_add_u32_e32 v0, 0x100, v0
	global_store_short v[2:3], v1, off
	s_or_b64 exec, exec, s[0:1]
	v_cmp_gt_i32_e32 vcc, s4, v0
	s_and_saveexec_b64 s[0:1], vcc
	s_cbranch_execnz .LBB33_11
	s_branch .LBB33_12
	.section	.rodata,"a",@progbits
	.p2align	6, 0x0
	.amdhsa_kernel _ZN2at6native29vectorized_elementwise_kernelILi8ENS0_11FillFunctorIsEESt5arrayIPcLm1EEEEviT0_T1_
		.amdhsa_group_segment_fixed_size 0
		.amdhsa_private_segment_fixed_size 0
		.amdhsa_kernarg_size 16
		.amdhsa_user_sgpr_count 6
		.amdhsa_user_sgpr_private_segment_buffer 1
		.amdhsa_user_sgpr_dispatch_ptr 0
		.amdhsa_user_sgpr_queue_ptr 0
		.amdhsa_user_sgpr_kernarg_segment_ptr 1
		.amdhsa_user_sgpr_dispatch_id 0
		.amdhsa_user_sgpr_flat_scratch_init 0
		.amdhsa_user_sgpr_private_segment_size 0
		.amdhsa_uses_dynamic_stack 0
		.amdhsa_system_sgpr_private_segment_wavefront_offset 0
		.amdhsa_system_sgpr_workgroup_id_x 1
		.amdhsa_system_sgpr_workgroup_id_y 0
		.amdhsa_system_sgpr_workgroup_id_z 0
		.amdhsa_system_sgpr_workgroup_info 0
		.amdhsa_system_vgpr_workitem_id 0
		.amdhsa_next_free_vgpr 9
		.amdhsa_next_free_sgpr 12
		.amdhsa_reserve_vcc 1
		.amdhsa_reserve_flat_scratch 0
		.amdhsa_float_round_mode_32 0
		.amdhsa_float_round_mode_16_64 0
		.amdhsa_float_denorm_mode_32 3
		.amdhsa_float_denorm_mode_16_64 3
		.amdhsa_dx10_clamp 1
		.amdhsa_ieee_mode 1
		.amdhsa_fp16_overflow 0
		.amdhsa_exception_fp_ieee_invalid_op 0
		.amdhsa_exception_fp_denorm_src 0
		.amdhsa_exception_fp_ieee_div_zero 0
		.amdhsa_exception_fp_ieee_overflow 0
		.amdhsa_exception_fp_ieee_underflow 0
		.amdhsa_exception_fp_ieee_inexact 0
		.amdhsa_exception_int_div_zero 0
	.end_amdhsa_kernel
	.section	.text._ZN2at6native29vectorized_elementwise_kernelILi8ENS0_11FillFunctorIsEESt5arrayIPcLm1EEEEviT0_T1_,"axG",@progbits,_ZN2at6native29vectorized_elementwise_kernelILi8ENS0_11FillFunctorIsEESt5arrayIPcLm1EEEEviT0_T1_,comdat
.Lfunc_end33:
	.size	_ZN2at6native29vectorized_elementwise_kernelILi8ENS0_11FillFunctorIsEESt5arrayIPcLm1EEEEviT0_T1_, .Lfunc_end33-_ZN2at6native29vectorized_elementwise_kernelILi8ENS0_11FillFunctorIsEESt5arrayIPcLm1EEEEviT0_T1_
                                        ; -- End function
	.set _ZN2at6native29vectorized_elementwise_kernelILi8ENS0_11FillFunctorIsEESt5arrayIPcLm1EEEEviT0_T1_.num_vgpr, 9
	.set _ZN2at6native29vectorized_elementwise_kernelILi8ENS0_11FillFunctorIsEESt5arrayIPcLm1EEEEviT0_T1_.num_agpr, 0
	.set _ZN2at6native29vectorized_elementwise_kernelILi8ENS0_11FillFunctorIsEESt5arrayIPcLm1EEEEviT0_T1_.numbered_sgpr, 12
	.set _ZN2at6native29vectorized_elementwise_kernelILi8ENS0_11FillFunctorIsEESt5arrayIPcLm1EEEEviT0_T1_.num_named_barrier, 0
	.set _ZN2at6native29vectorized_elementwise_kernelILi8ENS0_11FillFunctorIsEESt5arrayIPcLm1EEEEviT0_T1_.private_seg_size, 0
	.set _ZN2at6native29vectorized_elementwise_kernelILi8ENS0_11FillFunctorIsEESt5arrayIPcLm1EEEEviT0_T1_.uses_vcc, 1
	.set _ZN2at6native29vectorized_elementwise_kernelILi8ENS0_11FillFunctorIsEESt5arrayIPcLm1EEEEviT0_T1_.uses_flat_scratch, 0
	.set _ZN2at6native29vectorized_elementwise_kernelILi8ENS0_11FillFunctorIsEESt5arrayIPcLm1EEEEviT0_T1_.has_dyn_sized_stack, 0
	.set _ZN2at6native29vectorized_elementwise_kernelILi8ENS0_11FillFunctorIsEESt5arrayIPcLm1EEEEviT0_T1_.has_recursion, 0
	.set _ZN2at6native29vectorized_elementwise_kernelILi8ENS0_11FillFunctorIsEESt5arrayIPcLm1EEEEviT0_T1_.has_indirect_call, 0
	.section	.AMDGPU.csdata,"",@progbits
; Kernel info:
; codeLenInByte = 900
; TotalNumSgprs: 16
; NumVgprs: 9
; ScratchSize: 0
; MemoryBound: 0
; FloatMode: 240
; IeeeMode: 1
; LDSByteSize: 0 bytes/workgroup (compile time only)
; SGPRBlocks: 1
; VGPRBlocks: 2
; NumSGPRsForWavesPerEU: 16
; NumVGPRsForWavesPerEU: 9
; Occupancy: 10
; WaveLimiterHint : 0
; COMPUTE_PGM_RSRC2:SCRATCH_EN: 0
; COMPUTE_PGM_RSRC2:USER_SGPR: 6
; COMPUTE_PGM_RSRC2:TRAP_HANDLER: 0
; COMPUTE_PGM_RSRC2:TGID_X_EN: 1
; COMPUTE_PGM_RSRC2:TGID_Y_EN: 0
; COMPUTE_PGM_RSRC2:TGID_Z_EN: 0
; COMPUTE_PGM_RSRC2:TIDIG_COMP_CNT: 0
	.section	.text._ZN2at6native29vectorized_elementwise_kernelILi4ENS0_11FillFunctorIsEESt5arrayIPcLm1EEEEviT0_T1_,"axG",@progbits,_ZN2at6native29vectorized_elementwise_kernelILi4ENS0_11FillFunctorIsEESt5arrayIPcLm1EEEEviT0_T1_,comdat
	.protected	_ZN2at6native29vectorized_elementwise_kernelILi4ENS0_11FillFunctorIsEESt5arrayIPcLm1EEEEviT0_T1_ ; -- Begin function _ZN2at6native29vectorized_elementwise_kernelILi4ENS0_11FillFunctorIsEESt5arrayIPcLm1EEEEviT0_T1_
	.globl	_ZN2at6native29vectorized_elementwise_kernelILi4ENS0_11FillFunctorIsEESt5arrayIPcLm1EEEEviT0_T1_
	.p2align	8
	.type	_ZN2at6native29vectorized_elementwise_kernelILi4ENS0_11FillFunctorIsEESt5arrayIPcLm1EEEEviT0_T1_,@function
_ZN2at6native29vectorized_elementwise_kernelILi4ENS0_11FillFunctorIsEESt5arrayIPcLm1EEEEviT0_T1_: ; @_ZN2at6native29vectorized_elementwise_kernelILi4ENS0_11FillFunctorIsEESt5arrayIPcLm1EEEEviT0_T1_
; %bb.0:
	s_load_dwordx4 s[8:11], s[4:5], 0x0
	s_lshl_b32 s2, s6, 11
	s_mov_b64 s[0:1], -1
	s_waitcnt lgkmcnt(0)
	s_sub_i32 s4, s8, s2
	s_cmpk_gt_i32 s4, 0x7ff
	s_cbranch_scc0 .LBB34_2
; %bb.1:
	s_pack_ll_b32_b16 s0, s9, s9
	s_ashr_i32 s3, s2, 31
	s_lshl_b64 s[6:7], s[2:3], 1
	s_mov_b32 s1, s0
	s_add_u32 s6, s10, s6
	v_mov_b32_e32 v2, s1
	s_addc_u32 s7, s11, s7
	v_lshlrev_b32_e32 v3, 3, v0
	v_mov_b32_e32 v1, s0
	global_store_dwordx2 v3, v[1:2], s[6:7]
	global_store_dwordx2 v3, v[1:2], s[6:7] offset:2048
	s_mov_b64 s[0:1], 0
.LBB34_2:
	s_andn2_b64 vcc, exec, s[0:1]
	s_cbranch_vccnz .LBB34_12
; %bb.3:
	s_and_b32 s0, 0xffff, s9
	v_mov_b32_e32 v1, s0
	v_cmp_gt_i32_e32 vcc, s4, v0
	v_cndmask_b32_e32 v2, 0, v1, vcc
	v_or_b32_e32 v5, 0x100, v0
	v_mov_b32_e32 v6, 0x5040100
	v_perm_b32 v3, s9, v2, v6
	v_cmp_gt_i32_e64 s[0:1], s4, v5
	v_cndmask_b32_e64 v4, v2, v3, s[0:1]
	v_or_b32_e32 v2, 0x200, v0
	v_cmp_gt_i32_e64 s[0:1], s4, v2
	v_cndmask_b32_e64 v2, 0, v1, s[0:1]
	v_or_b32_e32 v3, 0x300, v0
	v_perm_b32 v7, s9, v2, v6
	v_cmp_gt_i32_e64 s[0:1], s4, v3
	v_cndmask_b32_e64 v3, v2, v7, s[0:1]
	v_or_b32_e32 v2, 0x400, v0
	v_cmp_gt_i32_e64 s[0:1], s4, v2
	v_cndmask_b32_e64 v2, 0, v1, s[0:1]
	v_or_b32_e32 v7, 0x500, v0
	v_perm_b32 v8, s9, v2, v6
	v_cmp_gt_i32_e64 s[0:1], s4, v7
	v_or_b32_e32 v7, 0x600, v0
	v_cndmask_b32_e64 v2, v2, v8, s[0:1]
	v_cmp_gt_i32_e64 s[0:1], s4, v7
	v_cndmask_b32_e64 v1, 0, v1, s[0:1]
	v_or_b32_e32 v7, 0x700, v0
	v_perm_b32 v6, s9, v1, v6
	v_cmp_gt_i32_e64 s[0:1], s4, v7
	v_cndmask_b32_e64 v1, v1, v6, s[0:1]
	s_and_saveexec_b64 s[0:1], vcc
	s_cbranch_execnz .LBB34_13
; %bb.4:
	s_or_b64 exec, exec, s[0:1]
	v_cmp_gt_i32_e32 vcc, s4, v0
	s_and_saveexec_b64 s[0:1], vcc
	s_cbranch_execnz .LBB34_14
.LBB34_5:
	s_or_b64 exec, exec, s[0:1]
	v_cmp_gt_i32_e32 vcc, s4, v0
	s_and_saveexec_b64 s[0:1], vcc
	s_cbranch_execnz .LBB34_15
.LBB34_6:
	s_or_b64 exec, exec, s[0:1]
	v_cmp_gt_i32_e32 vcc, s4, v0
	s_and_saveexec_b64 s[0:1], vcc
	s_cbranch_execnz .LBB34_16
.LBB34_7:
	s_or_b64 exec, exec, s[0:1]
	v_cmp_gt_i32_e32 vcc, s4, v0
	s_and_saveexec_b64 s[0:1], vcc
	s_cbranch_execnz .LBB34_17
.LBB34_8:
	s_or_b64 exec, exec, s[0:1]
	v_cmp_gt_i32_e32 vcc, s4, v0
	s_and_saveexec_b64 s[0:1], vcc
	s_cbranch_execnz .LBB34_18
.LBB34_9:
	s_or_b64 exec, exec, s[0:1]
	v_cmp_gt_i32_e32 vcc, s4, v0
	s_and_saveexec_b64 s[0:1], vcc
	s_cbranch_execnz .LBB34_19
.LBB34_10:
	s_or_b64 exec, exec, s[0:1]
	v_cmp_gt_i32_e32 vcc, s4, v0
	s_and_saveexec_b64 s[0:1], vcc
	s_cbranch_execz .LBB34_12
.LBB34_11:
	v_add_u32_e32 v2, s2, v0
	v_mov_b32_e32 v3, 0
	v_lshlrev_b64 v[2:3], 1, v[2:3]
	v_mov_b32_e32 v0, s11
	v_add_co_u32_e32 v2, vcc, s10, v2
	v_addc_co_u32_e32 v3, vcc, v0, v3, vcc
	global_store_short_d16_hi v[2:3], v1, off
.LBB34_12:
	s_endpgm
.LBB34_13:
	v_or_b32_e32 v6, s2, v0
	v_mov_b32_e32 v7, 0
	v_lshlrev_b64 v[6:7], 1, v[6:7]
	v_mov_b32_e32 v0, s11
	v_add_co_u32_e32 v6, vcc, s10, v6
	v_addc_co_u32_e32 v7, vcc, v0, v7, vcc
	v_mov_b32_e32 v0, v5
	global_store_short v[6:7], v4, off
	s_or_b64 exec, exec, s[0:1]
	v_cmp_gt_i32_e32 vcc, s4, v0
	s_and_saveexec_b64 s[0:1], vcc
	s_cbranch_execz .LBB34_5
.LBB34_14:
	v_add_u32_e32 v5, s2, v0
	v_mov_b32_e32 v6, 0
	v_lshlrev_b64 v[5:6], 1, v[5:6]
	v_mov_b32_e32 v7, s11
	v_add_co_u32_e32 v5, vcc, s10, v5
	v_addc_co_u32_e32 v6, vcc, v7, v6, vcc
	v_add_u32_e32 v0, 0x100, v0
	global_store_short_d16_hi v[5:6], v4, off
	s_or_b64 exec, exec, s[0:1]
	v_cmp_gt_i32_e32 vcc, s4, v0
	s_and_saveexec_b64 s[0:1], vcc
	s_cbranch_execz .LBB34_6
.LBB34_15:
	v_add_u32_e32 v4, s2, v0
	v_mov_b32_e32 v5, 0
	v_lshlrev_b64 v[4:5], 1, v[4:5]
	v_mov_b32_e32 v6, s11
	v_add_co_u32_e32 v4, vcc, s10, v4
	v_addc_co_u32_e32 v5, vcc, v6, v5, vcc
	v_add_u32_e32 v0, 0x100, v0
	global_store_short v[4:5], v3, off
	s_or_b64 exec, exec, s[0:1]
	v_cmp_gt_i32_e32 vcc, s4, v0
	s_and_saveexec_b64 s[0:1], vcc
	s_cbranch_execz .LBB34_7
.LBB34_16:
	v_add_u32_e32 v4, s2, v0
	v_mov_b32_e32 v5, 0
	v_lshlrev_b64 v[4:5], 1, v[4:5]
	v_mov_b32_e32 v6, s11
	v_add_co_u32_e32 v4, vcc, s10, v4
	v_addc_co_u32_e32 v5, vcc, v6, v5, vcc
	v_add_u32_e32 v0, 0x100, v0
	global_store_short_d16_hi v[4:5], v3, off
	s_or_b64 exec, exec, s[0:1]
	v_cmp_gt_i32_e32 vcc, s4, v0
	s_and_saveexec_b64 s[0:1], vcc
	s_cbranch_execz .LBB34_8
.LBB34_17:
	v_add_u32_e32 v3, s2, v0
	v_mov_b32_e32 v4, 0
	v_lshlrev_b64 v[3:4], 1, v[3:4]
	v_mov_b32_e32 v5, s11
	v_add_co_u32_e32 v3, vcc, s10, v3
	v_addc_co_u32_e32 v4, vcc, v5, v4, vcc
	v_add_u32_e32 v0, 0x100, v0
	global_store_short v[3:4], v2, off
	s_or_b64 exec, exec, s[0:1]
	v_cmp_gt_i32_e32 vcc, s4, v0
	s_and_saveexec_b64 s[0:1], vcc
	s_cbranch_execz .LBB34_9
.LBB34_18:
	v_add_u32_e32 v3, s2, v0
	v_mov_b32_e32 v4, 0
	v_lshlrev_b64 v[3:4], 1, v[3:4]
	v_mov_b32_e32 v5, s11
	v_add_co_u32_e32 v3, vcc, s10, v3
	v_addc_co_u32_e32 v4, vcc, v5, v4, vcc
	v_add_u32_e32 v0, 0x100, v0
	global_store_short_d16_hi v[3:4], v2, off
	s_or_b64 exec, exec, s[0:1]
	v_cmp_gt_i32_e32 vcc, s4, v0
	s_and_saveexec_b64 s[0:1], vcc
	s_cbranch_execz .LBB34_10
.LBB34_19:
	v_add_u32_e32 v2, s2, v0
	v_mov_b32_e32 v3, 0
	v_lshlrev_b64 v[2:3], 1, v[2:3]
	v_mov_b32_e32 v4, s11
	v_add_co_u32_e32 v2, vcc, s10, v2
	v_addc_co_u32_e32 v3, vcc, v4, v3, vcc
	v_add_u32_e32 v0, 0x100, v0
	global_store_short v[2:3], v1, off
	s_or_b64 exec, exec, s[0:1]
	v_cmp_gt_i32_e32 vcc, s4, v0
	s_and_saveexec_b64 s[0:1], vcc
	s_cbranch_execnz .LBB34_11
	s_branch .LBB34_12
	.section	.rodata,"a",@progbits
	.p2align	6, 0x0
	.amdhsa_kernel _ZN2at6native29vectorized_elementwise_kernelILi4ENS0_11FillFunctorIsEESt5arrayIPcLm1EEEEviT0_T1_
		.amdhsa_group_segment_fixed_size 0
		.amdhsa_private_segment_fixed_size 0
		.amdhsa_kernarg_size 16
		.amdhsa_user_sgpr_count 6
		.amdhsa_user_sgpr_private_segment_buffer 1
		.amdhsa_user_sgpr_dispatch_ptr 0
		.amdhsa_user_sgpr_queue_ptr 0
		.amdhsa_user_sgpr_kernarg_segment_ptr 1
		.amdhsa_user_sgpr_dispatch_id 0
		.amdhsa_user_sgpr_flat_scratch_init 0
		.amdhsa_user_sgpr_private_segment_size 0
		.amdhsa_uses_dynamic_stack 0
		.amdhsa_system_sgpr_private_segment_wavefront_offset 0
		.amdhsa_system_sgpr_workgroup_id_x 1
		.amdhsa_system_sgpr_workgroup_id_y 0
		.amdhsa_system_sgpr_workgroup_id_z 0
		.amdhsa_system_sgpr_workgroup_info 0
		.amdhsa_system_vgpr_workitem_id 0
		.amdhsa_next_free_vgpr 9
		.amdhsa_next_free_sgpr 12
		.amdhsa_reserve_vcc 1
		.amdhsa_reserve_flat_scratch 0
		.amdhsa_float_round_mode_32 0
		.amdhsa_float_round_mode_16_64 0
		.amdhsa_float_denorm_mode_32 3
		.amdhsa_float_denorm_mode_16_64 3
		.amdhsa_dx10_clamp 1
		.amdhsa_ieee_mode 1
		.amdhsa_fp16_overflow 0
		.amdhsa_exception_fp_ieee_invalid_op 0
		.amdhsa_exception_fp_denorm_src 0
		.amdhsa_exception_fp_ieee_div_zero 0
		.amdhsa_exception_fp_ieee_overflow 0
		.amdhsa_exception_fp_ieee_underflow 0
		.amdhsa_exception_fp_ieee_inexact 0
		.amdhsa_exception_int_div_zero 0
	.end_amdhsa_kernel
	.section	.text._ZN2at6native29vectorized_elementwise_kernelILi4ENS0_11FillFunctorIsEESt5arrayIPcLm1EEEEviT0_T1_,"axG",@progbits,_ZN2at6native29vectorized_elementwise_kernelILi4ENS0_11FillFunctorIsEESt5arrayIPcLm1EEEEviT0_T1_,comdat
.Lfunc_end34:
	.size	_ZN2at6native29vectorized_elementwise_kernelILi4ENS0_11FillFunctorIsEESt5arrayIPcLm1EEEEviT0_T1_, .Lfunc_end34-_ZN2at6native29vectorized_elementwise_kernelILi4ENS0_11FillFunctorIsEESt5arrayIPcLm1EEEEviT0_T1_
                                        ; -- End function
	.set _ZN2at6native29vectorized_elementwise_kernelILi4ENS0_11FillFunctorIsEESt5arrayIPcLm1EEEEviT0_T1_.num_vgpr, 9
	.set _ZN2at6native29vectorized_elementwise_kernelILi4ENS0_11FillFunctorIsEESt5arrayIPcLm1EEEEviT0_T1_.num_agpr, 0
	.set _ZN2at6native29vectorized_elementwise_kernelILi4ENS0_11FillFunctorIsEESt5arrayIPcLm1EEEEviT0_T1_.numbered_sgpr, 12
	.set _ZN2at6native29vectorized_elementwise_kernelILi4ENS0_11FillFunctorIsEESt5arrayIPcLm1EEEEviT0_T1_.num_named_barrier, 0
	.set _ZN2at6native29vectorized_elementwise_kernelILi4ENS0_11FillFunctorIsEESt5arrayIPcLm1EEEEviT0_T1_.private_seg_size, 0
	.set _ZN2at6native29vectorized_elementwise_kernelILi4ENS0_11FillFunctorIsEESt5arrayIPcLm1EEEEviT0_T1_.uses_vcc, 1
	.set _ZN2at6native29vectorized_elementwise_kernelILi4ENS0_11FillFunctorIsEESt5arrayIPcLm1EEEEviT0_T1_.uses_flat_scratch, 0
	.set _ZN2at6native29vectorized_elementwise_kernelILi4ENS0_11FillFunctorIsEESt5arrayIPcLm1EEEEviT0_T1_.has_dyn_sized_stack, 0
	.set _ZN2at6native29vectorized_elementwise_kernelILi4ENS0_11FillFunctorIsEESt5arrayIPcLm1EEEEviT0_T1_.has_recursion, 0
	.set _ZN2at6native29vectorized_elementwise_kernelILi4ENS0_11FillFunctorIsEESt5arrayIPcLm1EEEEviT0_T1_.has_indirect_call, 0
	.section	.AMDGPU.csdata,"",@progbits
; Kernel info:
; codeLenInByte = 904
; TotalNumSgprs: 16
; NumVgprs: 9
; ScratchSize: 0
; MemoryBound: 0
; FloatMode: 240
; IeeeMode: 1
; LDSByteSize: 0 bytes/workgroup (compile time only)
; SGPRBlocks: 1
; VGPRBlocks: 2
; NumSGPRsForWavesPerEU: 16
; NumVGPRsForWavesPerEU: 9
; Occupancy: 10
; WaveLimiterHint : 1
; COMPUTE_PGM_RSRC2:SCRATCH_EN: 0
; COMPUTE_PGM_RSRC2:USER_SGPR: 6
; COMPUTE_PGM_RSRC2:TRAP_HANDLER: 0
; COMPUTE_PGM_RSRC2:TGID_X_EN: 1
; COMPUTE_PGM_RSRC2:TGID_Y_EN: 0
; COMPUTE_PGM_RSRC2:TGID_Z_EN: 0
; COMPUTE_PGM_RSRC2:TIDIG_COMP_CNT: 0
	.section	.text._ZN2at6native29vectorized_elementwise_kernelILi2ENS0_11FillFunctorIsEESt5arrayIPcLm1EEEEviT0_T1_,"axG",@progbits,_ZN2at6native29vectorized_elementwise_kernelILi2ENS0_11FillFunctorIsEESt5arrayIPcLm1EEEEviT0_T1_,comdat
	.protected	_ZN2at6native29vectorized_elementwise_kernelILi2ENS0_11FillFunctorIsEESt5arrayIPcLm1EEEEviT0_T1_ ; -- Begin function _ZN2at6native29vectorized_elementwise_kernelILi2ENS0_11FillFunctorIsEESt5arrayIPcLm1EEEEviT0_T1_
	.globl	_ZN2at6native29vectorized_elementwise_kernelILi2ENS0_11FillFunctorIsEESt5arrayIPcLm1EEEEviT0_T1_
	.p2align	8
	.type	_ZN2at6native29vectorized_elementwise_kernelILi2ENS0_11FillFunctorIsEESt5arrayIPcLm1EEEEviT0_T1_,@function
_ZN2at6native29vectorized_elementwise_kernelILi2ENS0_11FillFunctorIsEESt5arrayIPcLm1EEEEviT0_T1_: ; @_ZN2at6native29vectorized_elementwise_kernelILi2ENS0_11FillFunctorIsEESt5arrayIPcLm1EEEEviT0_T1_
; %bb.0:
	s_load_dwordx4 s[8:11], s[4:5], 0x0
	s_lshl_b32 s2, s6, 11
	s_mov_b64 s[0:1], -1
	s_waitcnt lgkmcnt(0)
	s_sub_i32 s4, s8, s2
	s_cmpk_gt_i32 s4, 0x7ff
	s_cbranch_scc0 .LBB35_2
; %bb.1:
	s_ashr_i32 s3, s2, 31
	s_lshl_b64 s[0:1], s[2:3], 1
	s_pack_ll_b32_b16 s5, s9, s9
	s_add_u32 s0, s10, s0
	s_addc_u32 s1, s11, s1
	v_lshlrev_b32_e32 v1, 2, v0
	v_mov_b32_e32 v2, s5
	global_store_dword v1, v2, s[0:1]
	global_store_dword v1, v2, s[0:1] offset:1024
	global_store_dword v1, v2, s[0:1] offset:2048
	;; [unrolled: 1-line block ×3, first 2 shown]
	s_mov_b64 s[0:1], 0
.LBB35_2:
	s_andn2_b64 vcc, exec, s[0:1]
	s_cbranch_vccnz .LBB35_12
; %bb.3:
	s_and_b32 s0, 0xffff, s9
	v_mov_b32_e32 v1, s0
	v_cmp_gt_i32_e32 vcc, s4, v0
	v_cndmask_b32_e32 v2, 0, v1, vcc
	v_or_b32_e32 v5, 0x100, v0
	v_mov_b32_e32 v6, 0x5040100
	v_perm_b32 v3, s9, v2, v6
	v_cmp_gt_i32_e64 s[0:1], s4, v5
	v_cndmask_b32_e64 v4, v2, v3, s[0:1]
	v_or_b32_e32 v2, 0x200, v0
	v_cmp_gt_i32_e64 s[0:1], s4, v2
	v_cndmask_b32_e64 v2, 0, v1, s[0:1]
	v_or_b32_e32 v3, 0x300, v0
	v_perm_b32 v7, s9, v2, v6
	v_cmp_gt_i32_e64 s[0:1], s4, v3
	v_cndmask_b32_e64 v3, v2, v7, s[0:1]
	v_or_b32_e32 v2, 0x400, v0
	v_cmp_gt_i32_e64 s[0:1], s4, v2
	v_cndmask_b32_e64 v2, 0, v1, s[0:1]
	v_or_b32_e32 v7, 0x500, v0
	v_perm_b32 v8, s9, v2, v6
	v_cmp_gt_i32_e64 s[0:1], s4, v7
	v_or_b32_e32 v7, 0x600, v0
	v_cndmask_b32_e64 v2, v2, v8, s[0:1]
	v_cmp_gt_i32_e64 s[0:1], s4, v7
	v_cndmask_b32_e64 v1, 0, v1, s[0:1]
	v_or_b32_e32 v7, 0x700, v0
	v_perm_b32 v6, s9, v1, v6
	v_cmp_gt_i32_e64 s[0:1], s4, v7
	v_cndmask_b32_e64 v1, v1, v6, s[0:1]
	s_and_saveexec_b64 s[0:1], vcc
	s_cbranch_execnz .LBB35_13
; %bb.4:
	s_or_b64 exec, exec, s[0:1]
	v_cmp_gt_i32_e32 vcc, s4, v0
	s_and_saveexec_b64 s[0:1], vcc
	s_cbranch_execnz .LBB35_14
.LBB35_5:
	s_or_b64 exec, exec, s[0:1]
	v_cmp_gt_i32_e32 vcc, s4, v0
	s_and_saveexec_b64 s[0:1], vcc
	s_cbranch_execnz .LBB35_15
.LBB35_6:
	s_or_b64 exec, exec, s[0:1]
	v_cmp_gt_i32_e32 vcc, s4, v0
	s_and_saveexec_b64 s[0:1], vcc
	s_cbranch_execnz .LBB35_16
.LBB35_7:
	s_or_b64 exec, exec, s[0:1]
	v_cmp_gt_i32_e32 vcc, s4, v0
	s_and_saveexec_b64 s[0:1], vcc
	s_cbranch_execnz .LBB35_17
.LBB35_8:
	s_or_b64 exec, exec, s[0:1]
	v_cmp_gt_i32_e32 vcc, s4, v0
	s_and_saveexec_b64 s[0:1], vcc
	s_cbranch_execnz .LBB35_18
.LBB35_9:
	s_or_b64 exec, exec, s[0:1]
	v_cmp_gt_i32_e32 vcc, s4, v0
	s_and_saveexec_b64 s[0:1], vcc
	s_cbranch_execnz .LBB35_19
.LBB35_10:
	s_or_b64 exec, exec, s[0:1]
	v_cmp_gt_i32_e32 vcc, s4, v0
	s_and_saveexec_b64 s[0:1], vcc
	s_cbranch_execz .LBB35_12
.LBB35_11:
	v_add_u32_e32 v2, s2, v0
	v_mov_b32_e32 v3, 0
	v_lshlrev_b64 v[2:3], 1, v[2:3]
	v_mov_b32_e32 v0, s11
	v_add_co_u32_e32 v2, vcc, s10, v2
	v_addc_co_u32_e32 v3, vcc, v0, v3, vcc
	global_store_short_d16_hi v[2:3], v1, off
.LBB35_12:
	s_endpgm
.LBB35_13:
	v_or_b32_e32 v6, s2, v0
	v_mov_b32_e32 v7, 0
	v_lshlrev_b64 v[6:7], 1, v[6:7]
	v_mov_b32_e32 v0, s11
	v_add_co_u32_e32 v6, vcc, s10, v6
	v_addc_co_u32_e32 v7, vcc, v0, v7, vcc
	v_mov_b32_e32 v0, v5
	global_store_short v[6:7], v4, off
	s_or_b64 exec, exec, s[0:1]
	v_cmp_gt_i32_e32 vcc, s4, v0
	s_and_saveexec_b64 s[0:1], vcc
	s_cbranch_execz .LBB35_5
.LBB35_14:
	v_add_u32_e32 v5, s2, v0
	v_mov_b32_e32 v6, 0
	v_lshlrev_b64 v[5:6], 1, v[5:6]
	v_mov_b32_e32 v7, s11
	v_add_co_u32_e32 v5, vcc, s10, v5
	v_addc_co_u32_e32 v6, vcc, v7, v6, vcc
	v_add_u32_e32 v0, 0x100, v0
	global_store_short_d16_hi v[5:6], v4, off
	s_or_b64 exec, exec, s[0:1]
	v_cmp_gt_i32_e32 vcc, s4, v0
	s_and_saveexec_b64 s[0:1], vcc
	s_cbranch_execz .LBB35_6
.LBB35_15:
	v_add_u32_e32 v4, s2, v0
	v_mov_b32_e32 v5, 0
	v_lshlrev_b64 v[4:5], 1, v[4:5]
	v_mov_b32_e32 v6, s11
	v_add_co_u32_e32 v4, vcc, s10, v4
	v_addc_co_u32_e32 v5, vcc, v6, v5, vcc
	v_add_u32_e32 v0, 0x100, v0
	global_store_short v[4:5], v3, off
	s_or_b64 exec, exec, s[0:1]
	v_cmp_gt_i32_e32 vcc, s4, v0
	s_and_saveexec_b64 s[0:1], vcc
	s_cbranch_execz .LBB35_7
.LBB35_16:
	v_add_u32_e32 v4, s2, v0
	v_mov_b32_e32 v5, 0
	v_lshlrev_b64 v[4:5], 1, v[4:5]
	v_mov_b32_e32 v6, s11
	v_add_co_u32_e32 v4, vcc, s10, v4
	v_addc_co_u32_e32 v5, vcc, v6, v5, vcc
	v_add_u32_e32 v0, 0x100, v0
	global_store_short_d16_hi v[4:5], v3, off
	s_or_b64 exec, exec, s[0:1]
	v_cmp_gt_i32_e32 vcc, s4, v0
	s_and_saveexec_b64 s[0:1], vcc
	s_cbranch_execz .LBB35_8
.LBB35_17:
	v_add_u32_e32 v3, s2, v0
	v_mov_b32_e32 v4, 0
	v_lshlrev_b64 v[3:4], 1, v[3:4]
	v_mov_b32_e32 v5, s11
	v_add_co_u32_e32 v3, vcc, s10, v3
	v_addc_co_u32_e32 v4, vcc, v5, v4, vcc
	v_add_u32_e32 v0, 0x100, v0
	global_store_short v[3:4], v2, off
	s_or_b64 exec, exec, s[0:1]
	v_cmp_gt_i32_e32 vcc, s4, v0
	s_and_saveexec_b64 s[0:1], vcc
	s_cbranch_execz .LBB35_9
.LBB35_18:
	v_add_u32_e32 v3, s2, v0
	v_mov_b32_e32 v4, 0
	v_lshlrev_b64 v[3:4], 1, v[3:4]
	v_mov_b32_e32 v5, s11
	v_add_co_u32_e32 v3, vcc, s10, v3
	v_addc_co_u32_e32 v4, vcc, v5, v4, vcc
	v_add_u32_e32 v0, 0x100, v0
	global_store_short_d16_hi v[3:4], v2, off
	s_or_b64 exec, exec, s[0:1]
	v_cmp_gt_i32_e32 vcc, s4, v0
	s_and_saveexec_b64 s[0:1], vcc
	s_cbranch_execz .LBB35_10
.LBB35_19:
	v_add_u32_e32 v2, s2, v0
	v_mov_b32_e32 v3, 0
	v_lshlrev_b64 v[2:3], 1, v[2:3]
	v_mov_b32_e32 v4, s11
	v_add_co_u32_e32 v2, vcc, s10, v2
	v_addc_co_u32_e32 v3, vcc, v4, v3, vcc
	v_add_u32_e32 v0, 0x100, v0
	global_store_short v[2:3], v1, off
	s_or_b64 exec, exec, s[0:1]
	v_cmp_gt_i32_e32 vcc, s4, v0
	s_and_saveexec_b64 s[0:1], vcc
	s_cbranch_execnz .LBB35_11
	s_branch .LBB35_12
	.section	.rodata,"a",@progbits
	.p2align	6, 0x0
	.amdhsa_kernel _ZN2at6native29vectorized_elementwise_kernelILi2ENS0_11FillFunctorIsEESt5arrayIPcLm1EEEEviT0_T1_
		.amdhsa_group_segment_fixed_size 0
		.amdhsa_private_segment_fixed_size 0
		.amdhsa_kernarg_size 16
		.amdhsa_user_sgpr_count 6
		.amdhsa_user_sgpr_private_segment_buffer 1
		.amdhsa_user_sgpr_dispatch_ptr 0
		.amdhsa_user_sgpr_queue_ptr 0
		.amdhsa_user_sgpr_kernarg_segment_ptr 1
		.amdhsa_user_sgpr_dispatch_id 0
		.amdhsa_user_sgpr_flat_scratch_init 0
		.amdhsa_user_sgpr_private_segment_size 0
		.amdhsa_uses_dynamic_stack 0
		.amdhsa_system_sgpr_private_segment_wavefront_offset 0
		.amdhsa_system_sgpr_workgroup_id_x 1
		.amdhsa_system_sgpr_workgroup_id_y 0
		.amdhsa_system_sgpr_workgroup_id_z 0
		.amdhsa_system_sgpr_workgroup_info 0
		.amdhsa_system_vgpr_workitem_id 0
		.amdhsa_next_free_vgpr 9
		.amdhsa_next_free_sgpr 12
		.amdhsa_reserve_vcc 1
		.amdhsa_reserve_flat_scratch 0
		.amdhsa_float_round_mode_32 0
		.amdhsa_float_round_mode_16_64 0
		.amdhsa_float_denorm_mode_32 3
		.amdhsa_float_denorm_mode_16_64 3
		.amdhsa_dx10_clamp 1
		.amdhsa_ieee_mode 1
		.amdhsa_fp16_overflow 0
		.amdhsa_exception_fp_ieee_invalid_op 0
		.amdhsa_exception_fp_denorm_src 0
		.amdhsa_exception_fp_ieee_div_zero 0
		.amdhsa_exception_fp_ieee_overflow 0
		.amdhsa_exception_fp_ieee_underflow 0
		.amdhsa_exception_fp_ieee_inexact 0
		.amdhsa_exception_int_div_zero 0
	.end_amdhsa_kernel
	.section	.text._ZN2at6native29vectorized_elementwise_kernelILi2ENS0_11FillFunctorIsEESt5arrayIPcLm1EEEEviT0_T1_,"axG",@progbits,_ZN2at6native29vectorized_elementwise_kernelILi2ENS0_11FillFunctorIsEESt5arrayIPcLm1EEEEviT0_T1_,comdat
.Lfunc_end35:
	.size	_ZN2at6native29vectorized_elementwise_kernelILi2ENS0_11FillFunctorIsEESt5arrayIPcLm1EEEEviT0_T1_, .Lfunc_end35-_ZN2at6native29vectorized_elementwise_kernelILi2ENS0_11FillFunctorIsEESt5arrayIPcLm1EEEEviT0_T1_
                                        ; -- End function
	.set _ZN2at6native29vectorized_elementwise_kernelILi2ENS0_11FillFunctorIsEESt5arrayIPcLm1EEEEviT0_T1_.num_vgpr, 9
	.set _ZN2at6native29vectorized_elementwise_kernelILi2ENS0_11FillFunctorIsEESt5arrayIPcLm1EEEEviT0_T1_.num_agpr, 0
	.set _ZN2at6native29vectorized_elementwise_kernelILi2ENS0_11FillFunctorIsEESt5arrayIPcLm1EEEEviT0_T1_.numbered_sgpr, 12
	.set _ZN2at6native29vectorized_elementwise_kernelILi2ENS0_11FillFunctorIsEESt5arrayIPcLm1EEEEviT0_T1_.num_named_barrier, 0
	.set _ZN2at6native29vectorized_elementwise_kernelILi2ENS0_11FillFunctorIsEESt5arrayIPcLm1EEEEviT0_T1_.private_seg_size, 0
	.set _ZN2at6native29vectorized_elementwise_kernelILi2ENS0_11FillFunctorIsEESt5arrayIPcLm1EEEEviT0_T1_.uses_vcc, 1
	.set _ZN2at6native29vectorized_elementwise_kernelILi2ENS0_11FillFunctorIsEESt5arrayIPcLm1EEEEviT0_T1_.uses_flat_scratch, 0
	.set _ZN2at6native29vectorized_elementwise_kernelILi2ENS0_11FillFunctorIsEESt5arrayIPcLm1EEEEviT0_T1_.has_dyn_sized_stack, 0
	.set _ZN2at6native29vectorized_elementwise_kernelILi2ENS0_11FillFunctorIsEESt5arrayIPcLm1EEEEviT0_T1_.has_recursion, 0
	.set _ZN2at6native29vectorized_elementwise_kernelILi2ENS0_11FillFunctorIsEESt5arrayIPcLm1EEEEviT0_T1_.has_indirect_call, 0
	.section	.AMDGPU.csdata,"",@progbits
; Kernel info:
; codeLenInByte = 912
; TotalNumSgprs: 16
; NumVgprs: 9
; ScratchSize: 0
; MemoryBound: 0
; FloatMode: 240
; IeeeMode: 1
; LDSByteSize: 0 bytes/workgroup (compile time only)
; SGPRBlocks: 1
; VGPRBlocks: 2
; NumSGPRsForWavesPerEU: 16
; NumVGPRsForWavesPerEU: 9
; Occupancy: 10
; WaveLimiterHint : 1
; COMPUTE_PGM_RSRC2:SCRATCH_EN: 0
; COMPUTE_PGM_RSRC2:USER_SGPR: 6
; COMPUTE_PGM_RSRC2:TRAP_HANDLER: 0
; COMPUTE_PGM_RSRC2:TGID_X_EN: 1
; COMPUTE_PGM_RSRC2:TGID_Y_EN: 0
; COMPUTE_PGM_RSRC2:TGID_Z_EN: 0
; COMPUTE_PGM_RSRC2:TIDIG_COMP_CNT: 0
	.section	.text._ZN2at6native27unrolled_elementwise_kernelINS0_11FillFunctorIsEESt5arrayIPcLm1EELi4E23TrivialOffsetCalculatorILi0EjES7_ILi1EjENS0_6memory15LoadWithoutCastENSA_16StoreWithoutCastEEEviT_T0_T2_T3_T4_T5_,"axG",@progbits,_ZN2at6native27unrolled_elementwise_kernelINS0_11FillFunctorIsEESt5arrayIPcLm1EELi4E23TrivialOffsetCalculatorILi0EjES7_ILi1EjENS0_6memory15LoadWithoutCastENSA_16StoreWithoutCastEEEviT_T0_T2_T3_T4_T5_,comdat
	.protected	_ZN2at6native27unrolled_elementwise_kernelINS0_11FillFunctorIsEESt5arrayIPcLm1EELi4E23TrivialOffsetCalculatorILi0EjES7_ILi1EjENS0_6memory15LoadWithoutCastENSA_16StoreWithoutCastEEEviT_T0_T2_T3_T4_T5_ ; -- Begin function _ZN2at6native27unrolled_elementwise_kernelINS0_11FillFunctorIsEESt5arrayIPcLm1EELi4E23TrivialOffsetCalculatorILi0EjES7_ILi1EjENS0_6memory15LoadWithoutCastENSA_16StoreWithoutCastEEEviT_T0_T2_T3_T4_T5_
	.globl	_ZN2at6native27unrolled_elementwise_kernelINS0_11FillFunctorIsEESt5arrayIPcLm1EELi4E23TrivialOffsetCalculatorILi0EjES7_ILi1EjENS0_6memory15LoadWithoutCastENSA_16StoreWithoutCastEEEviT_T0_T2_T3_T4_T5_
	.p2align	8
	.type	_ZN2at6native27unrolled_elementwise_kernelINS0_11FillFunctorIsEESt5arrayIPcLm1EELi4E23TrivialOffsetCalculatorILi0EjES7_ILi1EjENS0_6memory15LoadWithoutCastENSA_16StoreWithoutCastEEEviT_T0_T2_T3_T4_T5_,@function
_ZN2at6native27unrolled_elementwise_kernelINS0_11FillFunctorIsEESt5arrayIPcLm1EELi4E23TrivialOffsetCalculatorILi0EjES7_ILi1EjENS0_6memory15LoadWithoutCastENSA_16StoreWithoutCastEEEviT_T0_T2_T3_T4_T5_: ; @_ZN2at6native27unrolled_elementwise_kernelINS0_11FillFunctorIsEESt5arrayIPcLm1EELi4E23TrivialOffsetCalculatorILi0EjES7_ILi1EjENS0_6memory15LoadWithoutCastENSA_16StoreWithoutCastEEEviT_T0_T2_T3_T4_T5_
; %bb.0:
	s_load_dwordx4 s[8:11], s[4:5], 0x0
	s_lshl_b32 s2, s6, 10
	v_or_b32_e32 v3, 0x100, v0
	v_mov_b32_e32 v4, 0x5040100
	s_waitcnt lgkmcnt(0)
	s_sub_i32 s3, s8, s2
	s_and_b32 s0, 0xffff, s9
	v_mov_b32_e32 v1, s0
	v_cmp_gt_i32_e32 vcc, s3, v0
	v_cndmask_b32_e32 v2, 0, v1, vcc
	v_perm_b32 v5, s9, v2, v4
	v_cmp_gt_i32_e64 s[0:1], s3, v3
	v_cndmask_b32_e64 v2, v2, v5, s[0:1]
	v_or_b32_e32 v5, 0x200, v0
	v_cmp_gt_i32_e64 s[0:1], s3, v5
	v_cndmask_b32_e64 v1, 0, v1, s[0:1]
	v_or_b32_e32 v5, 0x300, v0
	v_perm_b32 v4, s9, v1, v4
	v_cmp_gt_i32_e64 s[0:1], s3, v5
	v_cndmask_b32_e64 v1, v1, v4, s[0:1]
	s_and_saveexec_b64 s[0:1], vcc
	s_cbranch_execnz .LBB36_5
; %bb.1:
	s_or_b64 exec, exec, s[0:1]
	v_cmp_gt_i32_e32 vcc, s3, v0
	s_and_saveexec_b64 s[0:1], vcc
	s_cbranch_execnz .LBB36_6
.LBB36_2:
	s_or_b64 exec, exec, s[0:1]
	v_cmp_gt_i32_e32 vcc, s3, v0
	s_and_saveexec_b64 s[0:1], vcc
	s_cbranch_execnz .LBB36_7
.LBB36_3:
	s_or_b64 exec, exec, s[0:1]
	v_cmp_gt_i32_e32 vcc, s3, v0
	s_and_saveexec_b64 s[0:1], vcc
	s_cbranch_execnz .LBB36_8
.LBB36_4:
	s_endpgm
.LBB36_5:
	v_or_b32_e32 v4, s2, v0
	v_mov_b32_e32 v5, 0
	v_lshlrev_b64 v[4:5], 1, v[4:5]
	v_mov_b32_e32 v0, s11
	v_add_co_u32_e32 v4, vcc, s10, v4
	v_addc_co_u32_e32 v5, vcc, v0, v5, vcc
	v_mov_b32_e32 v0, v3
	global_store_short v[4:5], v2, off
	s_or_b64 exec, exec, s[0:1]
	v_cmp_gt_i32_e32 vcc, s3, v0
	s_and_saveexec_b64 s[0:1], vcc
	s_cbranch_execz .LBB36_2
.LBB36_6:
	v_add_u32_e32 v3, s2, v0
	v_mov_b32_e32 v4, 0
	v_lshlrev_b64 v[3:4], 1, v[3:4]
	v_add_u32_e32 v5, 0x100, v0
	v_mov_b32_e32 v0, s11
	v_add_co_u32_e32 v3, vcc, s10, v3
	v_addc_co_u32_e32 v4, vcc, v0, v4, vcc
	v_mov_b32_e32 v0, v5
	global_store_short_d16_hi v[3:4], v2, off
	s_or_b64 exec, exec, s[0:1]
	v_cmp_gt_i32_e32 vcc, s3, v0
	s_and_saveexec_b64 s[0:1], vcc
	s_cbranch_execz .LBB36_3
.LBB36_7:
	v_add_u32_e32 v2, s2, v0
	v_mov_b32_e32 v3, 0
	v_lshlrev_b64 v[2:3], 1, v[2:3]
	v_add_u32_e32 v4, 0x100, v0
	v_mov_b32_e32 v0, s11
	v_add_co_u32_e32 v2, vcc, s10, v2
	v_addc_co_u32_e32 v3, vcc, v0, v3, vcc
	v_mov_b32_e32 v0, v4
	global_store_short v[2:3], v1, off
	s_or_b64 exec, exec, s[0:1]
	v_cmp_gt_i32_e32 vcc, s3, v0
	s_and_saveexec_b64 s[0:1], vcc
	s_cbranch_execz .LBB36_4
.LBB36_8:
	v_add_u32_e32 v2, s2, v0
	v_mov_b32_e32 v3, 0
	v_lshlrev_b64 v[2:3], 1, v[2:3]
	v_mov_b32_e32 v0, s11
	v_add_co_u32_e32 v2, vcc, s10, v2
	v_addc_co_u32_e32 v3, vcc, v0, v3, vcc
	global_store_short_d16_hi v[2:3], v1, off
	s_endpgm
	.section	.rodata,"a",@progbits
	.p2align	6, 0x0
	.amdhsa_kernel _ZN2at6native27unrolled_elementwise_kernelINS0_11FillFunctorIsEESt5arrayIPcLm1EELi4E23TrivialOffsetCalculatorILi0EjES7_ILi1EjENS0_6memory15LoadWithoutCastENSA_16StoreWithoutCastEEEviT_T0_T2_T3_T4_T5_
		.amdhsa_group_segment_fixed_size 0
		.amdhsa_private_segment_fixed_size 0
		.amdhsa_kernarg_size 20
		.amdhsa_user_sgpr_count 6
		.amdhsa_user_sgpr_private_segment_buffer 1
		.amdhsa_user_sgpr_dispatch_ptr 0
		.amdhsa_user_sgpr_queue_ptr 0
		.amdhsa_user_sgpr_kernarg_segment_ptr 1
		.amdhsa_user_sgpr_dispatch_id 0
		.amdhsa_user_sgpr_flat_scratch_init 0
		.amdhsa_user_sgpr_private_segment_size 0
		.amdhsa_uses_dynamic_stack 0
		.amdhsa_system_sgpr_private_segment_wavefront_offset 0
		.amdhsa_system_sgpr_workgroup_id_x 1
		.amdhsa_system_sgpr_workgroup_id_y 0
		.amdhsa_system_sgpr_workgroup_id_z 0
		.amdhsa_system_sgpr_workgroup_info 0
		.amdhsa_system_vgpr_workitem_id 0
		.amdhsa_next_free_vgpr 6
		.amdhsa_next_free_sgpr 12
		.amdhsa_reserve_vcc 1
		.amdhsa_reserve_flat_scratch 0
		.amdhsa_float_round_mode_32 0
		.amdhsa_float_round_mode_16_64 0
		.amdhsa_float_denorm_mode_32 3
		.amdhsa_float_denorm_mode_16_64 3
		.amdhsa_dx10_clamp 1
		.amdhsa_ieee_mode 1
		.amdhsa_fp16_overflow 0
		.amdhsa_exception_fp_ieee_invalid_op 0
		.amdhsa_exception_fp_denorm_src 0
		.amdhsa_exception_fp_ieee_div_zero 0
		.amdhsa_exception_fp_ieee_overflow 0
		.amdhsa_exception_fp_ieee_underflow 0
		.amdhsa_exception_fp_ieee_inexact 0
		.amdhsa_exception_int_div_zero 0
	.end_amdhsa_kernel
	.section	.text._ZN2at6native27unrolled_elementwise_kernelINS0_11FillFunctorIsEESt5arrayIPcLm1EELi4E23TrivialOffsetCalculatorILi0EjES7_ILi1EjENS0_6memory15LoadWithoutCastENSA_16StoreWithoutCastEEEviT_T0_T2_T3_T4_T5_,"axG",@progbits,_ZN2at6native27unrolled_elementwise_kernelINS0_11FillFunctorIsEESt5arrayIPcLm1EELi4E23TrivialOffsetCalculatorILi0EjES7_ILi1EjENS0_6memory15LoadWithoutCastENSA_16StoreWithoutCastEEEviT_T0_T2_T3_T4_T5_,comdat
.Lfunc_end36:
	.size	_ZN2at6native27unrolled_elementwise_kernelINS0_11FillFunctorIsEESt5arrayIPcLm1EELi4E23TrivialOffsetCalculatorILi0EjES7_ILi1EjENS0_6memory15LoadWithoutCastENSA_16StoreWithoutCastEEEviT_T0_T2_T3_T4_T5_, .Lfunc_end36-_ZN2at6native27unrolled_elementwise_kernelINS0_11FillFunctorIsEESt5arrayIPcLm1EELi4E23TrivialOffsetCalculatorILi0EjES7_ILi1EjENS0_6memory15LoadWithoutCastENSA_16StoreWithoutCastEEEviT_T0_T2_T3_T4_T5_
                                        ; -- End function
	.set _ZN2at6native27unrolled_elementwise_kernelINS0_11FillFunctorIsEESt5arrayIPcLm1EELi4E23TrivialOffsetCalculatorILi0EjES7_ILi1EjENS0_6memory15LoadWithoutCastENSA_16StoreWithoutCastEEEviT_T0_T2_T3_T4_T5_.num_vgpr, 6
	.set _ZN2at6native27unrolled_elementwise_kernelINS0_11FillFunctorIsEESt5arrayIPcLm1EELi4E23TrivialOffsetCalculatorILi0EjES7_ILi1EjENS0_6memory15LoadWithoutCastENSA_16StoreWithoutCastEEEviT_T0_T2_T3_T4_T5_.num_agpr, 0
	.set _ZN2at6native27unrolled_elementwise_kernelINS0_11FillFunctorIsEESt5arrayIPcLm1EELi4E23TrivialOffsetCalculatorILi0EjES7_ILi1EjENS0_6memory15LoadWithoutCastENSA_16StoreWithoutCastEEEviT_T0_T2_T3_T4_T5_.numbered_sgpr, 12
	.set _ZN2at6native27unrolled_elementwise_kernelINS0_11FillFunctorIsEESt5arrayIPcLm1EELi4E23TrivialOffsetCalculatorILi0EjES7_ILi1EjENS0_6memory15LoadWithoutCastENSA_16StoreWithoutCastEEEviT_T0_T2_T3_T4_T5_.num_named_barrier, 0
	.set _ZN2at6native27unrolled_elementwise_kernelINS0_11FillFunctorIsEESt5arrayIPcLm1EELi4E23TrivialOffsetCalculatorILi0EjES7_ILi1EjENS0_6memory15LoadWithoutCastENSA_16StoreWithoutCastEEEviT_T0_T2_T3_T4_T5_.private_seg_size, 0
	.set _ZN2at6native27unrolled_elementwise_kernelINS0_11FillFunctorIsEESt5arrayIPcLm1EELi4E23TrivialOffsetCalculatorILi0EjES7_ILi1EjENS0_6memory15LoadWithoutCastENSA_16StoreWithoutCastEEEviT_T0_T2_T3_T4_T5_.uses_vcc, 1
	.set _ZN2at6native27unrolled_elementwise_kernelINS0_11FillFunctorIsEESt5arrayIPcLm1EELi4E23TrivialOffsetCalculatorILi0EjES7_ILi1EjENS0_6memory15LoadWithoutCastENSA_16StoreWithoutCastEEEviT_T0_T2_T3_T4_T5_.uses_flat_scratch, 0
	.set _ZN2at6native27unrolled_elementwise_kernelINS0_11FillFunctorIsEESt5arrayIPcLm1EELi4E23TrivialOffsetCalculatorILi0EjES7_ILi1EjENS0_6memory15LoadWithoutCastENSA_16StoreWithoutCastEEEviT_T0_T2_T3_T4_T5_.has_dyn_sized_stack, 0
	.set _ZN2at6native27unrolled_elementwise_kernelINS0_11FillFunctorIsEESt5arrayIPcLm1EELi4E23TrivialOffsetCalculatorILi0EjES7_ILi1EjENS0_6memory15LoadWithoutCastENSA_16StoreWithoutCastEEEviT_T0_T2_T3_T4_T5_.has_recursion, 0
	.set _ZN2at6native27unrolled_elementwise_kernelINS0_11FillFunctorIsEESt5arrayIPcLm1EELi4E23TrivialOffsetCalculatorILi0EjES7_ILi1EjENS0_6memory15LoadWithoutCastENSA_16StoreWithoutCastEEEviT_T0_T2_T3_T4_T5_.has_indirect_call, 0
	.section	.AMDGPU.csdata,"",@progbits
; Kernel info:
; codeLenInByte = 420
; TotalNumSgprs: 16
; NumVgprs: 6
; ScratchSize: 0
; MemoryBound: 0
; FloatMode: 240
; IeeeMode: 1
; LDSByteSize: 0 bytes/workgroup (compile time only)
; SGPRBlocks: 1
; VGPRBlocks: 1
; NumSGPRsForWavesPerEU: 16
; NumVGPRsForWavesPerEU: 6
; Occupancy: 10
; WaveLimiterHint : 0
; COMPUTE_PGM_RSRC2:SCRATCH_EN: 0
; COMPUTE_PGM_RSRC2:USER_SGPR: 6
; COMPUTE_PGM_RSRC2:TRAP_HANDLER: 0
; COMPUTE_PGM_RSRC2:TGID_X_EN: 1
; COMPUTE_PGM_RSRC2:TGID_Y_EN: 0
; COMPUTE_PGM_RSRC2:TGID_Z_EN: 0
; COMPUTE_PGM_RSRC2:TIDIG_COMP_CNT: 0
	.section	.text._ZN2at6native32elementwise_kernel_manual_unrollILi128ELi8EZNS0_22gpu_kernel_impl_nocastINS0_11FillFunctorIsEEEEvRNS_18TensorIteratorBaseERKT_EUlibE_EEviT1_,"axG",@progbits,_ZN2at6native32elementwise_kernel_manual_unrollILi128ELi8EZNS0_22gpu_kernel_impl_nocastINS0_11FillFunctorIsEEEEvRNS_18TensorIteratorBaseERKT_EUlibE_EEviT1_,comdat
	.protected	_ZN2at6native32elementwise_kernel_manual_unrollILi128ELi8EZNS0_22gpu_kernel_impl_nocastINS0_11FillFunctorIsEEEEvRNS_18TensorIteratorBaseERKT_EUlibE_EEviT1_ ; -- Begin function _ZN2at6native32elementwise_kernel_manual_unrollILi128ELi8EZNS0_22gpu_kernel_impl_nocastINS0_11FillFunctorIsEEEEvRNS_18TensorIteratorBaseERKT_EUlibE_EEviT1_
	.globl	_ZN2at6native32elementwise_kernel_manual_unrollILi128ELi8EZNS0_22gpu_kernel_impl_nocastINS0_11FillFunctorIsEEEEvRNS_18TensorIteratorBaseERKT_EUlibE_EEviT1_
	.p2align	8
	.type	_ZN2at6native32elementwise_kernel_manual_unrollILi128ELi8EZNS0_22gpu_kernel_impl_nocastINS0_11FillFunctorIsEEEEvRNS_18TensorIteratorBaseERKT_EUlibE_EEviT1_,@function
_ZN2at6native32elementwise_kernel_manual_unrollILi128ELi8EZNS0_22gpu_kernel_impl_nocastINS0_11FillFunctorIsEEEEvRNS_18TensorIteratorBaseERKT_EUlibE_EEviT1_: ; @_ZN2at6native32elementwise_kernel_manual_unrollILi128ELi8EZNS0_22gpu_kernel_impl_nocastINS0_11FillFunctorIsEEEEvRNS_18TensorIteratorBaseERKT_EUlibE_EEviT1_
; %bb.0:
	s_load_dword s48, s[4:5], 0x0
	s_load_dword s33, s[4:5], 0x8
	s_add_u32 s20, s4, 8
	s_addc_u32 s21, s5, 0
	v_lshl_or_b32 v7, s6, 10, v0
	v_or_b32_e32 v9, 0x380, v7
	s_waitcnt lgkmcnt(0)
	s_add_i32 s46, s33, -1
	s_cmp_gt_u32 s46, 1
	v_cmp_le_i32_e32 vcc, s48, v9
	s_cselect_b64 s[22:23], -1, 0
	s_and_saveexec_b64 s[0:1], vcc
	s_xor_b64 s[24:25], exec, s[0:1]
	s_cbranch_execz .LBB37_7
; %bb.1:
	s_load_dwordx4 s[8:11], s[20:21], 0x4
	s_load_dwordx2 s[30:31], s[20:21], 0x14
	s_load_dwordx2 s[28:29], s[20:21], 0xc4
	;; [unrolled: 1-line block ×3, first 2 shown]
	s_load_dword s47, s[20:21], 0x110
	s_cmp_lg_u32 s33, 0
	s_cselect_b64 s[38:39], -1, 0
	s_add_u32 s36, s20, 0xc4
	s_addc_u32 s37, s21, 0
	s_min_u32 s49, s46, 15
	s_cmp_gt_u32 s33, 1
	s_cselect_b64 s[34:35], -1, 0
	v_cmp_gt_i32_e32 vcc, s48, v7
	s_and_saveexec_b64 s[40:41], vcc
	s_cbranch_execz .LBB37_14
; %bb.2:
	s_andn2_b64 vcc, exec, s[22:23]
	s_cbranch_vccnz .LBB37_21
; %bb.3:
	s_andn2_b64 vcc, exec, s[38:39]
	s_cbranch_vccnz .LBB37_129
; %bb.4:
	s_add_i32 s51, s49, 1
	s_cmp_eq_u32 s46, 2
	s_cbranch_scc1 .LBB37_131
; %bb.5:
	s_and_b32 s50, s51, 28
	s_mov_b32 s52, 0
	v_mov_b32_e32 v0, 0
	s_mov_b64 s[42:43], s[20:21]
	s_mov_b64 s[44:45], s[36:37]
	v_mov_b32_e32 v1, v7
.LBB37_6:                               ; =>This Inner Loop Header: Depth=1
	s_load_dwordx8 s[0:7], s[42:43], 0x4
	s_load_dwordx4 s[12:15], s[42:43], 0x24
	s_load_dwordx4 s[16:19], s[44:45], 0x0
	s_add_u32 s42, s42, 48
	s_addc_u32 s43, s43, 0
	s_waitcnt lgkmcnt(0)
	v_mul_hi_u32 v2, s1, v1
	s_add_i32 s52, s52, 4
	s_add_u32 s44, s44, 16
	s_addc_u32 s45, s45, 0
	v_add_u32_e32 v2, v1, v2
	v_lshrrev_b32_e32 v2, s2, v2
	v_mul_lo_u32 v3, v2, s0
	v_mul_hi_u32 v4, s4, v2
	s_cmp_lg_u32 s50, s52
	v_sub_u32_e32 v1, v1, v3
	v_add_u32_e32 v3, v2, v4
	v_lshrrev_b32_e32 v3, s5, v3
	v_mul_lo_u32 v4, v1, s16
	v_mul_hi_u32 v1, s7, v3
	v_mul_lo_u32 v6, v3, s3
	v_add_u32_e32 v1, v3, v1
	v_lshrrev_b32_e32 v5, s12, v1
	v_mul_hi_u32 v1, s14, v5
	v_sub_u32_e32 v2, v2, v6
	v_mul_lo_u32 v6, v5, s6
	v_mul_lo_u32 v2, v2, s17
	v_add_u32_e32 v1, v5, v1
	v_lshrrev_b32_e32 v1, s15, v1
	v_mul_lo_u32 v8, v1, s13
	v_sub_u32_e32 v3, v3, v6
	v_mul_lo_u32 v3, v3, s18
	v_add3_u32 v0, v4, v0, v2
	v_sub_u32_e32 v5, v5, v8
	v_mul_lo_u32 v5, v5, s19
	v_add3_u32 v0, v3, v0, v5
	s_cbranch_scc1 .LBB37_6
	s_branch .LBB37_132
.LBB37_7:
	s_andn2_saveexec_b64 s[0:1], s[24:25]
	s_cbranch_execz .LBB37_221
.LBB37_8:
	v_cndmask_b32_e64 v0, 0, 1, s[22:23]
	v_cmp_ne_u32_e64 s[0:1], 1, v0
	s_andn2_b64 vcc, exec, s[22:23]
	s_cbranch_vccnz .LBB37_20
; %bb.9:
	s_cmp_lg_u32 s33, 0
	s_mov_b32 s24, 0
	s_cbranch_scc0 .LBB37_23
; %bb.10:
	s_min_u32 s25, s46, 15
	s_add_i32 s25, s25, 1
	s_cmp_eq_u32 s46, 2
	s_cbranch_scc1 .LBB37_24
; %bb.11:
	s_and_b32 s24, s25, 28
	s_add_u32 s2, s20, 0xc4
	s_addc_u32 s3, s21, 0
	s_waitcnt lgkmcnt(0)
	s_mov_b32 s26, 0
	v_mov_b32_e32 v0, 0
	s_mov_b64 s[22:23], s[20:21]
	v_mov_b32_e32 v1, v7
.LBB37_12:                              ; =>This Inner Loop Header: Depth=1
	s_load_dwordx8 s[4:11], s[22:23], 0x4
	s_load_dwordx4 s[12:15], s[22:23], 0x24
	s_load_dwordx4 s[16:19], s[2:3], 0x0
	s_add_u32 s22, s22, 48
	s_addc_u32 s23, s23, 0
	s_waitcnt lgkmcnt(0)
	v_mul_hi_u32 v2, s5, v1
	s_add_i32 s26, s26, 4
	s_add_u32 s2, s2, 16
	s_addc_u32 s3, s3, 0
	v_add_u32_e32 v2, v1, v2
	v_lshrrev_b32_e32 v2, s6, v2
	v_mul_lo_u32 v3, v2, s4
	v_mul_hi_u32 v4, s8, v2
	s_cmp_lg_u32 s24, s26
	v_sub_u32_e32 v1, v1, v3
	v_add_u32_e32 v3, v2, v4
	v_lshrrev_b32_e32 v3, s9, v3
	v_mul_lo_u32 v4, v1, s16
	v_mul_hi_u32 v1, s11, v3
	v_mul_lo_u32 v6, v3, s7
	v_add_u32_e32 v1, v3, v1
	v_lshrrev_b32_e32 v5, s12, v1
	v_mul_hi_u32 v1, s14, v5
	v_sub_u32_e32 v2, v2, v6
	v_mul_lo_u32 v6, v5, s10
	v_mul_lo_u32 v2, v2, s17
	v_add_u32_e32 v1, v5, v1
	v_lshrrev_b32_e32 v1, s15, v1
	v_mul_lo_u32 v8, v1, s13
	v_sub_u32_e32 v3, v3, v6
	v_mul_lo_u32 v3, v3, s18
	v_add3_u32 v0, v4, v0, v2
	v_sub_u32_e32 v5, v5, v8
	v_mul_lo_u32 v5, v5, s19
	v_add3_u32 v0, v3, v0, v5
	s_cbranch_scc1 .LBB37_12
; %bb.13:
	s_and_b32 s6, s25, 3
	s_cmp_eq_u32 s6, 0
	s_cbranch_scc0 .LBB37_25
	s_branch .LBB37_27
.LBB37_14:
	s_or_b64 exec, exec, s[40:41]
	v_cmp_gt_i32_e32 vcc, s48, v7
	s_and_saveexec_b64 s[40:41], vcc
	s_cbranch_execz .LBB37_139
.LBB37_15:
	s_andn2_b64 vcc, exec, s[22:23]
	s_cbranch_vccnz .LBB37_22
; %bb.16:
	s_andn2_b64 vcc, exec, s[38:39]
	s_cbranch_vccnz .LBB37_130
; %bb.17:
	s_add_i32 s51, s49, 1
	s_cmp_eq_u32 s46, 2
	s_cbranch_scc1 .LBB37_147
; %bb.18:
	s_and_b32 s50, s51, 28
	s_mov_b32 s52, 0
	v_mov_b32_e32 v0, 0
	s_mov_b64 s[42:43], s[20:21]
	s_mov_b64 s[44:45], s[36:37]
	v_mov_b32_e32 v1, v7
.LBB37_19:                              ; =>This Inner Loop Header: Depth=1
	s_load_dwordx8 s[0:7], s[42:43], 0x4
	s_load_dwordx4 s[12:15], s[42:43], 0x24
	s_load_dwordx4 s[16:19], s[44:45], 0x0
	s_add_u32 s42, s42, 48
	s_addc_u32 s43, s43, 0
	s_waitcnt lgkmcnt(0)
	v_mul_hi_u32 v2, s1, v1
	s_add_i32 s52, s52, 4
	s_add_u32 s44, s44, 16
	s_addc_u32 s45, s45, 0
	v_add_u32_e32 v2, v1, v2
	v_lshrrev_b32_e32 v2, s2, v2
	v_mul_lo_u32 v3, v2, s0
	v_mul_hi_u32 v4, s4, v2
	s_cmp_eq_u32 s50, s52
	v_sub_u32_e32 v1, v1, v3
	v_add_u32_e32 v3, v2, v4
	v_lshrrev_b32_e32 v3, s5, v3
	v_mul_lo_u32 v4, v1, s16
	v_mul_hi_u32 v1, s7, v3
	v_mul_lo_u32 v6, v3, s3
	v_add_u32_e32 v1, v3, v1
	v_lshrrev_b32_e32 v5, s12, v1
	v_mul_hi_u32 v1, s14, v5
	v_sub_u32_e32 v2, v2, v6
	v_mul_lo_u32 v6, v5, s6
	v_mul_lo_u32 v2, v2, s17
	v_add_u32_e32 v1, v5, v1
	v_lshrrev_b32_e32 v1, s15, v1
	v_mul_lo_u32 v8, v1, s13
	v_sub_u32_e32 v3, v3, v6
	v_mul_lo_u32 v3, v3, s18
	v_add3_u32 v0, v4, v0, v2
	v_sub_u32_e32 v5, v5, v8
	v_mul_lo_u32 v5, v5, s19
	v_add3_u32 v0, v3, v0, v5
	s_cbranch_scc0 .LBB37_19
	s_branch .LBB37_148
.LBB37_20:
                                        ; implicit-def: $vgpr0
	s_branch .LBB37_28
.LBB37_21:
                                        ; implicit-def: $vgpr0
	s_branch .LBB37_136
.LBB37_22:
                                        ; implicit-def: $vgpr0
	s_branch .LBB37_152
.LBB37_23:
	v_mov_b32_e32 v0, 0
	s_branch .LBB37_27
.LBB37_24:
	v_mov_b32_e32 v0, 0
	v_mov_b32_e32 v1, v7
	s_and_b32 s6, s25, 3
	s_cmp_eq_u32 s6, 0
	s_cbranch_scc1 .LBB37_27
.LBB37_25:
	s_lshl_b32 s2, s24, 2
	s_add_u32 s2, s20, s2
	s_addc_u32 s3, s21, 0
	s_add_u32 s2, s2, 0xc4
	s_addc_u32 s3, s3, 0
	s_mul_i32 s4, s24, 12
	s_add_u32 s4, s20, s4
	s_addc_u32 s5, s21, 0
.LBB37_26:                              ; =>This Inner Loop Header: Depth=1
	s_waitcnt lgkmcnt(0)
	s_load_dwordx2 s[8:9], s[4:5], 0x4
	s_load_dword s7, s[4:5], 0xc
	s_add_u32 s4, s4, 12
	s_addc_u32 s5, s5, 0
	s_waitcnt lgkmcnt(0)
	v_mul_hi_u32 v2, s9, v1
	s_load_dword s9, s[2:3], 0x0
	s_add_u32 s2, s2, 4
	s_addc_u32 s3, s3, 0
	v_add_u32_e32 v2, v1, v2
	v_lshrrev_b32_e32 v2, s7, v2
	v_mul_lo_u32 v3, v2, s8
	s_add_i32 s6, s6, -1
	s_cmp_lg_u32 s6, 0
	v_sub_u32_e32 v1, v1, v3
	s_waitcnt lgkmcnt(0)
	v_mad_u64_u32 v[0:1], s[8:9], v1, s9, v[0:1]
	v_mov_b32_e32 v1, v2
	s_cbranch_scc1 .LBB37_26
.LBB37_27:
	s_cbranch_execnz .LBB37_30
.LBB37_28:
	s_load_dwordx4 s[4:7], s[20:21], 0x4
	s_load_dword s2, s[20:21], 0xc4
	s_cmp_lt_u32 s33, 2
	s_waitcnt lgkmcnt(0)
	v_mul_hi_u32 v0, s5, v7
	v_add_u32_e32 v0, v7, v0
	v_lshrrev_b32_e32 v1, s6, v0
	v_mul_lo_u32 v0, v1, s4
	v_sub_u32_e32 v0, v7, v0
	v_mul_lo_u32 v0, v0, s2
	s_cbranch_scc1 .LBB37_30
; %bb.29:
	s_load_dwordx4 s[4:7], s[20:21], 0x10
	s_load_dword s2, s[20:21], 0xc8
	s_waitcnt lgkmcnt(0)
	v_mul_hi_u32 v2, s5, v1
	v_add_u32_e32 v2, v1, v2
	v_lshrrev_b32_e32 v2, s6, v2
	v_mul_lo_u32 v2, v2, s4
	v_sub_u32_e32 v1, v1, v2
	v_mad_u64_u32 v[0:1], s[2:3], v1, s2, v[0:1]
.LBB37_30:
	s_and_b64 vcc, exec, s[0:1]
	v_add_u32_e32 v3, 0x80, v7
	s_cbranch_vccnz .LBB37_36
; %bb.31:
	s_cmp_lg_u32 s33, 0
	s_mov_b32 s24, 0
	s_cbranch_scc0 .LBB37_37
; %bb.32:
	s_min_u32 s25, s46, 15
	s_add_i32 s25, s25, 1
	s_cmp_eq_u32 s46, 2
	s_cbranch_scc1 .LBB37_38
; %bb.33:
	s_and_b32 s24, s25, 28
	s_add_u32 s2, s20, 0xc4
	s_addc_u32 s3, s21, 0
	s_waitcnt lgkmcnt(0)
	s_mov_b32 s26, 0
	v_mov_b32_e32 v1, 0
	s_mov_b64 s[22:23], s[20:21]
	v_mov_b32_e32 v2, v3
.LBB37_34:                              ; =>This Inner Loop Header: Depth=1
	s_load_dwordx8 s[4:11], s[22:23], 0x4
	s_load_dwordx4 s[12:15], s[22:23], 0x24
	s_load_dwordx4 s[16:19], s[2:3], 0x0
	s_add_u32 s22, s22, 48
	s_addc_u32 s23, s23, 0
	s_waitcnt lgkmcnt(0)
	v_mul_hi_u32 v4, s5, v2
	s_add_i32 s26, s26, 4
	s_add_u32 s2, s2, 16
	s_addc_u32 s3, s3, 0
	v_add_u32_e32 v4, v2, v4
	v_lshrrev_b32_e32 v4, s6, v4
	v_mul_lo_u32 v5, v4, s4
	v_mul_hi_u32 v6, s8, v4
	s_cmp_lg_u32 s24, s26
	v_sub_u32_e32 v2, v2, v5
	v_add_u32_e32 v5, v4, v6
	v_lshrrev_b32_e32 v5, s9, v5
	v_mul_lo_u32 v6, v2, s16
	v_mul_hi_u32 v2, s11, v5
	v_mul_lo_u32 v10, v5, s7
	v_add_u32_e32 v2, v5, v2
	v_lshrrev_b32_e32 v8, s12, v2
	v_mul_hi_u32 v2, s14, v8
	v_sub_u32_e32 v4, v4, v10
	v_mul_lo_u32 v10, v8, s10
	v_mul_lo_u32 v4, v4, s17
	v_add_u32_e32 v2, v8, v2
	v_lshrrev_b32_e32 v2, s15, v2
	v_mul_lo_u32 v11, v2, s13
	v_sub_u32_e32 v5, v5, v10
	v_mul_lo_u32 v5, v5, s18
	v_add3_u32 v1, v6, v1, v4
	v_sub_u32_e32 v8, v8, v11
	v_mul_lo_u32 v8, v8, s19
	v_add3_u32 v1, v5, v1, v8
	s_cbranch_scc1 .LBB37_34
; %bb.35:
	s_and_b32 s6, s25, 3
	s_cmp_eq_u32 s6, 0
	s_cbranch_scc0 .LBB37_39
	s_branch .LBB37_41
.LBB37_36:
                                        ; implicit-def: $vgpr1
	s_branch .LBB37_42
.LBB37_37:
	v_mov_b32_e32 v1, 0
	s_branch .LBB37_41
.LBB37_38:
	v_mov_b32_e32 v1, 0
	v_mov_b32_e32 v2, v3
	s_and_b32 s6, s25, 3
	s_cmp_eq_u32 s6, 0
	s_cbranch_scc1 .LBB37_41
.LBB37_39:
	s_lshl_b32 s2, s24, 2
	s_add_u32 s2, s20, s2
	s_addc_u32 s3, s21, 0
	s_add_u32 s2, s2, 0xc4
	s_addc_u32 s3, s3, 0
	s_mul_i32 s4, s24, 12
	s_add_u32 s4, s20, s4
	s_addc_u32 s5, s21, 0
.LBB37_40:                              ; =>This Inner Loop Header: Depth=1
	s_waitcnt lgkmcnt(0)
	s_load_dwordx2 s[8:9], s[4:5], 0x4
	s_load_dword s7, s[4:5], 0xc
	s_add_u32 s4, s4, 12
	s_addc_u32 s5, s5, 0
	s_waitcnt lgkmcnt(0)
	v_mul_hi_u32 v4, s9, v2
	s_load_dword s9, s[2:3], 0x0
	s_add_u32 s2, s2, 4
	s_addc_u32 s3, s3, 0
	v_add_u32_e32 v4, v2, v4
	v_lshrrev_b32_e32 v4, s7, v4
	v_mul_lo_u32 v5, v4, s8
	s_add_i32 s6, s6, -1
	s_cmp_lg_u32 s6, 0
	v_sub_u32_e32 v2, v2, v5
	s_waitcnt lgkmcnt(0)
	v_mad_u64_u32 v[1:2], s[8:9], v2, s9, v[1:2]
	v_mov_b32_e32 v2, v4
	s_cbranch_scc1 .LBB37_40
.LBB37_41:
	s_cbranch_execnz .LBB37_44
.LBB37_42:
	s_load_dwordx4 s[4:7], s[20:21], 0x4
	s_load_dword s2, s[20:21], 0xc4
	s_cmp_lt_u32 s33, 2
	s_waitcnt lgkmcnt(0)
	v_mul_hi_u32 v1, s5, v3
	v_add_u32_e32 v1, v3, v1
	v_lshrrev_b32_e32 v2, s6, v1
	v_mul_lo_u32 v1, v2, s4
	v_sub_u32_e32 v1, v3, v1
	v_mul_lo_u32 v1, v1, s2
	s_cbranch_scc1 .LBB37_44
; %bb.43:
	s_load_dwordx4 s[4:7], s[20:21], 0x10
	s_load_dword s2, s[20:21], 0xc8
	s_waitcnt lgkmcnt(0)
	v_mul_hi_u32 v3, s5, v2
	v_add_u32_e32 v3, v2, v3
	v_lshrrev_b32_e32 v3, s6, v3
	v_mul_lo_u32 v3, v3, s4
	v_sub_u32_e32 v2, v2, v3
	v_mad_u64_u32 v[1:2], s[2:3], v2, s2, v[1:2]
.LBB37_44:
	s_and_b64 vcc, exec, s[0:1]
	v_add_u32_e32 v4, 0x100, v7
	s_cbranch_vccnz .LBB37_50
; %bb.45:
	s_cmp_lg_u32 s33, 0
	s_mov_b32 s24, 0
	s_cbranch_scc0 .LBB37_51
; %bb.46:
	s_min_u32 s25, s46, 15
	s_add_i32 s25, s25, 1
	s_cmp_eq_u32 s46, 2
	s_cbranch_scc1 .LBB37_52
; %bb.47:
	s_and_b32 s24, s25, 28
	s_add_u32 s2, s20, 0xc4
	s_addc_u32 s3, s21, 0
	s_waitcnt lgkmcnt(0)
	s_mov_b32 s26, 0
	v_mov_b32_e32 v2, 0
	s_mov_b64 s[22:23], s[20:21]
	v_mov_b32_e32 v3, v4
.LBB37_48:                              ; =>This Inner Loop Header: Depth=1
	s_load_dwordx8 s[4:11], s[22:23], 0x4
	s_load_dwordx4 s[12:15], s[22:23], 0x24
	s_load_dwordx4 s[16:19], s[2:3], 0x0
	s_add_u32 s22, s22, 48
	s_addc_u32 s23, s23, 0
	s_waitcnt lgkmcnt(0)
	v_mul_hi_u32 v5, s5, v3
	s_add_i32 s26, s26, 4
	s_add_u32 s2, s2, 16
	s_addc_u32 s3, s3, 0
	v_add_u32_e32 v5, v3, v5
	v_lshrrev_b32_e32 v5, s6, v5
	v_mul_lo_u32 v6, v5, s4
	v_mul_hi_u32 v8, s8, v5
	s_cmp_lg_u32 s24, s26
	v_sub_u32_e32 v3, v3, v6
	v_add_u32_e32 v6, v5, v8
	v_lshrrev_b32_e32 v6, s9, v6
	v_mul_lo_u32 v8, v3, s16
	v_mul_hi_u32 v3, s11, v6
	v_mul_lo_u32 v11, v6, s7
	v_add_u32_e32 v3, v6, v3
	v_lshrrev_b32_e32 v10, s12, v3
	v_mul_hi_u32 v3, s14, v10
	v_sub_u32_e32 v5, v5, v11
	v_mul_lo_u32 v11, v10, s10
	v_mul_lo_u32 v5, v5, s17
	v_add_u32_e32 v3, v10, v3
	v_lshrrev_b32_e32 v3, s15, v3
	v_mul_lo_u32 v12, v3, s13
	v_sub_u32_e32 v6, v6, v11
	v_mul_lo_u32 v6, v6, s18
	v_add3_u32 v2, v8, v2, v5
	v_sub_u32_e32 v10, v10, v12
	v_mul_lo_u32 v10, v10, s19
	v_add3_u32 v2, v6, v2, v10
	s_cbranch_scc1 .LBB37_48
; %bb.49:
	s_and_b32 s6, s25, 3
	s_cmp_eq_u32 s6, 0
	s_cbranch_scc0 .LBB37_53
	s_branch .LBB37_55
.LBB37_50:
                                        ; implicit-def: $vgpr2
	s_branch .LBB37_56
.LBB37_51:
	v_mov_b32_e32 v2, 0
	s_branch .LBB37_55
.LBB37_52:
	v_mov_b32_e32 v2, 0
	v_mov_b32_e32 v3, v4
	s_and_b32 s6, s25, 3
	s_cmp_eq_u32 s6, 0
	s_cbranch_scc1 .LBB37_55
.LBB37_53:
	s_lshl_b32 s2, s24, 2
	s_add_u32 s2, s20, s2
	s_addc_u32 s3, s21, 0
	s_add_u32 s2, s2, 0xc4
	s_addc_u32 s3, s3, 0
	s_mul_i32 s4, s24, 12
	s_add_u32 s4, s20, s4
	s_addc_u32 s5, s21, 0
.LBB37_54:                              ; =>This Inner Loop Header: Depth=1
	s_waitcnt lgkmcnt(0)
	s_load_dwordx2 s[8:9], s[4:5], 0x4
	s_load_dword s7, s[4:5], 0xc
	s_add_u32 s4, s4, 12
	s_addc_u32 s5, s5, 0
	s_waitcnt lgkmcnt(0)
	v_mul_hi_u32 v5, s9, v3
	s_load_dword s9, s[2:3], 0x0
	s_add_u32 s2, s2, 4
	s_addc_u32 s3, s3, 0
	v_add_u32_e32 v5, v3, v5
	v_lshrrev_b32_e32 v5, s7, v5
	v_mul_lo_u32 v6, v5, s8
	s_add_i32 s6, s6, -1
	s_cmp_lg_u32 s6, 0
	v_sub_u32_e32 v3, v3, v6
	s_waitcnt lgkmcnt(0)
	v_mad_u64_u32 v[2:3], s[8:9], v3, s9, v[2:3]
	v_mov_b32_e32 v3, v5
	s_cbranch_scc1 .LBB37_54
.LBB37_55:
	s_cbranch_execnz .LBB37_58
.LBB37_56:
	s_load_dwordx4 s[4:7], s[20:21], 0x4
	s_load_dword s2, s[20:21], 0xc4
	s_cmp_lt_u32 s33, 2
	s_waitcnt lgkmcnt(0)
	v_mul_hi_u32 v2, s5, v4
	v_add_u32_e32 v2, v4, v2
	v_lshrrev_b32_e32 v3, s6, v2
	v_mul_lo_u32 v2, v3, s4
	v_sub_u32_e32 v2, v4, v2
	v_mul_lo_u32 v2, v2, s2
	s_cbranch_scc1 .LBB37_58
; %bb.57:
	s_load_dwordx4 s[4:7], s[20:21], 0x10
	s_load_dword s2, s[20:21], 0xc8
	s_waitcnt lgkmcnt(0)
	v_mul_hi_u32 v4, s5, v3
	v_add_u32_e32 v4, v3, v4
	v_lshrrev_b32_e32 v4, s6, v4
	v_mul_lo_u32 v4, v4, s4
	v_sub_u32_e32 v3, v3, v4
	v_mad_u64_u32 v[2:3], s[2:3], v3, s2, v[2:3]
.LBB37_58:
	s_and_b64 vcc, exec, s[0:1]
	v_add_u32_e32 v5, 0x180, v7
	s_cbranch_vccnz .LBB37_64
; %bb.59:
	s_cmp_lg_u32 s33, 0
	s_mov_b32 s24, 0
	s_cbranch_scc0 .LBB37_65
; %bb.60:
	s_min_u32 s25, s46, 15
	s_add_i32 s25, s25, 1
	s_cmp_eq_u32 s46, 2
	s_cbranch_scc1 .LBB37_66
; %bb.61:
	s_and_b32 s24, s25, 28
	s_add_u32 s2, s20, 0xc4
	s_addc_u32 s3, s21, 0
	s_waitcnt lgkmcnt(0)
	s_mov_b32 s26, 0
	v_mov_b32_e32 v3, 0
	s_mov_b64 s[22:23], s[20:21]
	v_mov_b32_e32 v4, v5
.LBB37_62:                              ; =>This Inner Loop Header: Depth=1
	s_load_dwordx8 s[4:11], s[22:23], 0x4
	s_load_dwordx4 s[12:15], s[22:23], 0x24
	s_load_dwordx4 s[16:19], s[2:3], 0x0
	s_add_u32 s22, s22, 48
	s_addc_u32 s23, s23, 0
	s_waitcnt lgkmcnt(0)
	v_mul_hi_u32 v6, s5, v4
	s_add_i32 s26, s26, 4
	s_add_u32 s2, s2, 16
	s_addc_u32 s3, s3, 0
	v_add_u32_e32 v6, v4, v6
	v_lshrrev_b32_e32 v6, s6, v6
	v_mul_lo_u32 v8, v6, s4
	v_mul_hi_u32 v10, s8, v6
	s_cmp_lg_u32 s24, s26
	v_sub_u32_e32 v4, v4, v8
	v_add_u32_e32 v8, v6, v10
	v_lshrrev_b32_e32 v8, s9, v8
	v_mul_lo_u32 v10, v4, s16
	v_mul_hi_u32 v4, s11, v8
	v_mul_lo_u32 v12, v8, s7
	v_add_u32_e32 v4, v8, v4
	v_lshrrev_b32_e32 v11, s12, v4
	v_mul_hi_u32 v4, s14, v11
	v_sub_u32_e32 v6, v6, v12
	v_mul_lo_u32 v12, v11, s10
	v_mul_lo_u32 v6, v6, s17
	v_add_u32_e32 v4, v11, v4
	v_lshrrev_b32_e32 v4, s15, v4
	v_mul_lo_u32 v13, v4, s13
	v_sub_u32_e32 v8, v8, v12
	v_mul_lo_u32 v8, v8, s18
	v_add3_u32 v3, v10, v3, v6
	v_sub_u32_e32 v11, v11, v13
	v_mul_lo_u32 v11, v11, s19
	v_add3_u32 v3, v8, v3, v11
	s_cbranch_scc1 .LBB37_62
; %bb.63:
	s_and_b32 s6, s25, 3
	s_cmp_eq_u32 s6, 0
	s_cbranch_scc0 .LBB37_67
	s_branch .LBB37_69
.LBB37_64:
                                        ; implicit-def: $vgpr3
	s_branch .LBB37_70
.LBB37_65:
	v_mov_b32_e32 v3, 0
	s_branch .LBB37_69
.LBB37_66:
	v_mov_b32_e32 v3, 0
	v_mov_b32_e32 v4, v5
	s_and_b32 s6, s25, 3
	s_cmp_eq_u32 s6, 0
	s_cbranch_scc1 .LBB37_69
.LBB37_67:
	s_lshl_b32 s2, s24, 2
	s_add_u32 s2, s20, s2
	s_addc_u32 s3, s21, 0
	s_add_u32 s2, s2, 0xc4
	s_addc_u32 s3, s3, 0
	s_mul_i32 s4, s24, 12
	s_add_u32 s4, s20, s4
	s_addc_u32 s5, s21, 0
.LBB37_68:                              ; =>This Inner Loop Header: Depth=1
	s_waitcnt lgkmcnt(0)
	s_load_dwordx2 s[8:9], s[4:5], 0x4
	s_load_dword s7, s[4:5], 0xc
	s_add_u32 s4, s4, 12
	s_addc_u32 s5, s5, 0
	s_waitcnt lgkmcnt(0)
	v_mul_hi_u32 v6, s9, v4
	s_load_dword s9, s[2:3], 0x0
	s_add_u32 s2, s2, 4
	s_addc_u32 s3, s3, 0
	v_add_u32_e32 v6, v4, v6
	v_lshrrev_b32_e32 v6, s7, v6
	v_mul_lo_u32 v8, v6, s8
	s_add_i32 s6, s6, -1
	s_cmp_lg_u32 s6, 0
	v_sub_u32_e32 v4, v4, v8
	s_waitcnt lgkmcnt(0)
	v_mad_u64_u32 v[3:4], s[8:9], v4, s9, v[3:4]
	v_mov_b32_e32 v4, v6
	s_cbranch_scc1 .LBB37_68
.LBB37_69:
	s_cbranch_execnz .LBB37_72
.LBB37_70:
	s_load_dwordx4 s[4:7], s[20:21], 0x4
	s_load_dword s2, s[20:21], 0xc4
	s_cmp_lt_u32 s33, 2
	s_waitcnt lgkmcnt(0)
	v_mul_hi_u32 v3, s5, v5
	v_add_u32_e32 v3, v5, v3
	v_lshrrev_b32_e32 v4, s6, v3
	v_mul_lo_u32 v3, v4, s4
	v_sub_u32_e32 v3, v5, v3
	v_mul_lo_u32 v3, v3, s2
	s_cbranch_scc1 .LBB37_72
; %bb.71:
	s_load_dwordx4 s[4:7], s[20:21], 0x10
	s_load_dword s2, s[20:21], 0xc8
	s_waitcnt lgkmcnt(0)
	v_mul_hi_u32 v5, s5, v4
	v_add_u32_e32 v5, v4, v5
	v_lshrrev_b32_e32 v5, s6, v5
	v_mul_lo_u32 v5, v5, s4
	v_sub_u32_e32 v4, v4, v5
	v_mad_u64_u32 v[3:4], s[2:3], v4, s2, v[3:4]
.LBB37_72:
	s_and_b64 vcc, exec, s[0:1]
	v_add_u32_e32 v6, 0x200, v7
	s_cbranch_vccnz .LBB37_78
; %bb.73:
	s_cmp_lg_u32 s33, 0
	s_mov_b32 s24, 0
	s_cbranch_scc0 .LBB37_79
; %bb.74:
	s_min_u32 s25, s46, 15
	s_add_i32 s25, s25, 1
	s_cmp_eq_u32 s46, 2
	s_cbranch_scc1 .LBB37_80
; %bb.75:
	s_and_b32 s24, s25, 28
	s_add_u32 s2, s20, 0xc4
	s_addc_u32 s3, s21, 0
	s_waitcnt lgkmcnt(0)
	s_mov_b32 s26, 0
	v_mov_b32_e32 v4, 0
	s_mov_b64 s[22:23], s[20:21]
	v_mov_b32_e32 v5, v6
.LBB37_76:                              ; =>This Inner Loop Header: Depth=1
	s_load_dwordx8 s[4:11], s[22:23], 0x4
	s_load_dwordx4 s[12:15], s[22:23], 0x24
	s_load_dwordx4 s[16:19], s[2:3], 0x0
	s_add_u32 s22, s22, 48
	s_addc_u32 s23, s23, 0
	s_waitcnt lgkmcnt(0)
	v_mul_hi_u32 v8, s5, v5
	s_add_i32 s26, s26, 4
	s_add_u32 s2, s2, 16
	s_addc_u32 s3, s3, 0
	v_add_u32_e32 v8, v5, v8
	v_lshrrev_b32_e32 v8, s6, v8
	v_mul_lo_u32 v10, v8, s4
	v_mul_hi_u32 v11, s8, v8
	s_cmp_lg_u32 s24, s26
	v_sub_u32_e32 v5, v5, v10
	v_add_u32_e32 v10, v8, v11
	v_lshrrev_b32_e32 v10, s9, v10
	v_mul_lo_u32 v11, v5, s16
	v_mul_hi_u32 v5, s11, v10
	v_mul_lo_u32 v13, v10, s7
	v_add_u32_e32 v5, v10, v5
	v_lshrrev_b32_e32 v12, s12, v5
	v_mul_hi_u32 v5, s14, v12
	v_sub_u32_e32 v8, v8, v13
	v_mul_lo_u32 v13, v12, s10
	v_mul_lo_u32 v8, v8, s17
	v_add_u32_e32 v5, v12, v5
	v_lshrrev_b32_e32 v5, s15, v5
	v_mul_lo_u32 v14, v5, s13
	v_sub_u32_e32 v10, v10, v13
	v_mul_lo_u32 v10, v10, s18
	v_add3_u32 v4, v11, v4, v8
	v_sub_u32_e32 v12, v12, v14
	v_mul_lo_u32 v12, v12, s19
	v_add3_u32 v4, v10, v4, v12
	s_cbranch_scc1 .LBB37_76
; %bb.77:
	s_and_b32 s6, s25, 3
	s_cmp_eq_u32 s6, 0
	s_cbranch_scc0 .LBB37_81
	s_branch .LBB37_83
.LBB37_78:
                                        ; implicit-def: $vgpr4
	s_branch .LBB37_84
.LBB37_79:
	v_mov_b32_e32 v4, 0
	s_branch .LBB37_83
.LBB37_80:
	v_mov_b32_e32 v4, 0
	v_mov_b32_e32 v5, v6
	s_and_b32 s6, s25, 3
	s_cmp_eq_u32 s6, 0
	s_cbranch_scc1 .LBB37_83
.LBB37_81:
	s_lshl_b32 s2, s24, 2
	s_add_u32 s2, s20, s2
	s_addc_u32 s3, s21, 0
	s_add_u32 s2, s2, 0xc4
	s_addc_u32 s3, s3, 0
	s_mul_i32 s4, s24, 12
	s_add_u32 s4, s20, s4
	s_addc_u32 s5, s21, 0
.LBB37_82:                              ; =>This Inner Loop Header: Depth=1
	s_waitcnt lgkmcnt(0)
	s_load_dwordx2 s[8:9], s[4:5], 0x4
	s_load_dword s7, s[4:5], 0xc
	s_add_u32 s4, s4, 12
	s_addc_u32 s5, s5, 0
	s_waitcnt lgkmcnt(0)
	v_mul_hi_u32 v8, s9, v5
	s_load_dword s9, s[2:3], 0x0
	s_add_u32 s2, s2, 4
	s_addc_u32 s3, s3, 0
	v_add_u32_e32 v8, v5, v8
	v_lshrrev_b32_e32 v8, s7, v8
	v_mul_lo_u32 v10, v8, s8
	s_add_i32 s6, s6, -1
	s_cmp_lg_u32 s6, 0
	v_sub_u32_e32 v5, v5, v10
	s_waitcnt lgkmcnt(0)
	v_mad_u64_u32 v[4:5], s[8:9], v5, s9, v[4:5]
	v_mov_b32_e32 v5, v8
	s_cbranch_scc1 .LBB37_82
.LBB37_83:
	s_cbranch_execnz .LBB37_86
.LBB37_84:
	s_load_dwordx4 s[4:7], s[20:21], 0x4
	s_load_dword s2, s[20:21], 0xc4
	s_cmp_lt_u32 s33, 2
	s_waitcnt lgkmcnt(0)
	v_mul_hi_u32 v4, s5, v6
	v_add_u32_e32 v4, v6, v4
	v_lshrrev_b32_e32 v5, s6, v4
	v_mul_lo_u32 v4, v5, s4
	v_sub_u32_e32 v4, v6, v4
	v_mul_lo_u32 v4, v4, s2
	s_cbranch_scc1 .LBB37_86
; %bb.85:
	s_load_dwordx4 s[4:7], s[20:21], 0x10
	s_load_dword s2, s[20:21], 0xc8
	s_waitcnt lgkmcnt(0)
	v_mul_hi_u32 v6, s5, v5
	v_add_u32_e32 v6, v5, v6
	v_lshrrev_b32_e32 v6, s6, v6
	v_mul_lo_u32 v6, v6, s4
	v_sub_u32_e32 v5, v5, v6
	v_mad_u64_u32 v[4:5], s[2:3], v5, s2, v[4:5]
.LBB37_86:
	s_and_b64 vcc, exec, s[0:1]
	v_add_u32_e32 v8, 0x280, v7
	s_cbranch_vccnz .LBB37_92
; %bb.87:
	s_cmp_lg_u32 s33, 0
	s_mov_b32 s24, 0
	s_cbranch_scc0 .LBB37_93
; %bb.88:
	s_min_u32 s25, s46, 15
	s_add_i32 s25, s25, 1
	s_cmp_eq_u32 s46, 2
	s_cbranch_scc1 .LBB37_94
; %bb.89:
	s_and_b32 s24, s25, 28
	s_add_u32 s2, s20, 0xc4
	s_addc_u32 s3, s21, 0
	s_waitcnt lgkmcnt(0)
	s_mov_b32 s26, 0
	v_mov_b32_e32 v5, 0
	s_mov_b64 s[22:23], s[20:21]
	v_mov_b32_e32 v6, v8
.LBB37_90:                              ; =>This Inner Loop Header: Depth=1
	s_load_dwordx8 s[4:11], s[22:23], 0x4
	s_load_dwordx4 s[12:15], s[22:23], 0x24
	s_load_dwordx4 s[16:19], s[2:3], 0x0
	s_add_u32 s22, s22, 48
	s_addc_u32 s23, s23, 0
	s_waitcnt lgkmcnt(0)
	v_mul_hi_u32 v10, s5, v6
	s_add_i32 s26, s26, 4
	s_add_u32 s2, s2, 16
	s_addc_u32 s3, s3, 0
	v_add_u32_e32 v10, v6, v10
	v_lshrrev_b32_e32 v10, s6, v10
	v_mul_lo_u32 v11, v10, s4
	v_mul_hi_u32 v12, s8, v10
	s_cmp_lg_u32 s24, s26
	v_sub_u32_e32 v6, v6, v11
	v_add_u32_e32 v11, v10, v12
	v_lshrrev_b32_e32 v11, s9, v11
	v_mul_lo_u32 v12, v6, s16
	v_mul_hi_u32 v6, s11, v11
	v_mul_lo_u32 v14, v11, s7
	v_add_u32_e32 v6, v11, v6
	v_lshrrev_b32_e32 v13, s12, v6
	v_mul_hi_u32 v6, s14, v13
	v_sub_u32_e32 v10, v10, v14
	v_mul_lo_u32 v14, v13, s10
	v_mul_lo_u32 v10, v10, s17
	v_add_u32_e32 v6, v13, v6
	v_lshrrev_b32_e32 v6, s15, v6
	v_mul_lo_u32 v15, v6, s13
	v_sub_u32_e32 v11, v11, v14
	v_mul_lo_u32 v11, v11, s18
	v_add3_u32 v5, v12, v5, v10
	v_sub_u32_e32 v13, v13, v15
	v_mul_lo_u32 v13, v13, s19
	v_add3_u32 v5, v11, v5, v13
	s_cbranch_scc1 .LBB37_90
; %bb.91:
	s_and_b32 s6, s25, 3
	s_cmp_eq_u32 s6, 0
	s_cbranch_scc0 .LBB37_95
	s_branch .LBB37_97
.LBB37_92:
                                        ; implicit-def: $vgpr5
	s_branch .LBB37_98
.LBB37_93:
	v_mov_b32_e32 v5, 0
	s_branch .LBB37_97
.LBB37_94:
	v_mov_b32_e32 v5, 0
	v_mov_b32_e32 v6, v8
	s_and_b32 s6, s25, 3
	s_cmp_eq_u32 s6, 0
	s_cbranch_scc1 .LBB37_97
.LBB37_95:
	s_lshl_b32 s2, s24, 2
	s_add_u32 s2, s20, s2
	s_addc_u32 s3, s21, 0
	s_add_u32 s2, s2, 0xc4
	s_addc_u32 s3, s3, 0
	s_mul_i32 s4, s24, 12
	s_add_u32 s4, s20, s4
	s_addc_u32 s5, s21, 0
.LBB37_96:                              ; =>This Inner Loop Header: Depth=1
	s_waitcnt lgkmcnt(0)
	s_load_dwordx2 s[8:9], s[4:5], 0x4
	s_load_dword s7, s[4:5], 0xc
	s_add_u32 s4, s4, 12
	s_addc_u32 s5, s5, 0
	s_waitcnt lgkmcnt(0)
	v_mul_hi_u32 v10, s9, v6
	s_load_dword s9, s[2:3], 0x0
	s_add_u32 s2, s2, 4
	s_addc_u32 s3, s3, 0
	v_add_u32_e32 v10, v6, v10
	v_lshrrev_b32_e32 v10, s7, v10
	v_mul_lo_u32 v11, v10, s8
	s_add_i32 s6, s6, -1
	s_cmp_lg_u32 s6, 0
	v_sub_u32_e32 v6, v6, v11
	s_waitcnt lgkmcnt(0)
	v_mad_u64_u32 v[5:6], s[8:9], v6, s9, v[5:6]
	v_mov_b32_e32 v6, v10
	s_cbranch_scc1 .LBB37_96
.LBB37_97:
	s_cbranch_execnz .LBB37_100
.LBB37_98:
	s_load_dwordx4 s[4:7], s[20:21], 0x4
	s_load_dword s2, s[20:21], 0xc4
	s_cmp_lt_u32 s33, 2
	s_waitcnt lgkmcnt(0)
	v_mul_hi_u32 v5, s5, v8
	v_add_u32_e32 v5, v8, v5
	v_lshrrev_b32_e32 v6, s6, v5
	v_mul_lo_u32 v5, v6, s4
	v_sub_u32_e32 v5, v8, v5
	v_mul_lo_u32 v5, v5, s2
	s_cbranch_scc1 .LBB37_100
; %bb.99:
	s_load_dwordx4 s[4:7], s[20:21], 0x10
	s_load_dword s2, s[20:21], 0xc8
	s_waitcnt lgkmcnt(0)
	v_mul_hi_u32 v8, s5, v6
	v_add_u32_e32 v8, v6, v8
	v_lshrrev_b32_e32 v8, s6, v8
	v_mul_lo_u32 v8, v8, s4
	v_sub_u32_e32 v6, v6, v8
	v_mad_u64_u32 v[5:6], s[2:3], v6, s2, v[5:6]
.LBB37_100:
	s_and_b64 vcc, exec, s[0:1]
	v_add_u32_e32 v8, 0x300, v7
	s_cbranch_vccnz .LBB37_106
; %bb.101:
	s_cmp_lg_u32 s33, 0
	s_mov_b32 s24, 0
	s_cbranch_scc0 .LBB37_107
; %bb.102:
	s_min_u32 s25, s46, 15
	s_add_i32 s25, s25, 1
	s_cmp_eq_u32 s46, 2
	s_cbranch_scc1 .LBB37_108
; %bb.103:
	s_and_b32 s24, s25, 28
	s_add_u32 s2, s20, 0xc4
	s_addc_u32 s3, s21, 0
	s_waitcnt lgkmcnt(0)
	s_mov_b32 s26, 0
	v_mov_b32_e32 v6, 0
	s_mov_b64 s[22:23], s[20:21]
	v_mov_b32_e32 v7, v8
.LBB37_104:                             ; =>This Inner Loop Header: Depth=1
	s_load_dwordx8 s[4:11], s[22:23], 0x4
	s_load_dwordx4 s[12:15], s[22:23], 0x24
	s_load_dwordx4 s[16:19], s[2:3], 0x0
	s_add_u32 s22, s22, 48
	s_addc_u32 s23, s23, 0
	s_waitcnt lgkmcnt(0)
	v_mul_hi_u32 v10, s5, v7
	s_add_i32 s26, s26, 4
	s_add_u32 s2, s2, 16
	s_addc_u32 s3, s3, 0
	v_add_u32_e32 v10, v7, v10
	v_lshrrev_b32_e32 v10, s6, v10
	v_mul_lo_u32 v11, v10, s4
	v_mul_hi_u32 v12, s8, v10
	s_cmp_lg_u32 s24, s26
	v_sub_u32_e32 v7, v7, v11
	v_add_u32_e32 v11, v10, v12
	v_lshrrev_b32_e32 v11, s9, v11
	v_mul_lo_u32 v12, v7, s16
	v_mul_hi_u32 v7, s11, v11
	v_mul_lo_u32 v14, v11, s7
	v_add_u32_e32 v7, v11, v7
	v_lshrrev_b32_e32 v13, s12, v7
	v_mul_hi_u32 v7, s14, v13
	v_sub_u32_e32 v10, v10, v14
	v_mul_lo_u32 v14, v13, s10
	v_mul_lo_u32 v10, v10, s17
	v_add_u32_e32 v7, v13, v7
	v_lshrrev_b32_e32 v7, s15, v7
	v_mul_lo_u32 v15, v7, s13
	v_sub_u32_e32 v11, v11, v14
	v_mul_lo_u32 v11, v11, s18
	v_add3_u32 v6, v12, v6, v10
	v_sub_u32_e32 v13, v13, v15
	v_mul_lo_u32 v13, v13, s19
	v_add3_u32 v6, v11, v6, v13
	s_cbranch_scc1 .LBB37_104
; %bb.105:
	s_and_b32 s6, s25, 3
	s_cmp_eq_u32 s6, 0
	s_cbranch_scc0 .LBB37_109
	s_branch .LBB37_111
.LBB37_106:
                                        ; implicit-def: $vgpr6
	s_branch .LBB37_112
.LBB37_107:
	v_mov_b32_e32 v6, 0
	s_branch .LBB37_111
.LBB37_108:
	v_mov_b32_e32 v6, 0
	v_mov_b32_e32 v7, v8
	s_and_b32 s6, s25, 3
	s_cmp_eq_u32 s6, 0
	s_cbranch_scc1 .LBB37_111
.LBB37_109:
	s_lshl_b32 s2, s24, 2
	s_add_u32 s2, s20, s2
	s_addc_u32 s3, s21, 0
	s_add_u32 s2, s2, 0xc4
	s_addc_u32 s3, s3, 0
	s_mul_i32 s4, s24, 12
	s_add_u32 s4, s20, s4
	s_addc_u32 s5, s21, 0
.LBB37_110:                             ; =>This Inner Loop Header: Depth=1
	s_waitcnt lgkmcnt(0)
	s_load_dwordx2 s[8:9], s[4:5], 0x4
	s_load_dword s7, s[4:5], 0xc
	s_add_u32 s4, s4, 12
	s_addc_u32 s5, s5, 0
	s_waitcnt lgkmcnt(0)
	v_mul_hi_u32 v10, s9, v7
	s_load_dword s9, s[2:3], 0x0
	s_add_u32 s2, s2, 4
	s_addc_u32 s3, s3, 0
	v_add_u32_e32 v10, v7, v10
	v_lshrrev_b32_e32 v10, s7, v10
	v_mul_lo_u32 v11, v10, s8
	s_add_i32 s6, s6, -1
	s_cmp_lg_u32 s6, 0
	v_sub_u32_e32 v7, v7, v11
	s_waitcnt lgkmcnt(0)
	v_mad_u64_u32 v[6:7], s[8:9], v7, s9, v[6:7]
	v_mov_b32_e32 v7, v10
	s_cbranch_scc1 .LBB37_110
.LBB37_111:
	s_cbranch_execnz .LBB37_114
.LBB37_112:
	s_load_dwordx4 s[4:7], s[20:21], 0x4
	s_load_dword s2, s[20:21], 0xc4
	s_cmp_lt_u32 s33, 2
	s_waitcnt lgkmcnt(0)
	v_mul_hi_u32 v6, s5, v8
	v_add_u32_e32 v6, v8, v6
	v_lshrrev_b32_e32 v7, s6, v6
	v_mul_lo_u32 v6, v7, s4
	v_sub_u32_e32 v6, v8, v6
	v_mul_lo_u32 v6, v6, s2
	s_cbranch_scc1 .LBB37_114
; %bb.113:
	s_load_dwordx4 s[4:7], s[20:21], 0x10
	s_load_dword s2, s[20:21], 0xc8
	s_waitcnt lgkmcnt(0)
	v_mul_hi_u32 v8, s5, v7
	v_add_u32_e32 v8, v7, v8
	v_lshrrev_b32_e32 v8, s6, v8
	v_mul_lo_u32 v8, v8, s4
	v_sub_u32_e32 v7, v7, v8
	v_mad_u64_u32 v[6:7], s[2:3], v7, s2, v[6:7]
.LBB37_114:
	s_and_b64 vcc, exec, s[0:1]
	s_cbranch_vccnz .LBB37_120
; %bb.115:
	s_cmp_lg_u32 s33, 0
	s_mov_b32 s22, 0
	s_cbranch_scc0 .LBB37_121
; %bb.116:
	s_min_u32 s23, s46, 15
	s_add_i32 s23, s23, 1
	s_cmp_eq_u32 s46, 2
	s_cbranch_scc1 .LBB37_122
; %bb.117:
	s_and_b32 s22, s23, 28
	s_add_u32 s16, s20, 0xc4
	s_addc_u32 s17, s21, 0
	s_mov_b32 s24, 0
	v_mov_b32_e32 v7, 0
	s_mov_b64 s[18:19], s[20:21]
	v_mov_b32_e32 v8, v9
.LBB37_118:                             ; =>This Inner Loop Header: Depth=1
	s_load_dwordx8 s[0:7], s[18:19], 0x4
	s_waitcnt lgkmcnt(0)
	s_load_dwordx4 s[8:11], s[18:19], 0x24
	s_load_dwordx4 s[12:15], s[16:17], 0x0
	s_add_u32 s18, s18, 48
	s_addc_u32 s19, s19, 0
	v_mul_hi_u32 v10, s1, v8
	s_add_i32 s24, s24, 4
	s_add_u32 s16, s16, 16
	s_addc_u32 s17, s17, 0
	v_add_u32_e32 v10, v8, v10
	v_lshrrev_b32_e32 v10, s2, v10
	v_mul_lo_u32 v11, v10, s0
	v_mul_hi_u32 v12, s4, v10
	s_cmp_lg_u32 s22, s24
	v_sub_u32_e32 v8, v8, v11
	v_add_u32_e32 v11, v10, v12
	v_lshrrev_b32_e32 v11, s5, v11
	s_waitcnt lgkmcnt(0)
	v_mul_lo_u32 v12, v8, s12
	v_mul_hi_u32 v8, s7, v11
	v_mul_lo_u32 v14, v11, s3
	v_add_u32_e32 v8, v11, v8
	v_lshrrev_b32_e32 v13, s8, v8
	v_mul_hi_u32 v8, s10, v13
	v_sub_u32_e32 v10, v10, v14
	v_mul_lo_u32 v14, v13, s6
	v_mul_lo_u32 v10, v10, s13
	v_add_u32_e32 v8, v13, v8
	v_lshrrev_b32_e32 v8, s11, v8
	v_mul_lo_u32 v15, v8, s9
	v_sub_u32_e32 v11, v11, v14
	v_mul_lo_u32 v11, v11, s14
	v_add3_u32 v7, v12, v7, v10
	v_sub_u32_e32 v13, v13, v15
	v_mul_lo_u32 v13, v13, s15
	v_add3_u32 v7, v11, v7, v13
	s_cbranch_scc1 .LBB37_118
; %bb.119:
	s_and_b32 s4, s23, 3
	s_cmp_eq_u32 s4, 0
	s_cbranch_scc0 .LBB37_123
	s_branch .LBB37_125
.LBB37_120:
                                        ; implicit-def: $vgpr7
	s_branch .LBB37_126
.LBB37_121:
	v_mov_b32_e32 v7, 0
	s_branch .LBB37_125
.LBB37_122:
	v_mov_b32_e32 v7, 0
	v_mov_b32_e32 v8, v9
	s_and_b32 s4, s23, 3
	s_cmp_eq_u32 s4, 0
	s_cbranch_scc1 .LBB37_125
.LBB37_123:
	s_lshl_b32 s0, s22, 2
	s_add_u32 s0, s20, s0
	s_addc_u32 s1, s21, 0
	s_add_u32 s0, s0, 0xc4
	s_addc_u32 s1, s1, 0
	s_mul_i32 s2, s22, 12
	s_add_u32 s2, s20, s2
	s_addc_u32 s3, s21, 0
.LBB37_124:                             ; =>This Inner Loop Header: Depth=1
	s_load_dwordx2 s[6:7], s[2:3], 0x4
	s_load_dword s5, s[2:3], 0xc
	s_add_u32 s2, s2, 12
	s_addc_u32 s3, s3, 0
	s_waitcnt lgkmcnt(0)
	v_mul_hi_u32 v10, s7, v8
	s_load_dword s7, s[0:1], 0x0
	s_add_u32 s0, s0, 4
	s_addc_u32 s1, s1, 0
	v_add_u32_e32 v10, v8, v10
	v_lshrrev_b32_e32 v10, s5, v10
	v_mul_lo_u32 v11, v10, s6
	s_add_i32 s4, s4, -1
	s_cmp_lg_u32 s4, 0
	v_sub_u32_e32 v8, v8, v11
	s_waitcnt lgkmcnt(0)
	v_mad_u64_u32 v[7:8], s[6:7], v8, s7, v[7:8]
	v_mov_b32_e32 v8, v10
	s_cbranch_scc1 .LBB37_124
.LBB37_125:
	s_cbranch_execnz .LBB37_128
.LBB37_126:
	s_load_dwordx4 s[0:3], s[20:21], 0x4
	s_waitcnt lgkmcnt(0)
	s_load_dword s3, s[20:21], 0xc4
	s_cmp_lt_u32 s33, 2
	v_mul_hi_u32 v7, s1, v9
	v_add_u32_e32 v7, v9, v7
	v_lshrrev_b32_e32 v8, s2, v7
	v_mul_lo_u32 v7, v8, s0
	v_sub_u32_e32 v7, v9, v7
	s_waitcnt lgkmcnt(0)
	v_mul_lo_u32 v7, v7, s3
	s_cbranch_scc1 .LBB37_128
; %bb.127:
	s_load_dwordx4 s[0:3], s[20:21], 0x10
	s_waitcnt lgkmcnt(0)
	s_load_dword s3, s[20:21], 0xc8
	v_mul_hi_u32 v9, s1, v8
	v_add_u32_e32 v9, v8, v9
	v_lshrrev_b32_e32 v9, s2, v9
	v_mul_lo_u32 v9, v9, s0
	v_sub_u32_e32 v8, v8, v9
	s_waitcnt lgkmcnt(0)
	v_mad_u64_u32 v[7:8], s[0:1], v8, s3, v[7:8]
.LBB37_128:
	s_load_dword s2, s[20:21], 0x110
	s_load_dwordx2 s[0:1], s[20:21], 0x108
	s_waitcnt lgkmcnt(0)
	v_mov_b32_e32 v8, s2
	s_nop 0
	global_store_short v0, v8, s[0:1]
	global_store_short v1, v8, s[0:1]
	;; [unrolled: 1-line block ×8, first 2 shown]
	s_endpgm
.LBB37_129:
	v_mov_b32_e32 v0, 0
	s_branch .LBB37_135
.LBB37_130:
	v_mov_b32_e32 v0, 0
	s_branch .LBB37_151
.LBB37_131:
	v_mov_b32_e32 v0, 0
	s_mov_b32 s50, 0
	v_mov_b32_e32 v1, v7
.LBB37_132:
	s_and_b32 s4, s51, 3
	s_cmp_eq_u32 s4, 0
	s_cbranch_scc1 .LBB37_135
; %bb.133:
	s_lshl_b32 s0, s50, 2
	s_add_u32 s0, s20, s0
	s_addc_u32 s1, s21, 0
	s_add_u32 s0, s0, 0xc4
	s_addc_u32 s1, s1, 0
	s_mul_i32 s2, s50, 12
	s_add_u32 s2, s20, s2
	s_addc_u32 s3, s21, 0
.LBB37_134:                             ; =>This Inner Loop Header: Depth=1
	s_load_dwordx2 s[6:7], s[2:3], 0x4
	s_load_dword s5, s[2:3], 0xc
	s_add_u32 s2, s2, 12
	s_addc_u32 s3, s3, 0
	s_waitcnt lgkmcnt(0)
	v_mul_hi_u32 v2, s7, v1
	s_load_dword s7, s[0:1], 0x0
	s_add_u32 s0, s0, 4
	s_addc_u32 s1, s1, 0
	v_add_u32_e32 v2, v1, v2
	v_lshrrev_b32_e32 v2, s5, v2
	v_mul_lo_u32 v3, v2, s6
	s_add_i32 s4, s4, -1
	s_cmp_lg_u32 s4, 0
	v_sub_u32_e32 v1, v1, v3
	s_waitcnt lgkmcnt(0)
	v_mad_u64_u32 v[0:1], s[6:7], v1, s7, v[0:1]
	v_mov_b32_e32 v1, v2
	s_cbranch_scc1 .LBB37_134
.LBB37_135:
	s_cbranch_execnz .LBB37_138
.LBB37_136:
	s_waitcnt lgkmcnt(0)
	v_mul_hi_u32 v0, s9, v7
	s_andn2_b64 vcc, exec, s[34:35]
	v_add_u32_e32 v0, v7, v0
	v_lshrrev_b32_e32 v1, s10, v0
	v_mul_lo_u32 v0, v1, s8
	v_sub_u32_e32 v0, v7, v0
	v_mul_lo_u32 v0, v0, s28
	s_cbranch_vccnz .LBB37_138
; %bb.137:
	v_mul_hi_u32 v2, s30, v1
	v_add_u32_e32 v2, v1, v2
	v_lshrrev_b32_e32 v2, s31, v2
	v_mul_lo_u32 v2, v2, s11
	v_sub_u32_e32 v1, v1, v2
	v_mad_u64_u32 v[0:1], s[0:1], v1, s29, v[0:1]
.LBB37_138:
	s_waitcnt lgkmcnt(0)
	v_mov_b32_e32 v1, s47
	v_add_u32_e32 v7, 0x80, v7
	global_store_short v0, v1, s[26:27]
	s_or_b64 exec, exec, s[40:41]
	v_cmp_gt_i32_e32 vcc, s48, v7
	s_and_saveexec_b64 s[40:41], vcc
	s_cbranch_execnz .LBB37_15
.LBB37_139:
	s_or_b64 exec, exec, s[40:41]
	v_cmp_gt_i32_e32 vcc, s48, v7
	s_and_saveexec_b64 s[40:41], vcc
	s_cbranch_execz .LBB37_155
.LBB37_140:
	s_andn2_b64 vcc, exec, s[22:23]
	s_cbranch_vccnz .LBB37_145
; %bb.141:
	s_andn2_b64 vcc, exec, s[38:39]
	s_cbranch_vccnz .LBB37_146
; %bb.142:
	s_add_i32 s51, s49, 1
	s_cmp_eq_u32 s46, 2
	s_cbranch_scc1 .LBB37_163
; %bb.143:
	s_and_b32 s50, s51, 28
	s_mov_b32 s52, 0
	v_mov_b32_e32 v0, 0
	s_mov_b64 s[42:43], s[20:21]
	s_mov_b64 s[44:45], s[36:37]
	v_mov_b32_e32 v1, v7
.LBB37_144:                             ; =>This Inner Loop Header: Depth=1
	s_load_dwordx8 s[0:7], s[42:43], 0x4
	s_load_dwordx4 s[12:15], s[42:43], 0x24
	s_load_dwordx4 s[16:19], s[44:45], 0x0
	s_add_u32 s42, s42, 48
	s_addc_u32 s43, s43, 0
	s_waitcnt lgkmcnt(0)
	v_mul_hi_u32 v2, s1, v1
	s_add_i32 s52, s52, 4
	s_add_u32 s44, s44, 16
	s_addc_u32 s45, s45, 0
	v_add_u32_e32 v2, v1, v2
	v_lshrrev_b32_e32 v2, s2, v2
	v_mul_lo_u32 v3, v2, s0
	v_mul_hi_u32 v4, s4, v2
	s_cmp_eq_u32 s50, s52
	v_sub_u32_e32 v1, v1, v3
	v_add_u32_e32 v3, v2, v4
	v_lshrrev_b32_e32 v3, s5, v3
	v_mul_lo_u32 v4, v1, s16
	v_mul_hi_u32 v1, s7, v3
	v_mul_lo_u32 v6, v3, s3
	v_add_u32_e32 v1, v3, v1
	v_lshrrev_b32_e32 v5, s12, v1
	v_mul_hi_u32 v1, s14, v5
	v_sub_u32_e32 v2, v2, v6
	v_mul_lo_u32 v6, v5, s6
	v_mul_lo_u32 v2, v2, s17
	v_add_u32_e32 v1, v5, v1
	v_lshrrev_b32_e32 v1, s15, v1
	v_mul_lo_u32 v8, v1, s13
	v_sub_u32_e32 v3, v3, v6
	v_mul_lo_u32 v3, v3, s18
	v_add3_u32 v0, v4, v0, v2
	v_sub_u32_e32 v5, v5, v8
	v_mul_lo_u32 v5, v5, s19
	v_add3_u32 v0, v3, v0, v5
	s_cbranch_scc0 .LBB37_144
	s_branch .LBB37_164
.LBB37_145:
                                        ; implicit-def: $vgpr0
	s_branch .LBB37_168
.LBB37_146:
	v_mov_b32_e32 v0, 0
	s_branch .LBB37_167
.LBB37_147:
	v_mov_b32_e32 v0, 0
	s_mov_b32 s50, 0
	v_mov_b32_e32 v1, v7
.LBB37_148:
	s_and_b32 s4, s51, 3
	s_cmp_eq_u32 s4, 0
	s_cbranch_scc1 .LBB37_151
; %bb.149:
	s_lshl_b32 s0, s50, 2
	s_add_u32 s0, s20, s0
	s_addc_u32 s1, s21, 0
	s_add_u32 s0, s0, 0xc4
	s_addc_u32 s1, s1, 0
	s_mul_i32 s2, s50, 12
	s_add_u32 s2, s20, s2
	s_addc_u32 s3, s21, 0
.LBB37_150:                             ; =>This Inner Loop Header: Depth=1
	s_load_dwordx2 s[6:7], s[2:3], 0x4
	s_load_dword s5, s[2:3], 0xc
	s_add_u32 s2, s2, 12
	s_addc_u32 s3, s3, 0
	s_waitcnt lgkmcnt(0)
	v_mul_hi_u32 v2, s7, v1
	s_load_dword s7, s[0:1], 0x0
	s_add_u32 s0, s0, 4
	s_addc_u32 s1, s1, 0
	v_add_u32_e32 v2, v1, v2
	v_lshrrev_b32_e32 v2, s5, v2
	v_mul_lo_u32 v3, v2, s6
	s_add_i32 s4, s4, -1
	s_cmp_lg_u32 s4, 0
	v_sub_u32_e32 v1, v1, v3
	s_waitcnt lgkmcnt(0)
	v_mad_u64_u32 v[0:1], s[6:7], v1, s7, v[0:1]
	v_mov_b32_e32 v1, v2
	s_cbranch_scc1 .LBB37_150
.LBB37_151:
	s_cbranch_execnz .LBB37_154
.LBB37_152:
	s_waitcnt lgkmcnt(0)
	v_mul_hi_u32 v0, s9, v7
	s_andn2_b64 vcc, exec, s[34:35]
	v_add_u32_e32 v0, v7, v0
	v_lshrrev_b32_e32 v1, s10, v0
	v_mul_lo_u32 v0, v1, s8
	v_sub_u32_e32 v0, v7, v0
	v_mul_lo_u32 v0, v0, s28
	s_cbranch_vccnz .LBB37_154
; %bb.153:
	v_mul_hi_u32 v2, s30, v1
	v_add_u32_e32 v2, v1, v2
	v_lshrrev_b32_e32 v2, s31, v2
	v_mul_lo_u32 v2, v2, s11
	v_sub_u32_e32 v1, v1, v2
	v_mad_u64_u32 v[0:1], s[0:1], v1, s29, v[0:1]
.LBB37_154:
	s_waitcnt lgkmcnt(0)
	v_mov_b32_e32 v1, s47
	v_add_u32_e32 v7, 0x80, v7
	global_store_short v0, v1, s[26:27]
	s_or_b64 exec, exec, s[40:41]
	v_cmp_gt_i32_e32 vcc, s48, v7
	s_and_saveexec_b64 s[40:41], vcc
	s_cbranch_execnz .LBB37_140
.LBB37_155:
	s_or_b64 exec, exec, s[40:41]
	v_cmp_gt_i32_e32 vcc, s48, v7
	s_and_saveexec_b64 s[40:41], vcc
	s_cbranch_execz .LBB37_171
.LBB37_156:
	s_andn2_b64 vcc, exec, s[22:23]
	s_cbranch_vccnz .LBB37_161
; %bb.157:
	s_andn2_b64 vcc, exec, s[38:39]
	s_cbranch_vccnz .LBB37_162
; %bb.158:
	s_add_i32 s51, s49, 1
	s_cmp_eq_u32 s46, 2
	s_cbranch_scc1 .LBB37_179
; %bb.159:
	s_and_b32 s50, s51, 28
	s_mov_b32 s52, 0
	v_mov_b32_e32 v0, 0
	s_mov_b64 s[42:43], s[20:21]
	s_mov_b64 s[44:45], s[36:37]
	v_mov_b32_e32 v1, v7
.LBB37_160:                             ; =>This Inner Loop Header: Depth=1
	s_load_dwordx8 s[0:7], s[42:43], 0x4
	s_load_dwordx4 s[12:15], s[42:43], 0x24
	s_load_dwordx4 s[16:19], s[44:45], 0x0
	s_add_u32 s42, s42, 48
	s_addc_u32 s43, s43, 0
	s_waitcnt lgkmcnt(0)
	v_mul_hi_u32 v2, s1, v1
	s_add_i32 s52, s52, 4
	s_add_u32 s44, s44, 16
	s_addc_u32 s45, s45, 0
	v_add_u32_e32 v2, v1, v2
	v_lshrrev_b32_e32 v2, s2, v2
	v_mul_lo_u32 v3, v2, s0
	v_mul_hi_u32 v4, s4, v2
	s_cmp_eq_u32 s50, s52
	v_sub_u32_e32 v1, v1, v3
	v_add_u32_e32 v3, v2, v4
	v_lshrrev_b32_e32 v3, s5, v3
	v_mul_lo_u32 v4, v1, s16
	v_mul_hi_u32 v1, s7, v3
	v_mul_lo_u32 v6, v3, s3
	v_add_u32_e32 v1, v3, v1
	v_lshrrev_b32_e32 v5, s12, v1
	v_mul_hi_u32 v1, s14, v5
	v_sub_u32_e32 v2, v2, v6
	v_mul_lo_u32 v6, v5, s6
	v_mul_lo_u32 v2, v2, s17
	v_add_u32_e32 v1, v5, v1
	v_lshrrev_b32_e32 v1, s15, v1
	v_mul_lo_u32 v8, v1, s13
	v_sub_u32_e32 v3, v3, v6
	v_mul_lo_u32 v3, v3, s18
	v_add3_u32 v0, v4, v0, v2
	v_sub_u32_e32 v5, v5, v8
	v_mul_lo_u32 v5, v5, s19
	v_add3_u32 v0, v3, v0, v5
	s_cbranch_scc0 .LBB37_160
	s_branch .LBB37_180
.LBB37_161:
                                        ; implicit-def: $vgpr0
	s_branch .LBB37_184
.LBB37_162:
	v_mov_b32_e32 v0, 0
	s_branch .LBB37_183
.LBB37_163:
	v_mov_b32_e32 v0, 0
	s_mov_b32 s50, 0
	v_mov_b32_e32 v1, v7
.LBB37_164:
	s_and_b32 s4, s51, 3
	s_cmp_eq_u32 s4, 0
	s_cbranch_scc1 .LBB37_167
; %bb.165:
	s_lshl_b32 s0, s50, 2
	s_add_u32 s0, s20, s0
	s_addc_u32 s1, s21, 0
	s_add_u32 s0, s0, 0xc4
	s_addc_u32 s1, s1, 0
	s_mul_i32 s2, s50, 12
	s_add_u32 s2, s20, s2
	s_addc_u32 s3, s21, 0
.LBB37_166:                             ; =>This Inner Loop Header: Depth=1
	s_load_dwordx2 s[6:7], s[2:3], 0x4
	s_load_dword s5, s[2:3], 0xc
	s_add_u32 s2, s2, 12
	s_addc_u32 s3, s3, 0
	s_waitcnt lgkmcnt(0)
	v_mul_hi_u32 v2, s7, v1
	s_load_dword s7, s[0:1], 0x0
	s_add_u32 s0, s0, 4
	s_addc_u32 s1, s1, 0
	v_add_u32_e32 v2, v1, v2
	v_lshrrev_b32_e32 v2, s5, v2
	v_mul_lo_u32 v3, v2, s6
	s_add_i32 s4, s4, -1
	s_cmp_lg_u32 s4, 0
	v_sub_u32_e32 v1, v1, v3
	s_waitcnt lgkmcnt(0)
	v_mad_u64_u32 v[0:1], s[6:7], v1, s7, v[0:1]
	v_mov_b32_e32 v1, v2
	s_cbranch_scc1 .LBB37_166
.LBB37_167:
	s_cbranch_execnz .LBB37_170
.LBB37_168:
	s_waitcnt lgkmcnt(0)
	v_mul_hi_u32 v0, s9, v7
	s_andn2_b64 vcc, exec, s[34:35]
	v_add_u32_e32 v0, v7, v0
	v_lshrrev_b32_e32 v1, s10, v0
	v_mul_lo_u32 v0, v1, s8
	v_sub_u32_e32 v0, v7, v0
	v_mul_lo_u32 v0, v0, s28
	s_cbranch_vccnz .LBB37_170
; %bb.169:
	v_mul_hi_u32 v2, s30, v1
	v_add_u32_e32 v2, v1, v2
	v_lshrrev_b32_e32 v2, s31, v2
	v_mul_lo_u32 v2, v2, s11
	v_sub_u32_e32 v1, v1, v2
	v_mad_u64_u32 v[0:1], s[0:1], v1, s29, v[0:1]
.LBB37_170:
	s_waitcnt lgkmcnt(0)
	v_mov_b32_e32 v1, s47
	v_add_u32_e32 v7, 0x80, v7
	global_store_short v0, v1, s[26:27]
	s_or_b64 exec, exec, s[40:41]
	v_cmp_gt_i32_e32 vcc, s48, v7
	s_and_saveexec_b64 s[40:41], vcc
	s_cbranch_execnz .LBB37_156
.LBB37_171:
	s_or_b64 exec, exec, s[40:41]
	v_cmp_gt_i32_e32 vcc, s48, v7
	s_and_saveexec_b64 s[40:41], vcc
	s_cbranch_execz .LBB37_187
.LBB37_172:
	s_andn2_b64 vcc, exec, s[22:23]
	s_cbranch_vccnz .LBB37_177
; %bb.173:
	s_andn2_b64 vcc, exec, s[38:39]
	s_cbranch_vccnz .LBB37_178
; %bb.174:
	s_add_i32 s51, s49, 1
	s_cmp_eq_u32 s46, 2
	s_cbranch_scc1 .LBB37_195
; %bb.175:
	s_and_b32 s50, s51, 28
	s_mov_b32 s52, 0
	v_mov_b32_e32 v0, 0
	s_mov_b64 s[42:43], s[20:21]
	s_mov_b64 s[44:45], s[36:37]
	v_mov_b32_e32 v1, v7
.LBB37_176:                             ; =>This Inner Loop Header: Depth=1
	s_load_dwordx8 s[0:7], s[42:43], 0x4
	s_load_dwordx4 s[12:15], s[42:43], 0x24
	s_load_dwordx4 s[16:19], s[44:45], 0x0
	s_add_u32 s42, s42, 48
	s_addc_u32 s43, s43, 0
	s_waitcnt lgkmcnt(0)
	v_mul_hi_u32 v2, s1, v1
	s_add_i32 s52, s52, 4
	s_add_u32 s44, s44, 16
	s_addc_u32 s45, s45, 0
	v_add_u32_e32 v2, v1, v2
	v_lshrrev_b32_e32 v2, s2, v2
	v_mul_lo_u32 v3, v2, s0
	v_mul_hi_u32 v4, s4, v2
	s_cmp_eq_u32 s50, s52
	v_sub_u32_e32 v1, v1, v3
	v_add_u32_e32 v3, v2, v4
	v_lshrrev_b32_e32 v3, s5, v3
	v_mul_lo_u32 v4, v1, s16
	v_mul_hi_u32 v1, s7, v3
	v_mul_lo_u32 v6, v3, s3
	v_add_u32_e32 v1, v3, v1
	v_lshrrev_b32_e32 v5, s12, v1
	v_mul_hi_u32 v1, s14, v5
	v_sub_u32_e32 v2, v2, v6
	v_mul_lo_u32 v6, v5, s6
	v_mul_lo_u32 v2, v2, s17
	v_add_u32_e32 v1, v5, v1
	v_lshrrev_b32_e32 v1, s15, v1
	v_mul_lo_u32 v8, v1, s13
	v_sub_u32_e32 v3, v3, v6
	v_mul_lo_u32 v3, v3, s18
	v_add3_u32 v0, v4, v0, v2
	v_sub_u32_e32 v5, v5, v8
	v_mul_lo_u32 v5, v5, s19
	v_add3_u32 v0, v3, v0, v5
	s_cbranch_scc0 .LBB37_176
	s_branch .LBB37_196
.LBB37_177:
                                        ; implicit-def: $vgpr0
	s_branch .LBB37_200
.LBB37_178:
	v_mov_b32_e32 v0, 0
	s_branch .LBB37_199
.LBB37_179:
	v_mov_b32_e32 v0, 0
	s_mov_b32 s50, 0
	v_mov_b32_e32 v1, v7
.LBB37_180:
	s_and_b32 s4, s51, 3
	s_cmp_eq_u32 s4, 0
	s_cbranch_scc1 .LBB37_183
; %bb.181:
	s_lshl_b32 s0, s50, 2
	s_add_u32 s0, s20, s0
	s_addc_u32 s1, s21, 0
	s_add_u32 s0, s0, 0xc4
	s_addc_u32 s1, s1, 0
	s_mul_i32 s2, s50, 12
	s_add_u32 s2, s20, s2
	s_addc_u32 s3, s21, 0
.LBB37_182:                             ; =>This Inner Loop Header: Depth=1
	s_load_dwordx2 s[6:7], s[2:3], 0x4
	s_load_dword s5, s[2:3], 0xc
	s_add_u32 s2, s2, 12
	s_addc_u32 s3, s3, 0
	s_waitcnt lgkmcnt(0)
	v_mul_hi_u32 v2, s7, v1
	s_load_dword s7, s[0:1], 0x0
	s_add_u32 s0, s0, 4
	s_addc_u32 s1, s1, 0
	v_add_u32_e32 v2, v1, v2
	v_lshrrev_b32_e32 v2, s5, v2
	v_mul_lo_u32 v3, v2, s6
	s_add_i32 s4, s4, -1
	s_cmp_lg_u32 s4, 0
	v_sub_u32_e32 v1, v1, v3
	s_waitcnt lgkmcnt(0)
	v_mad_u64_u32 v[0:1], s[6:7], v1, s7, v[0:1]
	v_mov_b32_e32 v1, v2
	s_cbranch_scc1 .LBB37_182
.LBB37_183:
	s_cbranch_execnz .LBB37_186
.LBB37_184:
	s_waitcnt lgkmcnt(0)
	v_mul_hi_u32 v0, s9, v7
	s_andn2_b64 vcc, exec, s[34:35]
	v_add_u32_e32 v0, v7, v0
	v_lshrrev_b32_e32 v1, s10, v0
	v_mul_lo_u32 v0, v1, s8
	v_sub_u32_e32 v0, v7, v0
	v_mul_lo_u32 v0, v0, s28
	s_cbranch_vccnz .LBB37_186
; %bb.185:
	v_mul_hi_u32 v2, s30, v1
	v_add_u32_e32 v2, v1, v2
	v_lshrrev_b32_e32 v2, s31, v2
	v_mul_lo_u32 v2, v2, s11
	v_sub_u32_e32 v1, v1, v2
	v_mad_u64_u32 v[0:1], s[0:1], v1, s29, v[0:1]
.LBB37_186:
	s_waitcnt lgkmcnt(0)
	v_mov_b32_e32 v1, s47
	v_add_u32_e32 v7, 0x80, v7
	global_store_short v0, v1, s[26:27]
	s_or_b64 exec, exec, s[40:41]
	v_cmp_gt_i32_e32 vcc, s48, v7
	s_and_saveexec_b64 s[40:41], vcc
	s_cbranch_execnz .LBB37_172
.LBB37_187:
	s_or_b64 exec, exec, s[40:41]
	v_cmp_gt_i32_e32 vcc, s48, v7
	s_and_saveexec_b64 s[40:41], vcc
	s_cbranch_execz .LBB37_203
.LBB37_188:
	s_andn2_b64 vcc, exec, s[22:23]
	s_cbranch_vccnz .LBB37_193
; %bb.189:
	s_andn2_b64 vcc, exec, s[38:39]
	s_cbranch_vccnz .LBB37_194
; %bb.190:
	s_add_i32 s51, s49, 1
	s_cmp_eq_u32 s46, 2
	s_cbranch_scc1 .LBB37_211
; %bb.191:
	s_and_b32 s50, s51, 28
	s_mov_b32 s52, 0
	v_mov_b32_e32 v0, 0
	s_mov_b64 s[42:43], s[20:21]
	s_mov_b64 s[44:45], s[36:37]
	v_mov_b32_e32 v1, v7
.LBB37_192:                             ; =>This Inner Loop Header: Depth=1
	s_load_dwordx8 s[0:7], s[42:43], 0x4
	s_load_dwordx4 s[12:15], s[42:43], 0x24
	s_load_dwordx4 s[16:19], s[44:45], 0x0
	s_add_u32 s42, s42, 48
	s_addc_u32 s43, s43, 0
	s_waitcnt lgkmcnt(0)
	v_mul_hi_u32 v2, s1, v1
	s_add_i32 s52, s52, 4
	s_add_u32 s44, s44, 16
	s_addc_u32 s45, s45, 0
	v_add_u32_e32 v2, v1, v2
	v_lshrrev_b32_e32 v2, s2, v2
	v_mul_lo_u32 v3, v2, s0
	v_mul_hi_u32 v4, s4, v2
	s_cmp_eq_u32 s50, s52
	v_sub_u32_e32 v1, v1, v3
	v_add_u32_e32 v3, v2, v4
	v_lshrrev_b32_e32 v3, s5, v3
	v_mul_lo_u32 v4, v1, s16
	v_mul_hi_u32 v1, s7, v3
	v_mul_lo_u32 v6, v3, s3
	v_add_u32_e32 v1, v3, v1
	v_lshrrev_b32_e32 v5, s12, v1
	v_mul_hi_u32 v1, s14, v5
	v_sub_u32_e32 v2, v2, v6
	v_mul_lo_u32 v6, v5, s6
	v_mul_lo_u32 v2, v2, s17
	v_add_u32_e32 v1, v5, v1
	v_lshrrev_b32_e32 v1, s15, v1
	v_mul_lo_u32 v8, v1, s13
	v_sub_u32_e32 v3, v3, v6
	v_mul_lo_u32 v3, v3, s18
	v_add3_u32 v0, v4, v0, v2
	v_sub_u32_e32 v5, v5, v8
	v_mul_lo_u32 v5, v5, s19
	v_add3_u32 v0, v3, v0, v5
	s_cbranch_scc0 .LBB37_192
	s_branch .LBB37_212
.LBB37_193:
                                        ; implicit-def: $vgpr0
	s_branch .LBB37_216
.LBB37_194:
	v_mov_b32_e32 v0, 0
	s_branch .LBB37_215
.LBB37_195:
	v_mov_b32_e32 v0, 0
	s_mov_b32 s50, 0
	v_mov_b32_e32 v1, v7
.LBB37_196:
	s_and_b32 s4, s51, 3
	s_cmp_eq_u32 s4, 0
	s_cbranch_scc1 .LBB37_199
; %bb.197:
	s_lshl_b32 s0, s50, 2
	s_add_u32 s0, s20, s0
	s_addc_u32 s1, s21, 0
	s_add_u32 s0, s0, 0xc4
	s_addc_u32 s1, s1, 0
	s_mul_i32 s2, s50, 12
	s_add_u32 s2, s20, s2
	s_addc_u32 s3, s21, 0
.LBB37_198:                             ; =>This Inner Loop Header: Depth=1
	s_load_dwordx2 s[6:7], s[2:3], 0x4
	s_load_dword s5, s[2:3], 0xc
	s_add_u32 s2, s2, 12
	s_addc_u32 s3, s3, 0
	s_waitcnt lgkmcnt(0)
	v_mul_hi_u32 v2, s7, v1
	s_load_dword s7, s[0:1], 0x0
	s_add_u32 s0, s0, 4
	s_addc_u32 s1, s1, 0
	v_add_u32_e32 v2, v1, v2
	v_lshrrev_b32_e32 v2, s5, v2
	v_mul_lo_u32 v3, v2, s6
	s_add_i32 s4, s4, -1
	s_cmp_lg_u32 s4, 0
	v_sub_u32_e32 v1, v1, v3
	s_waitcnt lgkmcnt(0)
	v_mad_u64_u32 v[0:1], s[6:7], v1, s7, v[0:1]
	v_mov_b32_e32 v1, v2
	s_cbranch_scc1 .LBB37_198
.LBB37_199:
	s_cbranch_execnz .LBB37_202
.LBB37_200:
	s_waitcnt lgkmcnt(0)
	v_mul_hi_u32 v0, s9, v7
	s_andn2_b64 vcc, exec, s[34:35]
	v_add_u32_e32 v0, v7, v0
	v_lshrrev_b32_e32 v1, s10, v0
	v_mul_lo_u32 v0, v1, s8
	v_sub_u32_e32 v0, v7, v0
	v_mul_lo_u32 v0, v0, s28
	s_cbranch_vccnz .LBB37_202
; %bb.201:
	v_mul_hi_u32 v2, s30, v1
	v_add_u32_e32 v2, v1, v2
	v_lshrrev_b32_e32 v2, s31, v2
	v_mul_lo_u32 v2, v2, s11
	v_sub_u32_e32 v1, v1, v2
	v_mad_u64_u32 v[0:1], s[0:1], v1, s29, v[0:1]
.LBB37_202:
	s_waitcnt lgkmcnt(0)
	v_mov_b32_e32 v1, s47
	v_add_u32_e32 v7, 0x80, v7
	global_store_short v0, v1, s[26:27]
	s_or_b64 exec, exec, s[40:41]
	v_cmp_gt_i32_e32 vcc, s48, v7
	s_and_saveexec_b64 s[40:41], vcc
	s_cbranch_execnz .LBB37_188
.LBB37_203:
	s_or_b64 exec, exec, s[40:41]
	v_cmp_gt_i32_e32 vcc, s48, v7
	s_and_saveexec_b64 s[40:41], vcc
	s_cbranch_execz .LBB37_219
.LBB37_204:
	s_andn2_b64 vcc, exec, s[22:23]
	s_cbranch_vccnz .LBB37_209
; %bb.205:
	s_andn2_b64 vcc, exec, s[38:39]
	s_cbranch_vccnz .LBB37_210
; %bb.206:
	s_add_i32 s51, s49, 1
	s_cmp_eq_u32 s46, 2
	s_cbranch_scc1 .LBB37_222
; %bb.207:
	s_and_b32 s50, s51, 28
	s_mov_b32 s52, 0
	v_mov_b32_e32 v0, 0
	s_mov_b64 s[42:43], s[20:21]
	s_mov_b64 s[44:45], s[36:37]
	v_mov_b32_e32 v1, v7
.LBB37_208:                             ; =>This Inner Loop Header: Depth=1
	s_load_dwordx8 s[0:7], s[42:43], 0x4
	s_load_dwordx4 s[12:15], s[42:43], 0x24
	s_load_dwordx4 s[16:19], s[44:45], 0x0
	s_add_u32 s42, s42, 48
	s_addc_u32 s43, s43, 0
	s_waitcnt lgkmcnt(0)
	v_mul_hi_u32 v2, s1, v1
	s_add_i32 s52, s52, 4
	s_add_u32 s44, s44, 16
	s_addc_u32 s45, s45, 0
	v_add_u32_e32 v2, v1, v2
	v_lshrrev_b32_e32 v2, s2, v2
	v_mul_lo_u32 v3, v2, s0
	v_mul_hi_u32 v4, s4, v2
	s_cmp_eq_u32 s50, s52
	v_sub_u32_e32 v1, v1, v3
	v_add_u32_e32 v3, v2, v4
	v_lshrrev_b32_e32 v3, s5, v3
	v_mul_lo_u32 v4, v1, s16
	v_mul_hi_u32 v1, s7, v3
	v_mul_lo_u32 v6, v3, s3
	v_add_u32_e32 v1, v3, v1
	v_lshrrev_b32_e32 v5, s12, v1
	v_mul_hi_u32 v1, s14, v5
	v_sub_u32_e32 v2, v2, v6
	v_mul_lo_u32 v6, v5, s6
	v_mul_lo_u32 v2, v2, s17
	v_add_u32_e32 v1, v5, v1
	v_lshrrev_b32_e32 v1, s15, v1
	v_mul_lo_u32 v8, v1, s13
	v_sub_u32_e32 v3, v3, v6
	v_mul_lo_u32 v3, v3, s18
	v_add3_u32 v0, v4, v0, v2
	v_sub_u32_e32 v5, v5, v8
	v_mul_lo_u32 v5, v5, s19
	v_add3_u32 v0, v3, v0, v5
	s_cbranch_scc0 .LBB37_208
	s_branch .LBB37_223
.LBB37_209:
                                        ; implicit-def: $vgpr0
	s_branch .LBB37_227
.LBB37_210:
	v_mov_b32_e32 v0, 0
	s_branch .LBB37_226
.LBB37_211:
	v_mov_b32_e32 v0, 0
	s_mov_b32 s50, 0
	v_mov_b32_e32 v1, v7
.LBB37_212:
	s_and_b32 s4, s51, 3
	s_cmp_eq_u32 s4, 0
	s_cbranch_scc1 .LBB37_215
; %bb.213:
	s_lshl_b32 s0, s50, 2
	s_add_u32 s0, s20, s0
	s_addc_u32 s1, s21, 0
	s_add_u32 s0, s0, 0xc4
	s_addc_u32 s1, s1, 0
	s_mul_i32 s2, s50, 12
	s_add_u32 s2, s20, s2
	s_addc_u32 s3, s21, 0
.LBB37_214:                             ; =>This Inner Loop Header: Depth=1
	s_load_dwordx2 s[6:7], s[2:3], 0x4
	s_load_dword s5, s[2:3], 0xc
	s_add_u32 s2, s2, 12
	s_addc_u32 s3, s3, 0
	s_waitcnt lgkmcnt(0)
	v_mul_hi_u32 v2, s7, v1
	s_load_dword s7, s[0:1], 0x0
	s_add_u32 s0, s0, 4
	s_addc_u32 s1, s1, 0
	v_add_u32_e32 v2, v1, v2
	v_lshrrev_b32_e32 v2, s5, v2
	v_mul_lo_u32 v3, v2, s6
	s_add_i32 s4, s4, -1
	s_cmp_lg_u32 s4, 0
	v_sub_u32_e32 v1, v1, v3
	s_waitcnt lgkmcnt(0)
	v_mad_u64_u32 v[0:1], s[6:7], v1, s7, v[0:1]
	v_mov_b32_e32 v1, v2
	s_cbranch_scc1 .LBB37_214
.LBB37_215:
	s_cbranch_execnz .LBB37_218
.LBB37_216:
	s_waitcnt lgkmcnt(0)
	v_mul_hi_u32 v0, s9, v7
	s_andn2_b64 vcc, exec, s[34:35]
	v_add_u32_e32 v0, v7, v0
	v_lshrrev_b32_e32 v1, s10, v0
	v_mul_lo_u32 v0, v1, s8
	v_sub_u32_e32 v0, v7, v0
	v_mul_lo_u32 v0, v0, s28
	s_cbranch_vccnz .LBB37_218
; %bb.217:
	v_mul_hi_u32 v2, s30, v1
	v_add_u32_e32 v2, v1, v2
	v_lshrrev_b32_e32 v2, s31, v2
	v_mul_lo_u32 v2, v2, s11
	v_sub_u32_e32 v1, v1, v2
	v_mad_u64_u32 v[0:1], s[0:1], v1, s29, v[0:1]
.LBB37_218:
	s_waitcnt lgkmcnt(0)
	v_mov_b32_e32 v1, s47
	v_add_u32_e32 v7, 0x80, v7
	global_store_short v0, v1, s[26:27]
	s_or_b64 exec, exec, s[40:41]
	v_cmp_gt_i32_e32 vcc, s48, v7
	s_and_saveexec_b64 s[40:41], vcc
	s_cbranch_execnz .LBB37_204
.LBB37_219:
	s_or_b64 exec, exec, s[40:41]
	v_cmp_gt_i32_e32 vcc, s48, v7
	s_and_saveexec_b64 s[40:41], vcc
	s_cbranch_execnz .LBB37_230
.LBB37_220:
	s_or_b64 exec, exec, s[40:41]
                                        ; implicit-def: $vgpr9
                                        ; implicit-def: $vgpr7
	s_andn2_saveexec_b64 s[0:1], s[24:25]
	s_cbranch_execnz .LBB37_8
.LBB37_221:
	s_endpgm
.LBB37_222:
	v_mov_b32_e32 v0, 0
	s_mov_b32 s50, 0
	v_mov_b32_e32 v1, v7
.LBB37_223:
	s_and_b32 s4, s51, 3
	s_cmp_eq_u32 s4, 0
	s_cbranch_scc1 .LBB37_226
; %bb.224:
	s_lshl_b32 s0, s50, 2
	s_add_u32 s0, s20, s0
	s_addc_u32 s1, s21, 0
	s_add_u32 s0, s0, 0xc4
	s_addc_u32 s1, s1, 0
	s_mul_i32 s2, s50, 12
	s_add_u32 s2, s20, s2
	s_addc_u32 s3, s21, 0
.LBB37_225:                             ; =>This Inner Loop Header: Depth=1
	s_load_dwordx2 s[6:7], s[2:3], 0x4
	s_load_dword s5, s[2:3], 0xc
	s_add_u32 s2, s2, 12
	s_addc_u32 s3, s3, 0
	s_waitcnt lgkmcnt(0)
	v_mul_hi_u32 v2, s7, v1
	s_load_dword s7, s[0:1], 0x0
	s_add_u32 s0, s0, 4
	s_addc_u32 s1, s1, 0
	v_add_u32_e32 v2, v1, v2
	v_lshrrev_b32_e32 v2, s5, v2
	v_mul_lo_u32 v3, v2, s6
	s_add_i32 s4, s4, -1
	s_cmp_lg_u32 s4, 0
	v_sub_u32_e32 v1, v1, v3
	s_waitcnt lgkmcnt(0)
	v_mad_u64_u32 v[0:1], s[6:7], v1, s7, v[0:1]
	v_mov_b32_e32 v1, v2
	s_cbranch_scc1 .LBB37_225
.LBB37_226:
	s_cbranch_execnz .LBB37_229
.LBB37_227:
	s_waitcnt lgkmcnt(0)
	v_mul_hi_u32 v0, s9, v7
	s_andn2_b64 vcc, exec, s[34:35]
	v_add_u32_e32 v0, v7, v0
	v_lshrrev_b32_e32 v1, s10, v0
	v_mul_lo_u32 v0, v1, s8
	v_sub_u32_e32 v0, v7, v0
	v_mul_lo_u32 v0, v0, s28
	s_cbranch_vccnz .LBB37_229
; %bb.228:
	v_mul_hi_u32 v2, s30, v1
	v_add_u32_e32 v2, v1, v2
	v_lshrrev_b32_e32 v2, s31, v2
	v_mul_lo_u32 v2, v2, s11
	v_sub_u32_e32 v1, v1, v2
	v_mad_u64_u32 v[0:1], s[0:1], v1, s29, v[0:1]
.LBB37_229:
	s_waitcnt lgkmcnt(0)
	v_mov_b32_e32 v1, s47
	v_add_u32_e32 v7, 0x80, v7
	global_store_short v0, v1, s[26:27]
	s_or_b64 exec, exec, s[40:41]
	v_cmp_gt_i32_e32 vcc, s48, v7
	s_and_saveexec_b64 s[40:41], vcc
	s_cbranch_execz .LBB37_220
.LBB37_230:
	s_andn2_b64 vcc, exec, s[22:23]
	s_cbranch_vccnz .LBB37_235
; %bb.231:
	s_andn2_b64 vcc, exec, s[38:39]
	s_cbranch_vccnz .LBB37_236
; %bb.232:
	s_add_i32 s49, s49, 1
	s_cmp_eq_u32 s46, 2
	s_cbranch_scc1 .LBB37_237
; %bb.233:
	s_and_b32 s42, s49, 28
	s_mov_b32 s43, 0
	v_mov_b32_e32 v0, 0
	s_mov_b64 s[38:39], s[20:21]
	v_mov_b32_e32 v1, v7
.LBB37_234:                             ; =>This Inner Loop Header: Depth=1
	s_load_dwordx8 s[0:7], s[38:39], 0x4
	s_load_dwordx4 s[12:15], s[38:39], 0x24
	s_load_dwordx4 s[16:19], s[36:37], 0x0
	s_add_u32 s38, s38, 48
	s_addc_u32 s39, s39, 0
	s_waitcnt lgkmcnt(0)
	v_mul_hi_u32 v2, s1, v1
	s_add_i32 s43, s43, 4
	s_add_u32 s36, s36, 16
	s_addc_u32 s37, s37, 0
	v_add_u32_e32 v2, v1, v2
	v_lshrrev_b32_e32 v2, s2, v2
	v_mul_lo_u32 v3, v2, s0
	v_mul_hi_u32 v4, s4, v2
	s_cmp_eq_u32 s42, s43
	v_sub_u32_e32 v1, v1, v3
	v_add_u32_e32 v3, v2, v4
	v_lshrrev_b32_e32 v3, s5, v3
	v_mul_lo_u32 v4, v1, s16
	v_mul_hi_u32 v1, s7, v3
	v_mul_lo_u32 v6, v3, s3
	v_add_u32_e32 v1, v3, v1
	v_lshrrev_b32_e32 v5, s12, v1
	v_mul_hi_u32 v1, s14, v5
	v_sub_u32_e32 v2, v2, v6
	v_mul_lo_u32 v6, v5, s6
	v_mul_lo_u32 v2, v2, s17
	v_add_u32_e32 v1, v5, v1
	v_lshrrev_b32_e32 v1, s15, v1
	v_mul_lo_u32 v8, v1, s13
	v_sub_u32_e32 v3, v3, v6
	v_mul_lo_u32 v3, v3, s18
	v_add3_u32 v0, v4, v0, v2
	v_sub_u32_e32 v5, v5, v8
	v_mul_lo_u32 v5, v5, s19
	v_add3_u32 v0, v3, v0, v5
	s_cbranch_scc0 .LBB37_234
	s_branch .LBB37_238
.LBB37_235:
                                        ; implicit-def: $vgpr0
	s_branch .LBB37_242
.LBB37_236:
	v_mov_b32_e32 v0, 0
	s_branch .LBB37_241
.LBB37_237:
	v_mov_b32_e32 v0, 0
	s_mov_b32 s42, 0
	v_mov_b32_e32 v1, v7
.LBB37_238:
	s_and_b32 s4, s49, 3
	s_cmp_eq_u32 s4, 0
	s_cbranch_scc1 .LBB37_241
; %bb.239:
	s_lshl_b32 s0, s42, 2
	s_add_u32 s0, s20, s0
	s_addc_u32 s1, s21, 0
	s_add_u32 s0, s0, 0xc4
	s_addc_u32 s1, s1, 0
	s_mul_i32 s2, s42, 12
	s_add_u32 s2, s20, s2
	s_addc_u32 s3, s21, 0
.LBB37_240:                             ; =>This Inner Loop Header: Depth=1
	s_load_dwordx2 s[6:7], s[2:3], 0x4
	s_load_dword s5, s[2:3], 0xc
	s_add_u32 s2, s2, 12
	s_addc_u32 s3, s3, 0
	s_waitcnt lgkmcnt(0)
	v_mul_hi_u32 v2, s7, v1
	s_load_dword s7, s[0:1], 0x0
	s_add_u32 s0, s0, 4
	s_addc_u32 s1, s1, 0
	v_add_u32_e32 v2, v1, v2
	v_lshrrev_b32_e32 v2, s5, v2
	v_mul_lo_u32 v3, v2, s6
	s_add_i32 s4, s4, -1
	s_cmp_lg_u32 s4, 0
	v_sub_u32_e32 v1, v1, v3
	s_waitcnt lgkmcnt(0)
	v_mad_u64_u32 v[0:1], s[6:7], v1, s7, v[0:1]
	v_mov_b32_e32 v1, v2
	s_cbranch_scc1 .LBB37_240
.LBB37_241:
	s_cbranch_execnz .LBB37_244
.LBB37_242:
	s_waitcnt lgkmcnt(0)
	v_mul_hi_u32 v0, s9, v7
	s_andn2_b64 vcc, exec, s[34:35]
	v_add_u32_e32 v0, v7, v0
	v_lshrrev_b32_e32 v1, s10, v0
	v_mul_lo_u32 v0, v1, s8
	v_sub_u32_e32 v0, v7, v0
	v_mul_lo_u32 v0, v0, s28
	s_cbranch_vccnz .LBB37_244
; %bb.243:
	v_mul_hi_u32 v2, s30, v1
	v_add_u32_e32 v2, v1, v2
	v_lshrrev_b32_e32 v2, s31, v2
	v_mul_lo_u32 v2, v2, s11
	v_sub_u32_e32 v1, v1, v2
	v_mad_u64_u32 v[0:1], s[0:1], v1, s29, v[0:1]
.LBB37_244:
	s_waitcnt lgkmcnt(0)
	v_mov_b32_e32 v1, s47
	global_store_short v0, v1, s[26:27]
	s_or_b64 exec, exec, s[40:41]
                                        ; implicit-def: $vgpr9
                                        ; implicit-def: $vgpr7
	s_andn2_saveexec_b64 s[0:1], s[24:25]
	s_cbranch_execz .LBB37_221
	s_branch .LBB37_8
	.section	.rodata,"a",@progbits
	.p2align	6, 0x0
	.amdhsa_kernel _ZN2at6native32elementwise_kernel_manual_unrollILi128ELi8EZNS0_22gpu_kernel_impl_nocastINS0_11FillFunctorIsEEEEvRNS_18TensorIteratorBaseERKT_EUlibE_EEviT1_
		.amdhsa_group_segment_fixed_size 0
		.amdhsa_private_segment_fixed_size 0
		.amdhsa_kernarg_size 288
		.amdhsa_user_sgpr_count 6
		.amdhsa_user_sgpr_private_segment_buffer 1
		.amdhsa_user_sgpr_dispatch_ptr 0
		.amdhsa_user_sgpr_queue_ptr 0
		.amdhsa_user_sgpr_kernarg_segment_ptr 1
		.amdhsa_user_sgpr_dispatch_id 0
		.amdhsa_user_sgpr_flat_scratch_init 0
		.amdhsa_user_sgpr_private_segment_size 0
		.amdhsa_uses_dynamic_stack 0
		.amdhsa_system_sgpr_private_segment_wavefront_offset 0
		.amdhsa_system_sgpr_workgroup_id_x 1
		.amdhsa_system_sgpr_workgroup_id_y 0
		.amdhsa_system_sgpr_workgroup_id_z 0
		.amdhsa_system_sgpr_workgroup_info 0
		.amdhsa_system_vgpr_workitem_id 0
		.amdhsa_next_free_vgpr 16
		.amdhsa_next_free_sgpr 53
		.amdhsa_reserve_vcc 1
		.amdhsa_reserve_flat_scratch 0
		.amdhsa_float_round_mode_32 0
		.amdhsa_float_round_mode_16_64 0
		.amdhsa_float_denorm_mode_32 3
		.amdhsa_float_denorm_mode_16_64 3
		.amdhsa_dx10_clamp 1
		.amdhsa_ieee_mode 1
		.amdhsa_fp16_overflow 0
		.amdhsa_exception_fp_ieee_invalid_op 0
		.amdhsa_exception_fp_denorm_src 0
		.amdhsa_exception_fp_ieee_div_zero 0
		.amdhsa_exception_fp_ieee_overflow 0
		.amdhsa_exception_fp_ieee_underflow 0
		.amdhsa_exception_fp_ieee_inexact 0
		.amdhsa_exception_int_div_zero 0
	.end_amdhsa_kernel
	.section	.text._ZN2at6native32elementwise_kernel_manual_unrollILi128ELi8EZNS0_22gpu_kernel_impl_nocastINS0_11FillFunctorIsEEEEvRNS_18TensorIteratorBaseERKT_EUlibE_EEviT1_,"axG",@progbits,_ZN2at6native32elementwise_kernel_manual_unrollILi128ELi8EZNS0_22gpu_kernel_impl_nocastINS0_11FillFunctorIsEEEEvRNS_18TensorIteratorBaseERKT_EUlibE_EEviT1_,comdat
.Lfunc_end37:
	.size	_ZN2at6native32elementwise_kernel_manual_unrollILi128ELi8EZNS0_22gpu_kernel_impl_nocastINS0_11FillFunctorIsEEEEvRNS_18TensorIteratorBaseERKT_EUlibE_EEviT1_, .Lfunc_end37-_ZN2at6native32elementwise_kernel_manual_unrollILi128ELi8EZNS0_22gpu_kernel_impl_nocastINS0_11FillFunctorIsEEEEvRNS_18TensorIteratorBaseERKT_EUlibE_EEviT1_
                                        ; -- End function
	.set _ZN2at6native32elementwise_kernel_manual_unrollILi128ELi8EZNS0_22gpu_kernel_impl_nocastINS0_11FillFunctorIsEEEEvRNS_18TensorIteratorBaseERKT_EUlibE_EEviT1_.num_vgpr, 16
	.set _ZN2at6native32elementwise_kernel_manual_unrollILi128ELi8EZNS0_22gpu_kernel_impl_nocastINS0_11FillFunctorIsEEEEvRNS_18TensorIteratorBaseERKT_EUlibE_EEviT1_.num_agpr, 0
	.set _ZN2at6native32elementwise_kernel_manual_unrollILi128ELi8EZNS0_22gpu_kernel_impl_nocastINS0_11FillFunctorIsEEEEvRNS_18TensorIteratorBaseERKT_EUlibE_EEviT1_.numbered_sgpr, 53
	.set _ZN2at6native32elementwise_kernel_manual_unrollILi128ELi8EZNS0_22gpu_kernel_impl_nocastINS0_11FillFunctorIsEEEEvRNS_18TensorIteratorBaseERKT_EUlibE_EEviT1_.num_named_barrier, 0
	.set _ZN2at6native32elementwise_kernel_manual_unrollILi128ELi8EZNS0_22gpu_kernel_impl_nocastINS0_11FillFunctorIsEEEEvRNS_18TensorIteratorBaseERKT_EUlibE_EEviT1_.private_seg_size, 0
	.set _ZN2at6native32elementwise_kernel_manual_unrollILi128ELi8EZNS0_22gpu_kernel_impl_nocastINS0_11FillFunctorIsEEEEvRNS_18TensorIteratorBaseERKT_EUlibE_EEviT1_.uses_vcc, 1
	.set _ZN2at6native32elementwise_kernel_manual_unrollILi128ELi8EZNS0_22gpu_kernel_impl_nocastINS0_11FillFunctorIsEEEEvRNS_18TensorIteratorBaseERKT_EUlibE_EEviT1_.uses_flat_scratch, 0
	.set _ZN2at6native32elementwise_kernel_manual_unrollILi128ELi8EZNS0_22gpu_kernel_impl_nocastINS0_11FillFunctorIsEEEEvRNS_18TensorIteratorBaseERKT_EUlibE_EEviT1_.has_dyn_sized_stack, 0
	.set _ZN2at6native32elementwise_kernel_manual_unrollILi128ELi8EZNS0_22gpu_kernel_impl_nocastINS0_11FillFunctorIsEEEEvRNS_18TensorIteratorBaseERKT_EUlibE_EEviT1_.has_recursion, 0
	.set _ZN2at6native32elementwise_kernel_manual_unrollILi128ELi8EZNS0_22gpu_kernel_impl_nocastINS0_11FillFunctorIsEEEEvRNS_18TensorIteratorBaseERKT_EUlibE_EEviT1_.has_indirect_call, 0
	.section	.AMDGPU.csdata,"",@progbits
; Kernel info:
; codeLenInByte = 9820
; TotalNumSgprs: 57
; NumVgprs: 16
; ScratchSize: 0
; MemoryBound: 0
; FloatMode: 240
; IeeeMode: 1
; LDSByteSize: 0 bytes/workgroup (compile time only)
; SGPRBlocks: 7
; VGPRBlocks: 3
; NumSGPRsForWavesPerEU: 57
; NumVGPRsForWavesPerEU: 16
; Occupancy: 10
; WaveLimiterHint : 1
; COMPUTE_PGM_RSRC2:SCRATCH_EN: 0
; COMPUTE_PGM_RSRC2:USER_SGPR: 6
; COMPUTE_PGM_RSRC2:TRAP_HANDLER: 0
; COMPUTE_PGM_RSRC2:TGID_X_EN: 1
; COMPUTE_PGM_RSRC2:TGID_Y_EN: 0
; COMPUTE_PGM_RSRC2:TGID_Z_EN: 0
; COMPUTE_PGM_RSRC2:TIDIG_COMP_CNT: 0
	.section	.text._ZN2at6native32elementwise_kernel_manual_unrollILi128ELi4EZNS0_15gpu_kernel_implINS0_11FillFunctorIsEEEEvRNS_18TensorIteratorBaseERKT_EUlibE_EEviT1_,"axG",@progbits,_ZN2at6native32elementwise_kernel_manual_unrollILi128ELi4EZNS0_15gpu_kernel_implINS0_11FillFunctorIsEEEEvRNS_18TensorIteratorBaseERKT_EUlibE_EEviT1_,comdat
	.protected	_ZN2at6native32elementwise_kernel_manual_unrollILi128ELi4EZNS0_15gpu_kernel_implINS0_11FillFunctorIsEEEEvRNS_18TensorIteratorBaseERKT_EUlibE_EEviT1_ ; -- Begin function _ZN2at6native32elementwise_kernel_manual_unrollILi128ELi4EZNS0_15gpu_kernel_implINS0_11FillFunctorIsEEEEvRNS_18TensorIteratorBaseERKT_EUlibE_EEviT1_
	.globl	_ZN2at6native32elementwise_kernel_manual_unrollILi128ELi4EZNS0_15gpu_kernel_implINS0_11FillFunctorIsEEEEvRNS_18TensorIteratorBaseERKT_EUlibE_EEviT1_
	.p2align	8
	.type	_ZN2at6native32elementwise_kernel_manual_unrollILi128ELi4EZNS0_15gpu_kernel_implINS0_11FillFunctorIsEEEEvRNS_18TensorIteratorBaseERKT_EUlibE_EEviT1_,@function
_ZN2at6native32elementwise_kernel_manual_unrollILi128ELi4EZNS0_15gpu_kernel_implINS0_11FillFunctorIsEEEEvRNS_18TensorIteratorBaseERKT_EUlibE_EEviT1_: ; @_ZN2at6native32elementwise_kernel_manual_unrollILi128ELi4EZNS0_15gpu_kernel_implINS0_11FillFunctorIsEEEEvRNS_18TensorIteratorBaseERKT_EUlibE_EEviT1_
; %bb.0:
	s_load_dwordx4 s[8:11], s[4:5], 0x8
	s_load_dword s50, s[4:5], 0x0
	v_lshl_or_b32 v15, s6, 9, v0
	v_or_b32_e32 v0, 0x180, v15
	s_mov_b64 s[6:7], 0
	s_waitcnt lgkmcnt(0)
	s_lshr_b32 s33, s11, 16
	v_cmp_le_i32_e32 vcc, s50, v0
	s_mov_b64 s[0:1], 0
	s_and_saveexec_b64 s[2:3], vcc
	s_xor_b64 s[12:13], exec, s[2:3]
	s_cbranch_execz .LBB38_404
; %bb.1:
	s_sext_i32_i16 s14, s11
	v_cvt_f32_i32_e32 v4, s14
	s_movk_i32 s0, 0xff
	s_ashr_i32 s15, s14, 31
	v_cvt_f16_i16_e32 v8, s11
	v_and_b32_e32 v2, 0x400000, v4
	v_bfe_u32 v1, v4, 23, 8
	v_cmp_ne_u32_e32 vcc, 0, v2
	v_and_b32_e32 v2, 0x3fffff, v4
	v_cmp_eq_u32_e64 s[4:5], s0, v1
	v_or_b32_e32 v1, v1, v2
	v_cmp_ne_u32_e64 s[0:1], 0, v1
	v_readfirstlane_b32 s18, v4
	s_and_b64 s[0:1], vcc, s[0:1]
	s_and_b32 s34, s18, 0x7fffffff
	s_cmp_lt_u32 s34, 0x43800000
	s_cselect_b64 s[28:29], -1, 0
	s_cmp_gt_u32 s34, 0x3bffffff
	v_cndmask_b32_e64 v1, 0, 1, s[0:1]
	s_cselect_b64 s[2:3], -1, 0
	s_bfe_u32 s0, s18, 0x10014
	s_add_i32 s19, s18, s0
	s_add_i32 s0, s19, 0x487ffff
	s_lshr_b32 s61, s0, 20
	s_mov_b32 s0, 0x46000000
	v_add_f32_e64 v13, |v4|, s0
	v_readfirstlane_b32 s0, v13
	s_and_b32 s0, s0, 0xff
	s_cmp_lg_u32 s0, 0
	s_cselect_b64 s[30:31], -1, 0
	s_cmp_gt_u32 s34, 0x477fffff
	s_cselect_b64 s[16:17], -1, 0
	s_cmp_lt_u32 s34, 0x47800000
	s_movk_i32 s0, 0x80
	s_cselect_b64 s[24:25], -1, 0
	s_cmp_gt_u32 s34, 0x37ffffff
	v_and_b32_sdwa v10, v4, s0 dst_sel:DWORD dst_unused:UNUSED_PAD src0_sel:BYTE_3 src1_sel:DWORD
	s_cselect_b64 s[0:1], -1, 0
	s_bfe_u32 s20, s18, 0x10015
	s_add_i32 s35, s18, s20
	s_add_i32 s18, s35, 0x88fffff
	s_lshr_b32 s59, s18, 21
	s_mov_b32 s18, 0x42800000
	v_add_f32_e64 v12, |v4|, s18
	v_readfirstlane_b32 s18, v12
	s_and_b32 s18, s18, 0xff
	s_cmp_lg_u32 s18, 0
	s_cselect_b64 s[26:27], -1, 0
	s_cmp_gt_u32 s34, 0x43efffff
	s_cselect_b64 s[20:21], -1, 0
	s_cmp_lt_u32 s34, 0x3c800000
	s_cselect_b64 s[22:23], -1, 0
	s_add_i32 s19, s19, 0x407ffff
	s_lshr_b32 s18, s19, 20
	s_and_b32 s19, s19, 0xff00000
	s_cmp_lg_u32 s19, 0x7f00000
	v_lshrrev_b32_e32 v0, 23, v4
	s_cselect_b32 s57, s18, 0x7e
	s_mov_b32 s18, 0x46800000
	s_cmp_lt_u32 s34, 0x38800000
	v_add_u32_e32 v14, v0, v1
	v_add_f32_e64 v0, |v4|, s18
	s_cselect_b64 s[18:19], -1, 0
	s_add_i32 s35, s35, 0x80fffff
	s_lshr_b32 s54, s35, 21
	s_cmp_gt_u32 s34, 0x7f800000
	s_movk_i32 s34, 0x7f
	s_cselect_b32 s60, s34, 0x7e
	s_mov_b32 s34, 0x43000000
	v_readfirstlane_b32 s58, v0
	v_add_f32_e64 v0, |v4|, s34
	v_readfirstlane_b32 s55, v0
	v_bfe_u32 v0, v4, 16, 1
	v_add_u32_e32 v0, v4, v0
	s_movk_i32 s34, 0x7c
	v_add_u32_e32 v0, 0x7fff, v0
	s_cselect_b32 s56, 0x7f, s34
	v_lshrrev_b32_e32 v11, 16, v0
	s_and_b32 s34, 0xffff, s11
	v_cvt_f64_i32_e32 v[0:1], s14
	s_cmp_lg_u32 s34, 0
	s_cselect_b64 s[34:35], -1, 0
	v_cndmask_b32_e64 v9, 0, 1, s[34:35]
	v_cmp_gt_i32_e32 vcc, s50, v15
	s_mov_b64 s[38:39], -1
	s_mov_b64 s[40:41], 0
	s_mov_b64 s[34:35], 0
	s_and_saveexec_b64 s[36:37], vcc
	s_cbranch_execz .LBB38_100
; %bb.2:
	v_mul_lo_u32 v2, v15, s10
	v_mov_b32_e32 v3, s9
	s_and_b32 s44, s33, 0xff
	s_cmp_lt_i32 s44, 11
	v_ashrrev_i32_e32 v5, 31, v2
	v_add_co_u32_e32 v6, vcc, s8, v2
	v_addc_co_u32_e32 v7, vcc, v3, v5, vcc
	s_cbranch_scc1 .LBB38_9
; %bb.3:
	s_and_b32 s45, 0xffff, s44
	s_cmp_gt_i32 s45, 25
	s_cbranch_scc0 .LBB38_12
; %bb.4:
	s_cmp_gt_i32 s45, 28
	s_cbranch_scc0 .LBB38_13
; %bb.5:
	;; [unrolled: 3-line block ×4, first 2 shown]
	s_mov_b64 s[42:43], 0
	s_mov_b64 s[34:35], -1
	s_cmp_eq_u32 s45, 46
	s_mov_b64 s[38:39], 0
	s_cbranch_scc0 .LBB38_16
; %bb.8:
	global_store_dword v[6:7], v11, off
	s_mov_b64 s[38:39], -1
	s_mov_b64 s[34:35], 0
	s_branch .LBB38_16
.LBB38_9:
	s_mov_b64 s[38:39], 0
	s_cbranch_execnz .LBB38_60
.LBB38_10:
	s_andn2_b64 vcc, exec, s[38:39]
	s_cbranch_vccnz .LBB38_98
.LBB38_11:
	v_add_u32_e32 v15, 0x80, v15
	s_mov_b64 s[38:39], -1
	s_branch .LBB38_99
.LBB38_12:
	s_mov_b64 s[38:39], 0
	s_cbranch_execnz .LBB38_38
	s_branch .LBB38_59
.LBB38_13:
	s_mov_b64 s[42:43], -1
	s_mov_b64 s[38:39], 0
	s_branch .LBB38_24
.LBB38_14:
	s_mov_b64 s[42:43], -1
	s_mov_b64 s[38:39], 0
	s_branch .LBB38_20
.LBB38_15:
	s_mov_b64 s[42:43], -1
	s_mov_b64 s[38:39], 0
.LBB38_16:
	s_and_b64 vcc, exec, s[42:43]
	s_cbranch_vccz .LBB38_19
; %bb.17:
	s_cmp_eq_u32 s45, 44
	s_mov_b64 s[34:35], -1
	s_cbranch_scc0 .LBB38_19
; %bb.18:
	v_mov_b32_e32 v2, 0xffff
	v_cndmask_b32_e64 v2, v14, v2, s[4:5]
	global_store_byte v[6:7], v2, off
	s_mov_b64 s[38:39], -1
	s_mov_b64 s[34:35], 0
.LBB38_19:
	s_mov_b64 s[42:43], 0
.LBB38_20:
	s_and_b64 vcc, exec, s[42:43]
	s_cbranch_vccz .LBB38_23
; %bb.21:
	s_cmp_eq_u32 s45, 29
	s_mov_b64 s[34:35], -1
	s_cbranch_scc0 .LBB38_23
; %bb.22:
	v_mov_b32_e32 v2, s14
	v_mov_b32_e32 v3, s15
	global_store_dwordx2 v[6:7], v[2:3], off
	s_mov_b64 s[38:39], -1
	s_mov_b64 s[34:35], 0
.LBB38_23:
	s_mov_b64 s[42:43], 0
.LBB38_24:
	s_and_b64 vcc, exec, s[42:43]
	s_cbranch_vccz .LBB38_37
; %bb.25:
	s_cmp_lt_i32 s45, 27
	s_mov_b64 s[38:39], -1
	s_cbranch_scc1 .LBB38_31
; %bb.26:
	s_cmp_gt_i32 s45, 27
	s_cbranch_scc0 .LBB38_28
; %bb.27:
	v_mov_b32_e32 v2, s14
	s_mov_b64 s[38:39], 0
	global_store_dword v[6:7], v2, off
.LBB38_28:
	s_andn2_b64 vcc, exec, s[38:39]
	s_cbranch_vccnz .LBB38_30
; %bb.29:
	v_mov_b32_e32 v2, s11
	global_store_short v[6:7], v2, off
.LBB38_30:
	s_mov_b64 s[38:39], 0
.LBB38_31:
	s_andn2_b64 vcc, exec, s[38:39]
	s_cbranch_vccnz .LBB38_36
; %bb.32:
	s_andn2_b64 vcc, exec, s[28:29]
	v_mov_b32_e32 v2, 0x80
	s_cbranch_vccnz .LBB38_35
; %bb.33:
	s_or_b64 s[38:39], s[2:3], s[30:31]
	s_andn2_b64 vcc, exec, s[38:39]
	v_mov_b32_e32 v2, 0
	s_cbranch_vccnz .LBB38_35
; %bb.34:
	v_mov_b32_e32 v2, s61
	v_cndmask_b32_e64 v2, v13, v2, s[2:3]
	v_or_b32_e32 v2, v2, v10
.LBB38_35:
	global_store_byte v[6:7], v2, off
.LBB38_36:
	s_mov_b64 s[38:39], -1
.LBB38_37:
	s_branch .LBB38_59
.LBB38_38:
	s_cmp_gt_i32 s45, 22
	s_mov_b64 s[42:43], -1
	s_cbranch_scc0 .LBB38_51
; %bb.39:
	s_cmp_lt_i32 s45, 24
	s_mov_b64 s[38:39], -1
	s_cbranch_scc1 .LBB38_48
; %bb.40:
	s_cmp_gt_i32 s45, 24
	s_cbranch_scc0 .LBB38_45
; %bb.41:
	s_andn2_b64 vcc, exec, s[24:25]
	v_mov_b32_e32 v2, 0x80
	s_cbranch_vccnz .LBB38_44
; %bb.42:
	s_or_b64 s[38:39], s[0:1], s[26:27]
	s_andn2_b64 vcc, exec, s[38:39]
	v_mov_b32_e32 v2, 0
	s_cbranch_vccnz .LBB38_44
; %bb.43:
	v_mov_b32_e32 v2, s59
	v_cndmask_b32_e64 v2, v12, v2, s[0:1]
	v_or_b32_e32 v2, v2, v10
.LBB38_44:
	s_mov_b64 s[38:39], 0
	global_store_byte v[6:7], v2, off
.LBB38_45:
	s_and_b64 vcc, exec, s[38:39]
	s_cbranch_vccz .LBB38_47
; %bb.46:
	s_and_b64 s[38:39], s[22:23], exec
	s_cselect_b32 s42, s58, s57
	s_and_b64 s[38:39], s[20:21], exec
	s_cselect_b32 s38, s60, s42
	v_or_b32_e32 v2, s38, v10
	global_store_byte v[6:7], v2, off
.LBB38_47:
	s_mov_b64 s[38:39], 0
.LBB38_48:
	s_andn2_b64 vcc, exec, s[38:39]
	s_cbranch_vccnz .LBB38_50
; %bb.49:
	s_and_b64 s[38:39], s[18:19], exec
	s_cselect_b32 s42, s55, s54
	s_and_b64 s[38:39], s[16:17], exec
	s_cselect_b32 s38, s56, s42
	v_or_b32_e32 v2, s38, v10
	global_store_byte v[6:7], v2, off
.LBB38_50:
	s_mov_b64 s[42:43], 0
	s_mov_b64 s[38:39], -1
.LBB38_51:
	s_andn2_b64 vcc, exec, s[42:43]
	s_cbranch_vccnz .LBB38_59
; %bb.52:
	s_cmp_gt_i32 s45, 14
	s_mov_b64 s[42:43], -1
	s_cbranch_scc0 .LBB38_56
; %bb.53:
	s_cmp_eq_u32 s45, 15
	s_mov_b64 s[34:35], -1
	s_cbranch_scc0 .LBB38_55
; %bb.54:
	global_store_short v[6:7], v11, off
	s_mov_b64 s[38:39], -1
	s_mov_b64 s[34:35], 0
.LBB38_55:
	s_mov_b64 s[42:43], 0
.LBB38_56:
	s_and_b64 vcc, exec, s[42:43]
	s_cbranch_vccz .LBB38_59
; %bb.57:
	s_cmp_eq_u32 s45, 11
	s_mov_b64 s[34:35], -1
	s_cbranch_scc0 .LBB38_59
; %bb.58:
	s_mov_b64 s[38:39], -1
	s_mov_b64 s[34:35], 0
	global_store_byte v[6:7], v9, off
.LBB38_59:
	s_branch .LBB38_10
.LBB38_60:
	s_and_b32 s42, 0xffff, s44
	s_cmp_lt_i32 s42, 5
	s_mov_b64 s[38:39], -1
	s_cbranch_scc1 .LBB38_81
; %bb.61:
	s_cmp_lt_i32 s42, 8
	s_cbranch_scc1 .LBB38_71
; %bb.62:
	s_cmp_lt_i32 s42, 9
	s_cbranch_scc1 .LBB38_68
; %bb.63:
	s_cmp_gt_i32 s42, 9
	s_cbranch_scc0 .LBB38_65
; %bb.64:
	v_mov_b32_e32 v2, 0
	v_mov_b32_e32 v3, v2
	global_store_dwordx4 v[6:7], v[0:3], off
	s_mov_b64 s[38:39], 0
.LBB38_65:
	s_andn2_b64 vcc, exec, s[38:39]
	s_cbranch_vccnz .LBB38_67
; %bb.66:
	v_mov_b32_e32 v5, 0
	global_store_dwordx2 v[6:7], v[4:5], off
.LBB38_67:
	s_mov_b64 s[38:39], 0
.LBB38_68:
	s_andn2_b64 vcc, exec, s[38:39]
	s_cbranch_vccnz .LBB38_70
; %bb.69:
	global_store_dword v[6:7], v8, off
.LBB38_70:
	s_mov_b64 s[38:39], 0
.LBB38_71:
	s_andn2_b64 vcc, exec, s[38:39]
	s_cbranch_vccnz .LBB38_80
; %bb.72:
	s_cmp_lt_i32 s42, 6
	s_mov_b64 s[38:39], -1
	s_cbranch_scc1 .LBB38_78
; %bb.73:
	s_cmp_gt_i32 s42, 6
	s_cbranch_scc0 .LBB38_75
; %bb.74:
	global_store_dwordx2 v[6:7], v[0:1], off
	s_mov_b64 s[38:39], 0
.LBB38_75:
	s_andn2_b64 vcc, exec, s[38:39]
	s_cbranch_vccnz .LBB38_77
; %bb.76:
	global_store_dword v[6:7], v4, off
.LBB38_77:
	s_mov_b64 s[38:39], 0
.LBB38_78:
	s_andn2_b64 vcc, exec, s[38:39]
	s_cbranch_vccnz .LBB38_80
; %bb.79:
	global_store_short v[6:7], v8, off
.LBB38_80:
	s_mov_b64 s[38:39], 0
.LBB38_81:
	s_andn2_b64 vcc, exec, s[38:39]
	s_cbranch_vccnz .LBB38_97
; %bb.82:
	s_cmp_lt_i32 s42, 2
	s_mov_b64 s[38:39], -1
	s_cbranch_scc1 .LBB38_92
; %bb.83:
	s_cmp_lt_i32 s42, 3
	s_cbranch_scc1 .LBB38_89
; %bb.84:
	s_cmp_gt_i32 s42, 3
	s_cbranch_scc0 .LBB38_86
; %bb.85:
	v_mov_b32_e32 v2, s14
	v_mov_b32_e32 v3, s15
	global_store_dwordx2 v[6:7], v[2:3], off
	s_mov_b64 s[38:39], 0
.LBB38_86:
	s_andn2_b64 vcc, exec, s[38:39]
	s_cbranch_vccnz .LBB38_88
; %bb.87:
	v_mov_b32_e32 v2, s14
	global_store_dword v[6:7], v2, off
.LBB38_88:
	s_mov_b64 s[38:39], 0
.LBB38_89:
	s_andn2_b64 vcc, exec, s[38:39]
	s_cbranch_vccnz .LBB38_91
; %bb.90:
	v_mov_b32_e32 v2, s11
	global_store_short v[6:7], v2, off
.LBB38_91:
	s_mov_b64 s[38:39], 0
.LBB38_92:
	s_andn2_b64 vcc, exec, s[38:39]
	s_cbranch_vccnz .LBB38_97
; %bb.93:
	s_cmp_gt_i32 s42, 0
	s_mov_b64 s[38:39], -1
	s_cbranch_scc0 .LBB38_95
; %bb.94:
	v_mov_b32_e32 v2, s11
	global_store_byte v[6:7], v2, off
	s_mov_b64 s[38:39], 0
.LBB38_95:
	s_andn2_b64 vcc, exec, s[38:39]
	s_cbranch_vccnz .LBB38_97
; %bb.96:
	v_mov_b32_e32 v2, s11
	global_store_byte v[6:7], v2, off
.LBB38_97:
	s_branch .LBB38_11
.LBB38_98:
	s_mov_b64 s[38:39], 0
                                        ; implicit-def: $vgpr15
.LBB38_99:
	s_and_b64 s[34:35], s[34:35], exec
	s_orn2_b64 s[38:39], s[38:39], exec
.LBB38_100:
	s_or_b64 exec, exec, s[36:37]
	s_mov_b64 s[42:43], 0
                                        ; implicit-def: $sgpr62
                                        ; implicit-def: $vgpr6_vgpr7
	s_and_saveexec_b64 s[36:37], s[38:39]
	s_cbranch_execz .LBB38_109
; %bb.101:
	v_cmp_gt_i32_e32 vcc, s50, v15
	s_mov_b64 s[44:45], -1
	s_mov_b64 s[38:39], s[34:35]
	s_and_saveexec_b64 s[40:41], vcc
	s_cbranch_execz .LBB38_204
; %bb.102:
	v_mul_lo_u32 v2, v15, s10
	v_mov_b32_e32 v3, s9
	s_and_b32 s46, s33, 0xff
	s_cmp_lt_i32 s46, 11
	v_ashrrev_i32_e32 v5, 31, v2
	v_add_co_u32_e32 v6, vcc, s8, v2
	v_addc_co_u32_e32 v7, vcc, v3, v5, vcc
	s_cbranch_scc1 .LBB38_112
; %bb.103:
	s_and_b32 s47, 0xffff, s46
	s_cmp_gt_i32 s47, 25
	s_cbranch_scc0 .LBB38_115
; %bb.104:
	s_cmp_gt_i32 s47, 28
	s_cbranch_scc0 .LBB38_116
; %bb.105:
	;; [unrolled: 3-line block ×4, first 2 shown]
	s_mov_b64 s[44:45], 0
	s_mov_b64 s[38:39], -1
	s_cmp_eq_u32 s47, 46
	s_cbranch_scc0 .LBB38_119
; %bb.108:
	global_store_dword v[6:7], v11, off
	s_mov_b64 s[42:43], -1
	s_mov_b64 s[38:39], 0
	s_branch .LBB38_119
.LBB38_109:
	s_or_b64 exec, exec, s[36:37]
	s_mov_b64 s[0:1], 0
	s_and_saveexec_b64 s[2:3], s[34:35]
	s_cbranch_execnz .LBB38_364
.LBB38_110:
	s_or_b64 exec, exec, s[2:3]
	s_and_saveexec_b64 s[2:3], s[40:41]
	s_xor_b64 s[2:3], exec, s[2:3]
	s_cbranch_execz .LBB38_365
.LBB38_111:
	global_store_byte v[6:7], v9, off
	s_or_b64 exec, exec, s[2:3]
	s_and_saveexec_b64 s[2:3], s[42:43]
	s_xor_b64 s[2:3], exec, s[2:3]
	s_cbranch_execz .LBB38_403
	s_branch .LBB38_366
.LBB38_112:
	s_mov_b64 s[38:39], s[34:35]
	s_and_b64 vcc, exec, s[44:45]
	s_cbranch_vccnz .LBB38_164
.LBB38_113:
	s_andn2_b64 vcc, exec, s[42:43]
	s_cbranch_vccnz .LBB38_202
.LBB38_114:
	v_add_u32_e32 v15, 0x80, v15
	s_mov_b64 s[42:43], -1
	s_branch .LBB38_203
.LBB38_115:
	s_mov_b64 s[38:39], s[34:35]
	s_branch .LBB38_141
.LBB38_116:
	s_mov_b64 s[38:39], s[34:35]
	s_branch .LBB38_127
.LBB38_117:
	s_mov_b64 s[38:39], s[34:35]
	s_branch .LBB38_123
.LBB38_118:
	s_mov_b64 s[38:39], s[34:35]
.LBB38_119:
	s_and_b64 vcc, exec, s[44:45]
	s_cbranch_vccz .LBB38_122
; %bb.120:
	s_cmp_eq_u32 s47, 44
	s_mov_b64 s[38:39], -1
	s_cbranch_scc0 .LBB38_122
; %bb.121:
	v_mov_b32_e32 v2, 0xffff
	v_cndmask_b32_e64 v2, v14, v2, s[4:5]
	s_mov_b64 s[42:43], -1
	s_mov_b64 s[38:39], 0
	global_store_byte v[6:7], v2, off
.LBB38_122:
	s_mov_b64 s[44:45], 0
.LBB38_123:
	s_and_b64 vcc, exec, s[44:45]
	s_cbranch_vccz .LBB38_126
; %bb.124:
	s_cmp_eq_u32 s47, 29
	s_mov_b64 s[38:39], -1
	s_cbranch_scc0 .LBB38_126
; %bb.125:
	v_mov_b32_e32 v2, s14
	v_mov_b32_e32 v3, s15
	global_store_dwordx2 v[6:7], v[2:3], off
	s_mov_b64 s[42:43], -1
	s_mov_b64 s[38:39], 0
.LBB38_126:
	s_mov_b64 s[44:45], 0
.LBB38_127:
	s_and_b64 vcc, exec, s[44:45]
	s_cbranch_vccz .LBB38_140
; %bb.128:
	s_cmp_lt_i32 s47, 27
	s_mov_b64 s[42:43], -1
	s_cbranch_scc1 .LBB38_134
; %bb.129:
	s_cmp_gt_i32 s47, 27
	s_cbranch_scc0 .LBB38_131
; %bb.130:
	v_mov_b32_e32 v2, s14
	s_mov_b64 s[42:43], 0
	global_store_dword v[6:7], v2, off
.LBB38_131:
	s_andn2_b64 vcc, exec, s[42:43]
	s_cbranch_vccnz .LBB38_133
; %bb.132:
	v_mov_b32_e32 v2, s11
	global_store_short v[6:7], v2, off
.LBB38_133:
	s_mov_b64 s[42:43], 0
.LBB38_134:
	s_andn2_b64 vcc, exec, s[42:43]
	s_cbranch_vccnz .LBB38_139
; %bb.135:
	s_andn2_b64 vcc, exec, s[28:29]
	v_mov_b32_e32 v2, 0x80
	s_cbranch_vccnz .LBB38_138
; %bb.136:
	s_or_b64 s[42:43], s[2:3], s[30:31]
	s_andn2_b64 vcc, exec, s[42:43]
	v_mov_b32_e32 v2, 0
	s_cbranch_vccnz .LBB38_138
; %bb.137:
	v_mov_b32_e32 v2, s61
	v_cndmask_b32_e64 v2, v13, v2, s[2:3]
	v_or_b32_e32 v2, v2, v10
.LBB38_138:
	global_store_byte v[6:7], v2, off
.LBB38_139:
	s_mov_b64 s[42:43], -1
.LBB38_140:
	s_mov_b64 s[44:45], 0
.LBB38_141:
	s_and_b64 vcc, exec, s[44:45]
	s_cbranch_vccz .LBB38_163
; %bb.142:
	s_cmp_gt_i32 s47, 22
	s_mov_b64 s[44:45], -1
	s_cbranch_scc0 .LBB38_155
; %bb.143:
	s_cmp_lt_i32 s47, 24
	s_mov_b64 s[42:43], -1
	s_cbranch_scc1 .LBB38_152
; %bb.144:
	s_cmp_gt_i32 s47, 24
	s_cbranch_scc0 .LBB38_149
; %bb.145:
	s_andn2_b64 vcc, exec, s[24:25]
	v_mov_b32_e32 v2, 0x80
	s_cbranch_vccnz .LBB38_148
; %bb.146:
	s_or_b64 s[42:43], s[0:1], s[26:27]
	s_andn2_b64 vcc, exec, s[42:43]
	v_mov_b32_e32 v2, 0
	s_cbranch_vccnz .LBB38_148
; %bb.147:
	v_mov_b32_e32 v2, s59
	v_cndmask_b32_e64 v2, v12, v2, s[0:1]
	v_or_b32_e32 v2, v2, v10
.LBB38_148:
	s_mov_b64 s[42:43], 0
	global_store_byte v[6:7], v2, off
.LBB38_149:
	s_and_b64 vcc, exec, s[42:43]
	s_cbranch_vccz .LBB38_151
; %bb.150:
	s_and_b64 s[42:43], s[22:23], exec
	s_cselect_b32 s44, s58, s57
	s_and_b64 s[42:43], s[20:21], exec
	s_cselect_b32 s42, s60, s44
	v_or_b32_e32 v2, s42, v10
	global_store_byte v[6:7], v2, off
.LBB38_151:
	s_mov_b64 s[42:43], 0
.LBB38_152:
	s_andn2_b64 vcc, exec, s[42:43]
	s_cbranch_vccnz .LBB38_154
; %bb.153:
	s_and_b64 s[42:43], s[18:19], exec
	s_cselect_b32 s44, s55, s54
	s_and_b64 s[42:43], s[16:17], exec
	s_cselect_b32 s42, s56, s44
	v_or_b32_e32 v2, s42, v10
	global_store_byte v[6:7], v2, off
.LBB38_154:
	s_mov_b64 s[44:45], 0
	s_mov_b64 s[42:43], -1
.LBB38_155:
	s_andn2_b64 vcc, exec, s[44:45]
	s_cbranch_vccnz .LBB38_163
; %bb.156:
	s_cmp_gt_i32 s47, 14
	s_mov_b64 s[44:45], -1
	s_cbranch_scc0 .LBB38_160
; %bb.157:
	s_cmp_eq_u32 s47, 15
	s_mov_b64 s[38:39], -1
	s_cbranch_scc0 .LBB38_159
; %bb.158:
	global_store_short v[6:7], v11, off
	s_mov_b64 s[42:43], -1
	s_mov_b64 s[38:39], 0
.LBB38_159:
	s_mov_b64 s[44:45], 0
.LBB38_160:
	s_and_b64 vcc, exec, s[44:45]
	s_cbranch_vccz .LBB38_163
; %bb.161:
	s_cmp_eq_u32 s47, 11
	s_mov_b64 s[38:39], -1
	s_cbranch_scc0 .LBB38_163
; %bb.162:
	s_mov_b64 s[42:43], -1
	s_mov_b64 s[38:39], 0
	global_store_byte v[6:7], v9, off
.LBB38_163:
	s_branch .LBB38_113
.LBB38_164:
	s_and_b32 s44, 0xffff, s46
	s_cmp_lt_i32 s44, 5
	s_mov_b64 s[42:43], -1
	s_cbranch_scc1 .LBB38_185
; %bb.165:
	s_cmp_lt_i32 s44, 8
	s_cbranch_scc1 .LBB38_175
; %bb.166:
	s_cmp_lt_i32 s44, 9
	s_cbranch_scc1 .LBB38_172
; %bb.167:
	s_cmp_gt_i32 s44, 9
	s_cbranch_scc0 .LBB38_169
; %bb.168:
	v_mov_b32_e32 v2, 0
	v_mov_b32_e32 v3, v2
	s_mov_b64 s[42:43], 0
	global_store_dwordx4 v[6:7], v[0:3], off
.LBB38_169:
	s_andn2_b64 vcc, exec, s[42:43]
	s_cbranch_vccnz .LBB38_171
; %bb.170:
	v_mov_b32_e32 v5, 0
	global_store_dwordx2 v[6:7], v[4:5], off
.LBB38_171:
	s_mov_b64 s[42:43], 0
.LBB38_172:
	s_andn2_b64 vcc, exec, s[42:43]
	s_cbranch_vccnz .LBB38_174
; %bb.173:
	global_store_dword v[6:7], v8, off
.LBB38_174:
	s_mov_b64 s[42:43], 0
.LBB38_175:
	s_andn2_b64 vcc, exec, s[42:43]
	s_cbranch_vccnz .LBB38_184
; %bb.176:
	s_cmp_lt_i32 s44, 6
	s_mov_b64 s[42:43], -1
	s_cbranch_scc1 .LBB38_182
; %bb.177:
	s_cmp_gt_i32 s44, 6
	s_cbranch_scc0 .LBB38_179
; %bb.178:
	s_mov_b64 s[42:43], 0
	global_store_dwordx2 v[6:7], v[0:1], off
.LBB38_179:
	s_andn2_b64 vcc, exec, s[42:43]
	s_cbranch_vccnz .LBB38_181
; %bb.180:
	global_store_dword v[6:7], v4, off
.LBB38_181:
	s_mov_b64 s[42:43], 0
.LBB38_182:
	s_andn2_b64 vcc, exec, s[42:43]
	s_cbranch_vccnz .LBB38_184
; %bb.183:
	global_store_short v[6:7], v8, off
.LBB38_184:
	s_mov_b64 s[42:43], 0
.LBB38_185:
	s_andn2_b64 vcc, exec, s[42:43]
	s_cbranch_vccnz .LBB38_201
; %bb.186:
	s_cmp_lt_i32 s44, 2
	s_mov_b64 s[42:43], -1
	s_cbranch_scc1 .LBB38_196
; %bb.187:
	s_cmp_lt_i32 s44, 3
	s_cbranch_scc1 .LBB38_193
; %bb.188:
	s_cmp_gt_i32 s44, 3
	s_cbranch_scc0 .LBB38_190
; %bb.189:
	v_mov_b32_e32 v2, s14
	v_mov_b32_e32 v3, s15
	s_mov_b64 s[42:43], 0
	global_store_dwordx2 v[6:7], v[2:3], off
.LBB38_190:
	s_andn2_b64 vcc, exec, s[42:43]
	s_cbranch_vccnz .LBB38_192
; %bb.191:
	v_mov_b32_e32 v2, s14
	global_store_dword v[6:7], v2, off
.LBB38_192:
	s_mov_b64 s[42:43], 0
.LBB38_193:
	s_andn2_b64 vcc, exec, s[42:43]
	s_cbranch_vccnz .LBB38_195
; %bb.194:
	v_mov_b32_e32 v2, s11
	global_store_short v[6:7], v2, off
.LBB38_195:
	s_mov_b64 s[42:43], 0
.LBB38_196:
	s_andn2_b64 vcc, exec, s[42:43]
	s_cbranch_vccnz .LBB38_201
; %bb.197:
	s_cmp_gt_i32 s44, 0
	s_mov_b64 s[42:43], -1
	s_cbranch_scc0 .LBB38_199
; %bb.198:
	v_mov_b32_e32 v2, s11
	s_mov_b64 s[42:43], 0
	global_store_byte v[6:7], v2, off
.LBB38_199:
	s_andn2_b64 vcc, exec, s[42:43]
	s_cbranch_vccnz .LBB38_201
; %bb.200:
	v_mov_b32_e32 v2, s11
	global_store_byte v[6:7], v2, off
.LBB38_201:
	s_branch .LBB38_114
.LBB38_202:
	s_mov_b64 s[42:43], 0
                                        ; implicit-def: $vgpr15
.LBB38_203:
	s_andn2_b64 s[44:45], s[34:35], exec
	s_and_b64 s[38:39], s[38:39], exec
	s_or_b64 s[38:39], s[44:45], s[38:39]
	s_orn2_b64 s[44:45], s[42:43], exec
.LBB38_204:
	s_or_b64 exec, exec, s[40:41]
	s_mov_b64 s[46:47], 0
	s_mov_b64 s[42:43], 0
                                        ; implicit-def: $sgpr62
                                        ; implicit-def: $vgpr6_vgpr7
	s_and_saveexec_b64 s[40:41], s[44:45]
	s_cbranch_execz .LBB38_363
; %bb.205:
	v_cmp_gt_i32_e32 vcc, s50, v15
	s_mov_b64 s[48:49], -1
	s_mov_b64 s[44:45], s[38:39]
	s_and_saveexec_b64 s[42:43], vcc
	s_cbranch_execz .LBB38_306
; %bb.206:
	v_mul_lo_u32 v2, v15, s10
	v_mov_b32_e32 v3, s9
	s_and_b32 s51, s33, 0xff
	s_cmp_lt_i32 s51, 11
	v_ashrrev_i32_e32 v5, 31, v2
	v_add_co_u32_e32 v6, vcc, s8, v2
	v_addc_co_u32_e32 v7, vcc, v3, v5, vcc
	s_cbranch_scc1 .LBB38_213
; %bb.207:
	s_and_b32 s52, 0xffff, s51
	s_cmp_gt_i32 s52, 25
	s_cbranch_scc0 .LBB38_214
; %bb.208:
	s_cmp_gt_i32 s52, 28
	s_cbranch_scc0 .LBB38_215
; %bb.209:
	;; [unrolled: 3-line block ×4, first 2 shown]
	s_mov_b64 s[48:49], 0
	s_mov_b64 s[44:45], -1
	s_cmp_eq_u32 s52, 46
	s_cbranch_scc0 .LBB38_218
; %bb.212:
	global_store_dword v[6:7], v11, off
	s_mov_b64 s[46:47], -1
	s_mov_b64 s[44:45], 0
	s_branch .LBB38_218
.LBB38_213:
	s_mov_b64 s[44:45], s[38:39]
	s_branch .LBB38_263
.LBB38_214:
	s_mov_b64 s[44:45], s[38:39]
	s_branch .LBB38_240
.LBB38_215:
	s_mov_b64 s[44:45], s[38:39]
	s_branch .LBB38_226
.LBB38_216:
	s_mov_b64 s[44:45], s[38:39]
	s_branch .LBB38_222
.LBB38_217:
	s_mov_b64 s[44:45], s[38:39]
.LBB38_218:
	s_and_b64 vcc, exec, s[48:49]
	s_cbranch_vccz .LBB38_221
; %bb.219:
	s_cmp_eq_u32 s52, 44
	s_mov_b64 s[44:45], -1
	s_cbranch_scc0 .LBB38_221
; %bb.220:
	v_mov_b32_e32 v2, 0xffff
	v_cndmask_b32_e64 v2, v14, v2, s[4:5]
	s_mov_b64 s[46:47], -1
	s_mov_b64 s[44:45], 0
	global_store_byte v[6:7], v2, off
.LBB38_221:
	s_mov_b64 s[48:49], 0
.LBB38_222:
	s_and_b64 vcc, exec, s[48:49]
	s_cbranch_vccz .LBB38_225
; %bb.223:
	s_cmp_eq_u32 s52, 29
	s_mov_b64 s[44:45], -1
	s_cbranch_scc0 .LBB38_225
; %bb.224:
	v_mov_b32_e32 v2, s14
	v_mov_b32_e32 v3, s15
	global_store_dwordx2 v[6:7], v[2:3], off
	s_mov_b64 s[46:47], -1
	s_mov_b64 s[44:45], 0
.LBB38_225:
	s_mov_b64 s[48:49], 0
.LBB38_226:
	s_and_b64 vcc, exec, s[48:49]
	s_cbranch_vccz .LBB38_239
; %bb.227:
	s_cmp_lt_i32 s52, 27
	s_mov_b64 s[46:47], -1
	s_cbranch_scc1 .LBB38_233
; %bb.228:
	s_cmp_gt_i32 s52, 27
	s_cbranch_scc0 .LBB38_230
; %bb.229:
	v_mov_b32_e32 v2, s14
	s_mov_b64 s[46:47], 0
	global_store_dword v[6:7], v2, off
.LBB38_230:
	s_andn2_b64 vcc, exec, s[46:47]
	s_cbranch_vccnz .LBB38_232
; %bb.231:
	v_mov_b32_e32 v2, s11
	global_store_short v[6:7], v2, off
.LBB38_232:
	s_mov_b64 s[46:47], 0
.LBB38_233:
	s_andn2_b64 vcc, exec, s[46:47]
	s_cbranch_vccnz .LBB38_238
; %bb.234:
	s_andn2_b64 vcc, exec, s[28:29]
	v_mov_b32_e32 v2, 0x80
	s_cbranch_vccnz .LBB38_237
; %bb.235:
	s_or_b64 s[46:47], s[2:3], s[30:31]
	s_andn2_b64 vcc, exec, s[46:47]
	v_mov_b32_e32 v2, 0
	s_cbranch_vccnz .LBB38_237
; %bb.236:
	v_mov_b32_e32 v2, s61
	v_cndmask_b32_e64 v2, v13, v2, s[2:3]
	v_or_b32_e32 v2, v2, v10
.LBB38_237:
	global_store_byte v[6:7], v2, off
.LBB38_238:
	s_mov_b64 s[46:47], -1
.LBB38_239:
	s_mov_b64 s[48:49], 0
.LBB38_240:
	s_and_b64 vcc, exec, s[48:49]
	s_cbranch_vccz .LBB38_262
; %bb.241:
	s_cmp_gt_i32 s52, 22
	s_mov_b64 s[48:49], -1
	s_cbranch_scc0 .LBB38_254
; %bb.242:
	s_cmp_lt_i32 s52, 24
	s_mov_b64 s[46:47], -1
	s_cbranch_scc1 .LBB38_251
; %bb.243:
	s_cmp_gt_i32 s52, 24
	s_cbranch_scc0 .LBB38_248
; %bb.244:
	s_andn2_b64 vcc, exec, s[24:25]
	v_mov_b32_e32 v2, 0x80
	s_cbranch_vccnz .LBB38_247
; %bb.245:
	s_or_b64 s[46:47], s[0:1], s[26:27]
	s_andn2_b64 vcc, exec, s[46:47]
	v_mov_b32_e32 v2, 0
	s_cbranch_vccnz .LBB38_247
; %bb.246:
	v_mov_b32_e32 v2, s59
	v_cndmask_b32_e64 v2, v12, v2, s[0:1]
	v_or_b32_e32 v2, v2, v10
.LBB38_247:
	s_mov_b64 s[46:47], 0
	global_store_byte v[6:7], v2, off
.LBB38_248:
	s_and_b64 vcc, exec, s[46:47]
	s_cbranch_vccz .LBB38_250
; %bb.249:
	s_and_b64 s[46:47], s[22:23], exec
	s_cselect_b32 s48, s58, s57
	s_and_b64 s[46:47], s[20:21], exec
	s_cselect_b32 s46, s60, s48
	v_or_b32_e32 v2, s46, v10
	global_store_byte v[6:7], v2, off
.LBB38_250:
	s_mov_b64 s[46:47], 0
.LBB38_251:
	s_andn2_b64 vcc, exec, s[46:47]
	s_cbranch_vccnz .LBB38_253
; %bb.252:
	s_and_b64 s[46:47], s[18:19], exec
	s_cselect_b32 s48, s55, s54
	s_and_b64 s[46:47], s[16:17], exec
	s_cselect_b32 s46, s56, s48
	v_or_b32_e32 v2, s46, v10
	global_store_byte v[6:7], v2, off
.LBB38_253:
	s_mov_b64 s[48:49], 0
	s_mov_b64 s[46:47], -1
.LBB38_254:
	s_andn2_b64 vcc, exec, s[48:49]
	s_cbranch_vccnz .LBB38_262
; %bb.255:
	s_cmp_gt_i32 s52, 14
	s_mov_b64 s[48:49], -1
	s_cbranch_scc0 .LBB38_259
; %bb.256:
	s_cmp_eq_u32 s52, 15
	s_mov_b64 s[44:45], -1
	s_cbranch_scc0 .LBB38_258
; %bb.257:
	global_store_short v[6:7], v11, off
	s_mov_b64 s[46:47], -1
	s_mov_b64 s[44:45], 0
.LBB38_258:
	s_mov_b64 s[48:49], 0
.LBB38_259:
	s_and_b64 vcc, exec, s[48:49]
	s_cbranch_vccz .LBB38_262
; %bb.260:
	s_cmp_eq_u32 s52, 11
	s_mov_b64 s[44:45], -1
	s_cbranch_scc0 .LBB38_262
; %bb.261:
	s_mov_b64 s[46:47], -1
	s_mov_b64 s[44:45], 0
	global_store_byte v[6:7], v9, off
.LBB38_262:
	s_mov_b64 s[48:49], 0
.LBB38_263:
	s_and_b64 vcc, exec, s[48:49]
	s_cbranch_vccz .LBB38_302
; %bb.264:
	s_and_b32 s48, 0xffff, s51
	s_cmp_lt_i32 s48, 5
	s_mov_b64 s[46:47], -1
	s_cbranch_scc1 .LBB38_285
; %bb.265:
	s_cmp_lt_i32 s48, 8
	s_cbranch_scc1 .LBB38_275
; %bb.266:
	s_cmp_lt_i32 s48, 9
	s_cbranch_scc1 .LBB38_272
; %bb.267:
	s_cmp_gt_i32 s48, 9
	s_cbranch_scc0 .LBB38_269
; %bb.268:
	v_mov_b32_e32 v2, 0
	v_mov_b32_e32 v3, v2
	s_mov_b64 s[46:47], 0
	global_store_dwordx4 v[6:7], v[0:3], off
.LBB38_269:
	s_andn2_b64 vcc, exec, s[46:47]
	s_cbranch_vccnz .LBB38_271
; %bb.270:
	v_mov_b32_e32 v5, 0
	global_store_dwordx2 v[6:7], v[4:5], off
.LBB38_271:
	s_mov_b64 s[46:47], 0
.LBB38_272:
	s_andn2_b64 vcc, exec, s[46:47]
	s_cbranch_vccnz .LBB38_274
; %bb.273:
	global_store_dword v[6:7], v8, off
.LBB38_274:
	s_mov_b64 s[46:47], 0
.LBB38_275:
	s_andn2_b64 vcc, exec, s[46:47]
	s_cbranch_vccnz .LBB38_284
; %bb.276:
	s_cmp_lt_i32 s48, 6
	s_mov_b64 s[46:47], -1
	s_cbranch_scc1 .LBB38_282
; %bb.277:
	s_cmp_gt_i32 s48, 6
	s_cbranch_scc0 .LBB38_279
; %bb.278:
	s_mov_b64 s[46:47], 0
	global_store_dwordx2 v[6:7], v[0:1], off
.LBB38_279:
	s_andn2_b64 vcc, exec, s[46:47]
	s_cbranch_vccnz .LBB38_281
; %bb.280:
	global_store_dword v[6:7], v4, off
.LBB38_281:
	s_mov_b64 s[46:47], 0
.LBB38_282:
	s_andn2_b64 vcc, exec, s[46:47]
	s_cbranch_vccnz .LBB38_284
; %bb.283:
	global_store_short v[6:7], v8, off
.LBB38_284:
	s_mov_b64 s[46:47], 0
.LBB38_285:
	s_andn2_b64 vcc, exec, s[46:47]
	s_cbranch_vccnz .LBB38_301
; %bb.286:
	s_cmp_lt_i32 s48, 2
	s_mov_b64 s[46:47], -1
	s_cbranch_scc1 .LBB38_296
; %bb.287:
	s_cmp_lt_i32 s48, 3
	s_cbranch_scc1 .LBB38_293
; %bb.288:
	s_cmp_gt_i32 s48, 3
	s_cbranch_scc0 .LBB38_290
; %bb.289:
	v_mov_b32_e32 v2, s14
	v_mov_b32_e32 v3, s15
	s_mov_b64 s[46:47], 0
	global_store_dwordx2 v[6:7], v[2:3], off
.LBB38_290:
	s_andn2_b64 vcc, exec, s[46:47]
	s_cbranch_vccnz .LBB38_292
; %bb.291:
	v_mov_b32_e32 v2, s14
	global_store_dword v[6:7], v2, off
.LBB38_292:
	s_mov_b64 s[46:47], 0
.LBB38_293:
	s_andn2_b64 vcc, exec, s[46:47]
	s_cbranch_vccnz .LBB38_295
; %bb.294:
	v_mov_b32_e32 v2, s11
	global_store_short v[6:7], v2, off
.LBB38_295:
	s_mov_b64 s[46:47], 0
.LBB38_296:
	s_andn2_b64 vcc, exec, s[46:47]
	s_cbranch_vccnz .LBB38_301
; %bb.297:
	s_cmp_gt_i32 s48, 0
	s_mov_b64 s[46:47], -1
	s_cbranch_scc0 .LBB38_299
; %bb.298:
	v_mov_b32_e32 v2, s11
	s_mov_b64 s[46:47], 0
	global_store_byte v[6:7], v2, off
.LBB38_299:
	s_andn2_b64 vcc, exec, s[46:47]
	s_cbranch_vccnz .LBB38_301
; %bb.300:
	v_mov_b32_e32 v2, s11
	global_store_byte v[6:7], v2, off
.LBB38_301:
	s_mov_b64 s[46:47], -1
.LBB38_302:
	s_andn2_b64 vcc, exec, s[46:47]
	s_cbranch_vccnz .LBB38_304
; %bb.303:
	v_add_u32_e32 v15, 0x80, v15
	s_mov_b64 s[46:47], -1
	s_branch .LBB38_305
.LBB38_304:
	s_mov_b64 s[46:47], 0
                                        ; implicit-def: $vgpr15
.LBB38_305:
	s_andn2_b64 s[48:49], s[38:39], exec
	s_and_b64 s[44:45], s[44:45], exec
	s_or_b64 s[44:45], s[48:49], s[44:45]
	s_orn2_b64 s[48:49], s[46:47], exec
.LBB38_306:
	s_or_b64 exec, exec, s[42:43]
	s_mov_b64 s[46:47], 0
	s_mov_b64 s[52:53], 0
                                        ; implicit-def: $sgpr62
                                        ; implicit-def: $vgpr6_vgpr7
	s_and_saveexec_b64 s[42:43], s[48:49]
	s_cbranch_execz .LBB38_362
; %bb.307:
	v_cmp_gt_i32_e32 vcc, s50, v15
	s_mov_b64 s[50:51], 0
	s_mov_b64 s[48:49], s[44:45]
                                        ; implicit-def: $sgpr62
                                        ; implicit-def: $vgpr6_vgpr7
	s_and_saveexec_b64 s[46:47], vcc
	s_cbranch_execz .LBB38_361
; %bb.308:
	v_mul_lo_u32 v2, v15, s10
	v_mov_b32_e32 v3, s9
	s_and_b32 s62, s33, 0xff
	s_cmp_lt_i32 s62, 11
	v_ashrrev_i32_e32 v5, 31, v2
	v_add_co_u32_e32 v6, vcc, s8, v2
	v_addc_co_u32_e32 v7, vcc, v3, v5, vcc
	s_cbranch_scc1 .LBB38_358
; %bb.309:
	s_and_b32 s52, 0xffff, s62
	s_mov_b64 s[50:51], -1
	s_cmp_gt_i32 s52, 25
	s_mov_b64 s[48:49], s[44:45]
	s_cbranch_scc0 .LBB38_337
; %bb.310:
	s_cmp_gt_i32 s52, 28
	s_mov_b64 s[48:49], s[44:45]
	s_cbranch_scc0 .LBB38_324
; %bb.311:
	;; [unrolled: 4-line block ×4, first 2 shown]
	s_cmp_eq_u32 s52, 46
	s_mov_b64 s[48:49], -1
	s_cbranch_scc0 .LBB38_315
; %bb.314:
	global_store_dword v[6:7], v11, off
	s_mov_b64 s[48:49], 0
.LBB38_315:
	s_mov_b64 s[50:51], 0
.LBB38_316:
	s_and_b64 vcc, exec, s[50:51]
	s_cbranch_vccz .LBB38_319
; %bb.317:
	s_cmp_eq_u32 s52, 44
	s_mov_b64 s[48:49], -1
	s_cbranch_scc0 .LBB38_319
; %bb.318:
	v_mov_b32_e32 v2, 0xffff
	v_cndmask_b32_e64 v2, v14, v2, s[4:5]
	global_store_byte v[6:7], v2, off
	s_mov_b64 s[48:49], 0
.LBB38_319:
	s_mov_b64 s[50:51], 0
.LBB38_320:
	s_and_b64 vcc, exec, s[50:51]
	s_cbranch_vccz .LBB38_323
; %bb.321:
	s_cmp_eq_u32 s52, 29
	s_mov_b64 s[48:49], -1
	s_cbranch_scc0 .LBB38_323
; %bb.322:
	v_mov_b32_e32 v2, s14
	v_mov_b32_e32 v3, s15
	global_store_dwordx2 v[6:7], v[2:3], off
	s_mov_b64 s[48:49], 0
.LBB38_323:
	s_mov_b64 s[50:51], 0
.LBB38_324:
	s_and_b64 vcc, exec, s[50:51]
	s_cbranch_vccz .LBB38_336
; %bb.325:
	s_cmp_lt_i32 s52, 27
	s_mov_b64 s[4:5], -1
	s_cbranch_scc1 .LBB38_331
; %bb.326:
	s_cmp_gt_i32 s52, 27
	s_cbranch_scc0 .LBB38_328
; %bb.327:
	v_mov_b32_e32 v2, s14
	s_mov_b64 s[4:5], 0
	global_store_dword v[6:7], v2, off
.LBB38_328:
	s_andn2_b64 vcc, exec, s[4:5]
	s_cbranch_vccnz .LBB38_330
; %bb.329:
	v_mov_b32_e32 v2, s11
	global_store_short v[6:7], v2, off
.LBB38_330:
	s_mov_b64 s[4:5], 0
.LBB38_331:
	s_andn2_b64 vcc, exec, s[4:5]
	s_cbranch_vccnz .LBB38_336
; %bb.332:
	s_andn2_b64 vcc, exec, s[28:29]
	v_mov_b32_e32 v2, 0x80
	s_cbranch_vccnz .LBB38_335
; %bb.333:
	s_or_b64 s[4:5], s[2:3], s[30:31]
	s_andn2_b64 vcc, exec, s[4:5]
	v_mov_b32_e32 v2, 0
	s_cbranch_vccnz .LBB38_335
; %bb.334:
	v_mov_b32_e32 v2, s61
	v_cndmask_b32_e64 v2, v13, v2, s[2:3]
	v_or_b32_e32 v2, v2, v10
.LBB38_335:
	global_store_byte v[6:7], v2, off
.LBB38_336:
	s_mov_b64 s[50:51], 0
.LBB38_337:
	s_mov_b64 s[2:3], 0
	s_and_b64 vcc, exec, s[50:51]
	s_cbranch_vccz .LBB38_359
; %bb.338:
	s_cmp_gt_i32 s52, 22
	s_mov_b64 s[4:5], -1
	s_cbranch_scc0 .LBB38_351
; %bb.339:
	s_cmp_lt_i32 s52, 24
	s_cbranch_scc1 .LBB38_348
; %bb.340:
	s_cmp_gt_i32 s52, 24
	s_cbranch_scc0 .LBB38_345
; %bb.341:
	s_andn2_b64 vcc, exec, s[24:25]
	v_mov_b32_e32 v2, 0x80
	s_cbranch_vccnz .LBB38_344
; %bb.342:
	s_or_b64 s[4:5], s[0:1], s[26:27]
	s_andn2_b64 vcc, exec, s[4:5]
	v_mov_b32_e32 v2, 0
	s_cbranch_vccnz .LBB38_344
; %bb.343:
	v_mov_b32_e32 v2, s59
	v_cndmask_b32_e64 v2, v12, v2, s[0:1]
	v_or_b32_e32 v2, v2, v10
.LBB38_344:
	s_mov_b64 s[4:5], 0
	global_store_byte v[6:7], v2, off
.LBB38_345:
	s_and_b64 vcc, exec, s[4:5]
	s_cbranch_vccz .LBB38_347
; %bb.346:
	s_and_b64 s[0:1], s[22:23], exec
	s_cselect_b32 s4, s58, s57
	s_and_b64 s[0:1], s[20:21], exec
	s_cselect_b32 s0, s60, s4
	v_or_b32_e32 v2, s0, v10
	global_store_byte v[6:7], v2, off
.LBB38_347:
	s_mov_b64 s[4:5], 0
.LBB38_348:
	s_andn2_b64 vcc, exec, s[4:5]
	s_cbranch_vccnz .LBB38_350
; %bb.349:
	s_and_b64 s[0:1], s[18:19], exec
	s_cselect_b32 s4, s55, s54
	s_and_b64 s[0:1], s[16:17], exec
	s_cselect_b32 s0, s56, s4
	v_or_b32_e32 v2, s0, v10
	global_store_byte v[6:7], v2, off
.LBB38_350:
	s_mov_b64 s[4:5], 0
.LBB38_351:
	s_andn2_b64 vcc, exec, s[4:5]
	s_mov_b64 s[0:1], 0
	s_cbranch_vccnz .LBB38_360
; %bb.352:
	s_cmp_gt_i32 s52, 14
	s_mov_b64 s[4:5], -1
	s_cbranch_scc0 .LBB38_356
; %bb.353:
	s_cmp_eq_u32 s52, 15
	s_mov_b64 s[48:49], -1
	s_cbranch_scc0 .LBB38_355
; %bb.354:
	global_store_short v[6:7], v11, off
	s_mov_b64 s[48:49], 0
.LBB38_355:
	s_mov_b64 s[4:5], 0
.LBB38_356:
	s_and_b64 vcc, exec, s[4:5]
	s_cbranch_vccz .LBB38_360
; %bb.357:
	s_cmp_lg_u32 s52, 11
	s_cselect_b64 s[4:5], -1, 0
	s_andn2_b64 s[16:17], s[48:49], exec
	s_and_b64 s[4:5], s[4:5], exec
	s_mov_b64 s[0:1], -1
	s_or_b64 s[48:49], s[16:17], s[4:5]
	s_branch .LBB38_360
.LBB38_358:
	s_mov_b64 s[0:1], 0
	s_mov_b64 s[2:3], -1
	s_mov_b64 s[48:49], s[44:45]
	s_branch .LBB38_360
.LBB38_359:
	s_mov_b64 s[0:1], 0
.LBB38_360:
	s_and_b64 s[52:53], s[2:3], exec
	s_and_b64 s[50:51], s[0:1], exec
	s_andn2_b64 s[0:1], s[44:45], exec
	s_and_b64 s[2:3], s[48:49], exec
	s_or_b64 s[48:49], s[0:1], s[2:3]
.LBB38_361:
	s_or_b64 exec, exec, s[46:47]
	s_andn2_b64 s[0:1], s[44:45], exec
	s_and_b64 s[2:3], s[48:49], exec
	s_and_b64 s[52:53], s[52:53], exec
	;; [unrolled: 1-line block ×3, first 2 shown]
	s_or_b64 s[44:45], s[0:1], s[2:3]
.LBB38_362:
	s_or_b64 exec, exec, s[42:43]
	s_andn2_b64 s[0:1], s[38:39], exec
	s_and_b64 s[2:3], s[44:45], exec
	s_and_b64 s[42:43], s[52:53], exec
	;; [unrolled: 1-line block ×3, first 2 shown]
	s_or_b64 s[38:39], s[0:1], s[2:3]
.LBB38_363:
	s_or_b64 exec, exec, s[40:41]
	s_andn2_b64 s[0:1], s[34:35], exec
	s_and_b64 s[2:3], s[38:39], exec
	s_and_b64 s[42:43], s[42:43], exec
	;; [unrolled: 1-line block ×3, first 2 shown]
	s_or_b64 s[34:35], s[0:1], s[2:3]
	s_or_b64 exec, exec, s[36:37]
	s_mov_b64 s[0:1], 0
	s_and_saveexec_b64 s[2:3], s[34:35]
	s_cbranch_execz .LBB38_110
.LBB38_364:
	s_mov_b64 s[0:1], exec
	s_andn2_b64 s[40:41], s[40:41], exec
	s_trap 2
	s_or_b64 exec, exec, s[2:3]
	s_and_saveexec_b64 s[2:3], s[40:41]
	s_xor_b64 s[2:3], exec, s[2:3]
	s_cbranch_execnz .LBB38_111
.LBB38_365:
	s_or_b64 exec, exec, s[2:3]
	s_and_saveexec_b64 s[2:3], s[42:43]
	s_xor_b64 s[2:3], exec, s[2:3]
	s_cbranch_execz .LBB38_403
.LBB38_366:
	s_sext_i32_i16 s16, s62
	s_cmp_lt_i32 s16, 5
	s_mov_b64 s[4:5], -1
	s_cbranch_scc1 .LBB38_387
; %bb.367:
	s_cmp_lt_i32 s16, 8
	s_cbranch_scc1 .LBB38_377
; %bb.368:
	s_cmp_lt_i32 s16, 9
	s_cbranch_scc1 .LBB38_374
; %bb.369:
	s_cmp_gt_i32 s16, 9
	s_cbranch_scc0 .LBB38_371
; %bb.370:
	v_mov_b32_e32 v2, 0
	v_mov_b32_e32 v3, v2
	s_mov_b64 s[4:5], 0
	global_store_dwordx4 v[6:7], v[0:3], off
.LBB38_371:
	s_andn2_b64 vcc, exec, s[4:5]
	s_cbranch_vccnz .LBB38_373
; %bb.372:
	v_mov_b32_e32 v5, 0
	global_store_dwordx2 v[6:7], v[4:5], off
.LBB38_373:
	s_mov_b64 s[4:5], 0
.LBB38_374:
	s_andn2_b64 vcc, exec, s[4:5]
	s_cbranch_vccnz .LBB38_376
; %bb.375:
	global_store_dword v[6:7], v8, off
.LBB38_376:
	s_mov_b64 s[4:5], 0
.LBB38_377:
	s_andn2_b64 vcc, exec, s[4:5]
	s_cbranch_vccnz .LBB38_386
; %bb.378:
	s_sext_i32_i16 s16, s62
	s_cmp_lt_i32 s16, 6
	s_mov_b64 s[4:5], -1
	s_cbranch_scc1 .LBB38_384
; %bb.379:
	s_cmp_gt_i32 s16, 6
	s_cbranch_scc0 .LBB38_381
; %bb.380:
	s_mov_b64 s[4:5], 0
	global_store_dwordx2 v[6:7], v[0:1], off
.LBB38_381:
	s_andn2_b64 vcc, exec, s[4:5]
	s_cbranch_vccnz .LBB38_383
; %bb.382:
	global_store_dword v[6:7], v4, off
.LBB38_383:
	s_mov_b64 s[4:5], 0
.LBB38_384:
	s_andn2_b64 vcc, exec, s[4:5]
	s_cbranch_vccnz .LBB38_386
; %bb.385:
	global_store_short v[6:7], v8, off
.LBB38_386:
	s_mov_b64 s[4:5], 0
.LBB38_387:
	s_andn2_b64 vcc, exec, s[4:5]
	s_cbranch_vccnz .LBB38_403
; %bb.388:
	s_sext_i32_i16 s16, s62
	s_cmp_lt_i32 s16, 2
	s_mov_b64 s[4:5], -1
	s_cbranch_scc1 .LBB38_398
; %bb.389:
	s_cmp_lt_i32 s16, 3
	s_cbranch_scc1 .LBB38_395
; %bb.390:
	s_cmp_gt_i32 s16, 3
	s_cbranch_scc0 .LBB38_392
; %bb.391:
	v_mov_b32_e32 v0, s14
	v_mov_b32_e32 v1, s15
	s_mov_b64 s[4:5], 0
	global_store_dwordx2 v[6:7], v[0:1], off
.LBB38_392:
	s_andn2_b64 vcc, exec, s[4:5]
	s_cbranch_vccnz .LBB38_394
; %bb.393:
	v_mov_b32_e32 v0, s14
	global_store_dword v[6:7], v0, off
.LBB38_394:
	s_mov_b64 s[4:5], 0
.LBB38_395:
	s_andn2_b64 vcc, exec, s[4:5]
	s_cbranch_vccnz .LBB38_397
; %bb.396:
	v_mov_b32_e32 v0, s11
	global_store_short v[6:7], v0, off
.LBB38_397:
	s_mov_b64 s[4:5], 0
.LBB38_398:
	s_andn2_b64 vcc, exec, s[4:5]
	s_cbranch_vccnz .LBB38_403
; %bb.399:
	s_sext_i32_i16 s4, s62
	s_cmp_gt_i32 s4, 0
	s_mov_b64 s[4:5], -1
	s_cbranch_scc0 .LBB38_401
; %bb.400:
	v_mov_b32_e32 v0, s11
	s_mov_b64 s[4:5], 0
	global_store_byte v[6:7], v0, off
.LBB38_401:
	s_andn2_b64 vcc, exec, s[4:5]
	s_cbranch_vccnz .LBB38_403
; %bb.402:
	v_mov_b32_e32 v0, s11
	global_store_byte v[6:7], v0, off
.LBB38_403:
	s_or_b64 exec, exec, s[2:3]
	s_and_b64 s[0:1], s[0:1], exec
                                        ; implicit-def: $vgpr15
.LBB38_404:
	s_or_saveexec_b64 s[2:3], s[12:13]
	s_mov_b64 s[12:13], 0
                                        ; implicit-def: $sgpr18
                                        ; implicit-def: $vgpr0_vgpr1
	s_xor_b64 exec, exec, s[2:3]
	s_cbranch_execz .LBB38_433
; %bb.405:
	v_mul_lo_u32 v2, s10, v15
	v_mov_b32_e32 v1, s9
	s_and_b32 s18, s33, 0xff
	s_cmp_lt_i32 s18, 11
	v_ashrrev_i32_e32 v3, 31, v2
	v_add_co_u32_e32 v0, vcc, s8, v2
	v_addc_co_u32_e32 v1, vcc, v1, v3, vcc
	s_cbranch_scc1 .LBB38_436
; %bb.406:
	s_and_b32 s16, 0xffff, s18
	s_mov_b64 s[14:15], -1
	s_cmp_gt_i32 s16, 25
	s_mov_b64 s[4:5], 0
	s_cbranch_scc0 .LBB38_446
; %bb.407:
	s_cmp_gt_i32 s16, 28
	s_cbranch_scc0 .LBB38_422
; %bb.408:
	s_cmp_gt_i32 s16, 43
	;; [unrolled: 3-line block ×3, first 2 shown]
	s_cbranch_scc0 .LBB38_412
; %bb.410:
	s_mov_b64 s[4:5], -1
	s_mov_b64 s[14:15], 0
	s_cmp_eq_u32 s16, 46
	s_cbranch_scc0 .LBB38_412
; %bb.411:
	s_sext_i32_i16 s4, s11
	v_cvt_f32_i32_e32 v3, s4
	s_mov_b64 s[4:5], 0
	s_mov_b64 s[12:13], -1
	v_bfe_u32 v4, v3, 16, 1
	v_add_u32_e32 v3, v3, v4
	v_add_u32_e32 v3, 0x7fff, v3
	v_lshrrev_b32_e32 v3, 16, v3
	global_store_dword v[0:1], v3, off
.LBB38_412:
	s_and_b64 vcc, exec, s[14:15]
	s_cbranch_vccz .LBB38_417
; %bb.413:
	s_cmp_eq_u32 s16, 44
	s_mov_b64 s[4:5], -1
	s_cbranch_scc0 .LBB38_417
; %bb.414:
	s_sext_i32_i16 s4, s11
	v_cvt_f32_i32_e32 v3, s4
	v_mov_b32_e32 v4, 0xff
	v_readfirstlane_b32 s4, v3
	s_bfe_u32 s5, s4, 0x80017
	s_cmpk_eq_i32 s5, 0xff
	s_cbranch_scc1 .LBB38_416
; %bb.415:
	s_bitcmp1_b32 s4, 22
	s_cselect_b64 s[12:13], -1, 0
	s_and_b32 s4, s4, 0x3fffff
	s_or_b32 s4, s5, s4
	s_cmp_lg_u32 s4, 0
	s_cselect_b64 s[4:5], -1, 0
	s_and_b64 s[4:5], s[12:13], s[4:5]
	v_lshrrev_b32_e32 v3, 23, v3
	v_cndmask_b32_e64 v4, 0, 1, s[4:5]
	v_add_u32_e32 v4, v3, v4
.LBB38_416:
	s_mov_b64 s[4:5], 0
	s_mov_b64 s[12:13], -1
	global_store_byte v[0:1], v4, off
.LBB38_417:
	s_mov_b64 s[14:15], 0
.LBB38_418:
	s_and_b64 vcc, exec, s[14:15]
	s_cbranch_vccz .LBB38_421
; %bb.419:
	s_cmp_eq_u32 s16, 29
	s_mov_b64 s[4:5], -1
	s_cbranch_scc0 .LBB38_421
; %bb.420:
	s_sext_i32_i16 s4, s11
	s_ashr_i32 s5, s4, 31
	v_mov_b32_e32 v3, s4
	v_mov_b32_e32 v4, s5
	global_store_dwordx2 v[0:1], v[3:4], off
	s_mov_b64 s[4:5], 0
	s_mov_b64 s[12:13], -1
.LBB38_421:
	s_mov_b64 s[14:15], 0
.LBB38_422:
	s_and_b64 vcc, exec, s[14:15]
	s_cbranch_vccz .LBB38_445
; %bb.423:
	s_cmp_lt_i32 s16, 27
	s_mov_b64 s[12:13], -1
	s_cbranch_scc1 .LBB38_429
; %bb.424:
	s_cmp_gt_i32 s16, 27
	s_cbranch_scc0 .LBB38_426
; %bb.425:
	s_sext_i32_i16 s12, s11
	v_mov_b32_e32 v3, s12
	s_mov_b64 s[12:13], 0
	global_store_dword v[0:1], v3, off
.LBB38_426:
	s_andn2_b64 vcc, exec, s[12:13]
	s_cbranch_vccnz .LBB38_428
; %bb.427:
	v_mov_b32_e32 v3, s11
	global_store_short v[0:1], v3, off
.LBB38_428:
	s_mov_b64 s[12:13], 0
.LBB38_429:
	s_andn2_b64 vcc, exec, s[12:13]
	s_cbranch_vccnz .LBB38_444
; %bb.430:
	s_sext_i32_i16 s12, s11
	v_cvt_f32_i32_e32 v3, s12
	v_mov_b32_e32 v4, 0x80
	v_readfirstlane_b32 s17, v3
	s_and_b32 s12, s17, 0x7fffffff
	s_cmp_gt_u32 s12, 0x437fffff
	s_cbranch_scc1 .LBB38_443
; %bb.431:
	s_cmp_gt_u32 s12, 0x3bffffff
	s_cbranch_scc0 .LBB38_438
; %bb.432:
	s_bfe_u32 s12, s17, 0x10014
	s_add_i32 s12, s17, s12
	s_add_i32 s12, s12, 0x487ffff
	s_lshr_b32 s19, s12, 20
	s_mov_b64 s[14:15], 0
	s_mov_b64 s[12:13], -1
	s_branch .LBB38_439
.LBB38_433:
	s_or_b64 exec, exec, s[2:3]
	s_and_saveexec_b64 s[2:3], s[0:1]
	s_cbranch_execz .LBB38_834
.LBB38_434:
	; divergent unreachable
	s_or_b64 exec, exec, s[2:3]
	s_and_saveexec_b64 s[0:1], s[6:7]
	s_xor_b64 s[0:1], exec, s[0:1]
	s_cbranch_execnz .LBB38_835
.LBB38_435:
	s_or_b64 exec, exec, s[0:1]
	s_and_saveexec_b64 s[0:1], s[12:13]
	s_cbranch_execnz .LBB38_836
	s_branch .LBB38_873
.LBB38_436:
	s_mov_b64 s[4:5], s[0:1]
	s_cbranch_execnz .LBB38_496
.LBB38_437:
	s_andn2_b64 vcc, exec, s[12:13]
	s_cbranch_vccz .LBB38_534
	s_branch .LBB38_832
.LBB38_438:
	s_mov_b64 s[14:15], -1
	s_mov_b64 s[12:13], 0
                                        ; implicit-def: $sgpr19
.LBB38_439:
	s_andn2_b64 vcc, exec, s[14:15]
	v_mov_b32_e32 v3, s19
	s_cbranch_vccnz .LBB38_441
; %bb.440:
	v_mov_b32_e32 v3, 0x46000000
	v_add_f32_e64 v3, |s17|, v3
	v_and_b32_e32 v3, 0xff, v3
	v_cmp_ne_u32_e64 s[12:13], 0, v3
.LBB38_441:
	s_andn2_b64 vcc, exec, s[12:13]
	v_mov_b32_e32 v4, 0
	s_cbranch_vccnz .LBB38_443
; %bb.442:
	s_lshr_b32 s12, s17, 24
	s_and_b32 s12, s12, 0x80
	v_or_b32_e32 v4, s12, v3
.LBB38_443:
	global_store_byte v[0:1], v4, off
.LBB38_444:
	s_mov_b64 s[12:13], -1
.LBB38_445:
	s_mov_b64 s[14:15], 0
.LBB38_446:
	s_and_b64 vcc, exec, s[14:15]
	s_cbranch_vccz .LBB38_492
; %bb.447:
	s_cmp_gt_i32 s16, 22
	s_mov_b64 s[6:7], -1
	s_cbranch_scc0 .LBB38_485
; %bb.448:
	s_cmp_lt_i32 s16, 24
	s_cbranch_scc1 .LBB38_472
; %bb.449:
	s_cmp_gt_i32 s16, 24
	s_cbranch_scc0 .LBB38_459
; %bb.450:
	s_sext_i32_i16 s6, s11
	v_cvt_f32_i32_e32 v3, s6
	v_mov_b32_e32 v4, 0x80
	v_readfirstlane_b32 s14, v3
	s_and_b32 s6, s14, 0x7fffffff
	s_cmp_gt_u32 s6, 0x477fffff
	s_cbranch_scc1 .LBB38_458
; %bb.451:
	s_cmp_gt_u32 s6, 0x37ffffff
	s_cbranch_scc0 .LBB38_453
; %bb.452:
	s_bfe_u32 s6, s14, 0x10015
	s_add_i32 s6, s14, s6
	s_add_i32 s6, s6, 0x88fffff
	s_lshr_b32 s15, s6, 21
	s_mov_b64 s[12:13], 0
	s_mov_b64 s[6:7], -1
	s_branch .LBB38_454
.LBB38_453:
	s_mov_b64 s[12:13], -1
	s_mov_b64 s[6:7], 0
                                        ; implicit-def: $sgpr15
.LBB38_454:
	s_andn2_b64 vcc, exec, s[12:13]
	v_mov_b32_e32 v3, s15
	s_cbranch_vccnz .LBB38_456
; %bb.455:
	v_mov_b32_e32 v3, 0x42800000
	v_add_f32_e64 v3, |s14|, v3
	v_and_b32_e32 v3, 0xff, v3
	v_cmp_ne_u32_e64 s[6:7], 0, v3
.LBB38_456:
	s_andn2_b64 vcc, exec, s[6:7]
	v_mov_b32_e32 v4, 0
	s_cbranch_vccnz .LBB38_458
; %bb.457:
	s_lshr_b32 s6, s14, 24
	s_and_b32 s6, s6, 0x80
	v_or_b32_e32 v4, s6, v3
.LBB38_458:
	s_mov_b64 s[6:7], 0
	global_store_byte v[0:1], v4, off
.LBB38_459:
	s_and_b64 vcc, exec, s[6:7]
	s_cbranch_vccz .LBB38_471
; %bb.460:
	s_sext_i32_i16 s6, s11
	v_cvt_f32_i32_e32 v3, s6
	v_readfirstlane_b32 s12, v3
	s_and_b32 s13, s12, 0x7fffffff
	s_cmp_lt_u32 s13, 0x43f00000
	s_cbranch_scc0 .LBB38_463
; %bb.461:
	s_cmp_gt_u32 s13, 0x3c7fffff
	s_cbranch_scc0 .LBB38_464
; %bb.462:
	s_bfe_u32 s6, s12, 0x10014
	s_add_i32 s6, s12, s6
	s_add_i32 s6, s6, 0x407ffff
	s_lshr_b32 s7, s6, 20
	s_and_b32 s6, s6, 0xff00000
	s_cmp_lg_u32 s6, 0x7f00000
	s_cselect_b32 s14, s7, 0x7e
	s_mov_b64 s[6:7], 0
	s_branch .LBB38_465
.LBB38_463:
	s_mov_b64 s[6:7], -1
                                        ; implicit-def: $vgpr4
	s_branch .LBB38_468
.LBB38_464:
	s_mov_b64 s[6:7], -1
                                        ; implicit-def: $sgpr14
.LBB38_465:
	s_andn2_b64 vcc, exec, s[6:7]
	v_mov_b32_e32 v4, s14
	s_cbranch_vccnz .LBB38_467
; %bb.466:
	s_mov_b32 s6, 0x46800000
	v_add_f32_e64 v4, |v3|, s6
.LBB38_467:
	s_mov_b64 s[6:7], 0
.LBB38_468:
	s_andn2_b64 vcc, exec, s[6:7]
	s_cbranch_vccnz .LBB38_470
; %bb.469:
	s_cmp_gt_u32 s13, 0x7f800000
	s_movk_i32 s6, 0x7f
	s_cselect_b32 s6, s6, 0x7e
	v_mov_b32_e32 v4, s6
.LBB38_470:
	s_lshr_b32 s6, s12, 24
	s_and_b32 s6, s6, 0x80
	v_or_b32_e32 v3, s6, v4
	global_store_byte v[0:1], v3, off
.LBB38_471:
	s_mov_b64 s[6:7], 0
.LBB38_472:
	s_andn2_b64 vcc, exec, s[6:7]
	s_cbranch_vccnz .LBB38_484
; %bb.473:
	s_sext_i32_i16 s6, s11
	v_cvt_f32_i32_e32 v3, s6
	v_readfirstlane_b32 s12, v3
	s_and_b32 s13, s12, 0x7fffffff
	s_cmp_lt_u32 s13, 0x47800000
	s_cbranch_scc0 .LBB38_476
; %bb.474:
	s_cmp_gt_u32 s13, 0x387fffff
	s_cbranch_scc0 .LBB38_477
; %bb.475:
	s_bfe_u32 s6, s12, 0x10015
	s_add_i32 s6, s12, s6
	s_add_i32 s6, s6, 0x80fffff
	s_lshr_b32 s14, s6, 21
	s_mov_b64 s[6:7], 0
	s_branch .LBB38_478
.LBB38_476:
	s_mov_b64 s[6:7], -1
                                        ; implicit-def: $vgpr4
	s_branch .LBB38_481
.LBB38_477:
	s_mov_b64 s[6:7], -1
                                        ; implicit-def: $sgpr14
.LBB38_478:
	s_andn2_b64 vcc, exec, s[6:7]
	v_mov_b32_e32 v4, s14
	s_cbranch_vccnz .LBB38_480
; %bb.479:
	s_mov_b32 s6, 0x43000000
	v_add_f32_e64 v4, |v3|, s6
.LBB38_480:
	s_mov_b64 s[6:7], 0
.LBB38_481:
	s_andn2_b64 vcc, exec, s[6:7]
	s_cbranch_vccnz .LBB38_483
; %bb.482:
	s_cmp_gt_u32 s13, 0x7f800000
	s_movk_i32 s6, 0x7f
	s_cselect_b32 s6, s6, 0x7c
	v_mov_b32_e32 v4, s6
.LBB38_483:
	s_lshr_b32 s6, s12, 24
	s_and_b32 s6, s6, 0x80
	v_or_b32_e32 v3, s6, v4
	global_store_byte v[0:1], v3, off
.LBB38_484:
	s_mov_b64 s[6:7], 0
	s_mov_b64 s[12:13], -1
.LBB38_485:
	s_andn2_b64 vcc, exec, s[6:7]
	s_mov_b64 s[6:7], 0
	s_cbranch_vccnz .LBB38_492
; %bb.486:
	s_cmp_gt_i32 s16, 14
	s_mov_b64 s[14:15], -1
	s_cbranch_scc0 .LBB38_490
; %bb.487:
	s_cmp_eq_u32 s16, 15
	s_mov_b64 s[4:5], -1
	s_cbranch_scc0 .LBB38_489
; %bb.488:
	s_sext_i32_i16 s4, s11
	v_cvt_f32_i32_e32 v3, s4
	s_mov_b64 s[4:5], 0
	s_mov_b64 s[12:13], -1
	v_bfe_u32 v4, v3, 16, 1
	v_add_u32_e32 v3, v3, v4
	v_add_u32_e32 v3, 0x7fff, v3
	global_store_short_d16_hi v[0:1], v3, off
.LBB38_489:
	s_mov_b64 s[14:15], 0
.LBB38_490:
	s_and_b64 vcc, exec, s[14:15]
	s_cbranch_vccz .LBB38_492
; %bb.491:
	s_cmp_lg_u32 s16, 11
	s_mov_b64 s[6:7], -1
	s_cselect_b64 s[4:5], -1, 0
.LBB38_492:
	s_and_b64 vcc, exec, s[4:5]
	s_mov_b64 s[4:5], s[0:1]
	s_cbranch_vccnz .LBB38_564
; %bb.493:
	s_andn2_b64 vcc, exec, s[6:7]
	s_cbranch_vccnz .LBB38_495
.LBB38_494:
	s_and_b32 s6, 0xffff, s11
	s_cmp_lg_u32 s6, 0
	s_cselect_b64 s[6:7], -1, 0
	v_cndmask_b32_e64 v3, 0, 1, s[6:7]
	s_mov_b64 s[12:13], -1
	global_store_byte v[0:1], v3, off
.LBB38_495:
	s_branch .LBB38_437
.LBB38_496:
	s_and_b32 s12, 0xffff, s18
	s_cmp_lt_i32 s12, 5
	s_mov_b64 s[6:7], -1
	s_cbranch_scc1 .LBB38_517
; %bb.497:
	s_cmp_lt_i32 s12, 8
	s_cbranch_scc1 .LBB38_507
; %bb.498:
	s_cmp_lt_i32 s12, 9
	s_cbranch_scc1 .LBB38_504
; %bb.499:
	s_cmp_gt_i32 s12, 9
	s_cbranch_scc0 .LBB38_501
; %bb.500:
	s_sext_i32_i16 s6, s11
	v_cvt_f64_i32_e32 v[3:4], s6
	v_mov_b32_e32 v5, 0
	v_mov_b32_e32 v6, v5
	s_mov_b64 s[6:7], 0
	global_store_dwordx4 v[0:1], v[3:6], off
.LBB38_501:
	s_andn2_b64 vcc, exec, s[6:7]
	s_cbranch_vccnz .LBB38_503
; %bb.502:
	s_sext_i32_i16 s6, s11
	v_cvt_f32_i32_e32 v3, s6
	v_mov_b32_e32 v4, 0
	global_store_dwordx2 v[0:1], v[3:4], off
.LBB38_503:
	s_mov_b64 s[6:7], 0
.LBB38_504:
	s_andn2_b64 vcc, exec, s[6:7]
	s_cbranch_vccnz .LBB38_506
; %bb.505:
	v_cvt_f16_i16_e32 v3, s11
	global_store_dword v[0:1], v3, off
.LBB38_506:
	s_mov_b64 s[6:7], 0
.LBB38_507:
	s_andn2_b64 vcc, exec, s[6:7]
	s_cbranch_vccnz .LBB38_516
; %bb.508:
	s_cmp_lt_i32 s12, 6
	s_mov_b64 s[6:7], -1
	s_cbranch_scc1 .LBB38_514
; %bb.509:
	s_cmp_gt_i32 s12, 6
	s_cbranch_scc0 .LBB38_511
; %bb.510:
	s_sext_i32_i16 s6, s11
	v_cvt_f64_i32_e32 v[3:4], s6
	s_mov_b64 s[6:7], 0
	global_store_dwordx2 v[0:1], v[3:4], off
.LBB38_511:
	s_andn2_b64 vcc, exec, s[6:7]
	s_cbranch_vccnz .LBB38_513
; %bb.512:
	s_sext_i32_i16 s6, s11
	v_cvt_f32_i32_e32 v3, s6
	global_store_dword v[0:1], v3, off
.LBB38_513:
	s_mov_b64 s[6:7], 0
.LBB38_514:
	s_andn2_b64 vcc, exec, s[6:7]
	s_cbranch_vccnz .LBB38_516
; %bb.515:
	v_cvt_f16_i16_e32 v3, s11
	global_store_short v[0:1], v3, off
.LBB38_516:
	s_mov_b64 s[6:7], 0
.LBB38_517:
	s_andn2_b64 vcc, exec, s[6:7]
	s_cbranch_vccnz .LBB38_533
; %bb.518:
	s_cmp_lt_i32 s12, 2
	s_mov_b64 s[6:7], -1
	s_cbranch_scc1 .LBB38_528
; %bb.519:
	s_cmp_lt_i32 s12, 3
	s_cbranch_scc1 .LBB38_525
; %bb.520:
	s_cmp_gt_i32 s12, 3
	s_cbranch_scc0 .LBB38_522
; %bb.521:
	s_sext_i32_i16 s6, s11
	s_ashr_i32 s7, s6, 31
	v_mov_b32_e32 v3, s6
	v_mov_b32_e32 v4, s7
	global_store_dwordx2 v[0:1], v[3:4], off
	s_mov_b64 s[6:7], 0
.LBB38_522:
	s_andn2_b64 vcc, exec, s[6:7]
	s_cbranch_vccnz .LBB38_524
; %bb.523:
	s_sext_i32_i16 s6, s11
	v_mov_b32_e32 v3, s6
	global_store_dword v[0:1], v3, off
.LBB38_524:
	s_mov_b64 s[6:7], 0
.LBB38_525:
	s_andn2_b64 vcc, exec, s[6:7]
	s_cbranch_vccnz .LBB38_527
; %bb.526:
	v_mov_b32_e32 v3, s11
	global_store_short v[0:1], v3, off
.LBB38_527:
	s_mov_b64 s[6:7], 0
.LBB38_528:
	s_andn2_b64 vcc, exec, s[6:7]
	s_cbranch_vccnz .LBB38_533
; %bb.529:
	s_cmp_gt_i32 s12, 0
	s_mov_b64 s[6:7], -1
	s_cbranch_scc0 .LBB38_531
; %bb.530:
	v_mov_b32_e32 v3, s11
	global_store_byte v[0:1], v3, off
	s_mov_b64 s[6:7], 0
.LBB38_531:
	s_andn2_b64 vcc, exec, s[6:7]
	s_cbranch_vccnz .LBB38_533
; %bb.532:
	v_mov_b32_e32 v3, s11
	global_store_byte v[0:1], v3, off
.LBB38_533:
.LBB38_534:
	s_lshl_b32 s10, s10, 7
	v_add_u32_e32 v2, s10, v2
	v_ashrrev_i32_e32 v1, 31, v2
	v_mov_b32_e32 v3, s9
	v_add_co_u32_e32 v0, vcc, s8, v2
	s_cmp_lt_i32 s18, 11
	v_addc_co_u32_e32 v1, vcc, v3, v1, vcc
	s_cbranch_scc1 .LBB38_562
; %bb.535:
	s_and_b32 s19, 0xffff, s18
	s_mov_b64 s[16:17], -1
	s_mov_b64 s[12:13], 0
	s_cmp_gt_i32 s19, 25
	s_mov_b64 s[14:15], 0
	s_mov_b64 s[6:7], 0
	s_cbranch_scc0 .LBB38_573
; %bb.536:
	s_cmp_gt_i32 s19, 28
	s_cbranch_scc0 .LBB38_551
; %bb.537:
	s_cmp_gt_i32 s19, 43
	;; [unrolled: 3-line block ×3, first 2 shown]
	s_cbranch_scc0 .LBB38_541
; %bb.539:
	s_mov_b64 s[6:7], -1
	s_mov_b64 s[16:17], 0
	s_cmp_eq_u32 s19, 46
	s_cbranch_scc0 .LBB38_541
; %bb.540:
	s_sext_i32_i16 s6, s11
	v_cvt_f32_i32_e32 v3, s6
	s_mov_b64 s[6:7], 0
	s_mov_b64 s[14:15], -1
	v_bfe_u32 v4, v3, 16, 1
	v_add_u32_e32 v3, v3, v4
	v_add_u32_e32 v3, 0x7fff, v3
	v_lshrrev_b32_e32 v3, 16, v3
	global_store_dword v[0:1], v3, off
.LBB38_541:
	s_and_b64 vcc, exec, s[16:17]
	s_cbranch_vccz .LBB38_546
; %bb.542:
	s_cmp_eq_u32 s19, 44
	s_mov_b64 s[6:7], -1
	s_cbranch_scc0 .LBB38_546
; %bb.543:
	s_sext_i32_i16 s6, s11
	v_cvt_f32_i32_e32 v3, s6
	v_mov_b32_e32 v4, 0xff
	v_readfirstlane_b32 s6, v3
	s_bfe_u32 s7, s6, 0x80017
	s_cmpk_eq_i32 s7, 0xff
	s_cbranch_scc1 .LBB38_545
; %bb.544:
	s_bitcmp1_b32 s6, 22
	s_cselect_b64 s[14:15], -1, 0
	s_and_b32 s6, s6, 0x3fffff
	s_or_b32 s6, s7, s6
	s_cmp_lg_u32 s6, 0
	s_cselect_b64 s[6:7], -1, 0
	s_and_b64 s[6:7], s[14:15], s[6:7]
	v_lshrrev_b32_e32 v3, 23, v3
	v_cndmask_b32_e64 v4, 0, 1, s[6:7]
	v_add_u32_e32 v4, v3, v4
.LBB38_545:
	s_mov_b64 s[6:7], 0
	s_mov_b64 s[14:15], -1
	global_store_byte v[0:1], v4, off
.LBB38_546:
	s_mov_b64 s[16:17], 0
.LBB38_547:
	s_and_b64 vcc, exec, s[16:17]
	s_cbranch_vccz .LBB38_550
; %bb.548:
	s_cmp_eq_u32 s19, 29
	s_mov_b64 s[6:7], -1
	s_cbranch_scc0 .LBB38_550
; %bb.549:
	s_sext_i32_i16 s6, s11
	s_ashr_i32 s7, s6, 31
	v_mov_b32_e32 v3, s6
	v_mov_b32_e32 v4, s7
	global_store_dwordx2 v[0:1], v[3:4], off
	s_mov_b64 s[6:7], 0
	s_mov_b64 s[14:15], -1
.LBB38_550:
	s_mov_b64 s[16:17], 0
.LBB38_551:
	s_and_b64 vcc, exec, s[16:17]
	s_cbranch_vccz .LBB38_572
; %bb.552:
	s_cmp_lt_i32 s19, 27
	s_mov_b64 s[14:15], -1
	s_cbranch_scc1 .LBB38_558
; %bb.553:
	s_cmp_gt_i32 s19, 27
	s_cbranch_scc0 .LBB38_555
; %bb.554:
	s_sext_i32_i16 s14, s11
	v_mov_b32_e32 v3, s14
	s_mov_b64 s[14:15], 0
	global_store_dword v[0:1], v3, off
.LBB38_555:
	s_andn2_b64 vcc, exec, s[14:15]
	s_cbranch_vccnz .LBB38_557
; %bb.556:
	v_mov_b32_e32 v3, s11
	global_store_short v[0:1], v3, off
.LBB38_557:
	s_mov_b64 s[14:15], 0
.LBB38_558:
	s_andn2_b64 vcc, exec, s[14:15]
	s_cbranch_vccnz .LBB38_571
; %bb.559:
	s_sext_i32_i16 s14, s11
	v_cvt_f32_i32_e32 v3, s14
	v_mov_b32_e32 v4, 0x80
	v_readfirstlane_b32 s20, v3
	s_and_b32 s14, s20, 0x7fffffff
	s_cmp_gt_u32 s14, 0x437fffff
	s_cbranch_scc1 .LBB38_570
; %bb.560:
	s_cmp_gt_u32 s14, 0x3bffffff
	s_cbranch_scc0 .LBB38_565
; %bb.561:
	s_bfe_u32 s14, s20, 0x10014
	s_add_i32 s14, s20, s14
	s_add_i32 s14, s14, 0x487ffff
	s_lshr_b32 s21, s14, 20
	s_mov_b64 s[16:17], 0
	s_mov_b64 s[14:15], -1
	s_branch .LBB38_566
.LBB38_562:
	s_mov_b64 s[14:15], 0
	s_cbranch_execnz .LBB38_623
.LBB38_563:
	s_andn2_b64 vcc, exec, s[14:15]
	s_cbranch_vccz .LBB38_661
	s_branch .LBB38_832
.LBB38_564:
	s_or_b64 s[4:5], s[0:1], exec
	s_trap 2
	s_cbranch_execz .LBB38_494
	s_branch .LBB38_495
.LBB38_565:
	s_mov_b64 s[16:17], -1
	s_mov_b64 s[14:15], 0
                                        ; implicit-def: $sgpr21
.LBB38_566:
	s_andn2_b64 vcc, exec, s[16:17]
	v_mov_b32_e32 v3, s21
	s_cbranch_vccnz .LBB38_568
; %bb.567:
	v_mov_b32_e32 v3, 0x46000000
	v_add_f32_e64 v3, |s20|, v3
	v_and_b32_e32 v3, 0xff, v3
	v_cmp_ne_u32_e64 s[14:15], 0, v3
.LBB38_568:
	s_andn2_b64 vcc, exec, s[14:15]
	v_mov_b32_e32 v4, 0
	s_cbranch_vccnz .LBB38_570
; %bb.569:
	s_lshr_b32 s14, s20, 24
	s_and_b32 s14, s14, 0x80
	v_or_b32_e32 v4, s14, v3
.LBB38_570:
	global_store_byte v[0:1], v4, off
.LBB38_571:
	s_mov_b64 s[14:15], -1
.LBB38_572:
	s_mov_b64 s[16:17], 0
.LBB38_573:
	s_and_b64 vcc, exec, s[16:17]
	s_cbranch_vccz .LBB38_619
; %bb.574:
	s_cmp_gt_i32 s19, 22
	s_mov_b64 s[12:13], -1
	s_cbranch_scc0 .LBB38_612
; %bb.575:
	s_cmp_lt_i32 s19, 24
	s_cbranch_scc1 .LBB38_599
; %bb.576:
	s_cmp_gt_i32 s19, 24
	s_cbranch_scc0 .LBB38_586
; %bb.577:
	s_sext_i32_i16 s12, s11
	v_cvt_f32_i32_e32 v3, s12
	v_mov_b32_e32 v4, 0x80
	v_readfirstlane_b32 s16, v3
	s_and_b32 s12, s16, 0x7fffffff
	s_cmp_gt_u32 s12, 0x477fffff
	s_cbranch_scc1 .LBB38_585
; %bb.578:
	s_cmp_gt_u32 s12, 0x37ffffff
	s_cbranch_scc0 .LBB38_580
; %bb.579:
	s_bfe_u32 s12, s16, 0x10015
	s_add_i32 s12, s16, s12
	s_add_i32 s12, s12, 0x88fffff
	s_lshr_b32 s17, s12, 21
	s_mov_b64 s[14:15], 0
	s_mov_b64 s[12:13], -1
	s_branch .LBB38_581
.LBB38_580:
	s_mov_b64 s[14:15], -1
	s_mov_b64 s[12:13], 0
                                        ; implicit-def: $sgpr17
.LBB38_581:
	s_andn2_b64 vcc, exec, s[14:15]
	v_mov_b32_e32 v3, s17
	s_cbranch_vccnz .LBB38_583
; %bb.582:
	v_mov_b32_e32 v3, 0x42800000
	v_add_f32_e64 v3, |s16|, v3
	v_and_b32_e32 v3, 0xff, v3
	v_cmp_ne_u32_e64 s[12:13], 0, v3
.LBB38_583:
	s_andn2_b64 vcc, exec, s[12:13]
	v_mov_b32_e32 v4, 0
	s_cbranch_vccnz .LBB38_585
; %bb.584:
	s_lshr_b32 s12, s16, 24
	s_and_b32 s12, s12, 0x80
	v_or_b32_e32 v4, s12, v3
.LBB38_585:
	s_mov_b64 s[12:13], 0
	global_store_byte v[0:1], v4, off
.LBB38_586:
	s_and_b64 vcc, exec, s[12:13]
	s_cbranch_vccz .LBB38_598
; %bb.587:
	s_sext_i32_i16 s12, s11
	v_cvt_f32_i32_e32 v3, s12
	v_readfirstlane_b32 s14, v3
	s_and_b32 s15, s14, 0x7fffffff
	s_cmp_lt_u32 s15, 0x43f00000
	s_cbranch_scc0 .LBB38_590
; %bb.588:
	s_cmp_gt_u32 s15, 0x3c7fffff
	s_cbranch_scc0 .LBB38_591
; %bb.589:
	s_bfe_u32 s12, s14, 0x10014
	s_add_i32 s12, s14, s12
	s_add_i32 s12, s12, 0x407ffff
	s_lshr_b32 s13, s12, 20
	s_and_b32 s12, s12, 0xff00000
	s_cmp_lg_u32 s12, 0x7f00000
	s_cselect_b32 s16, s13, 0x7e
	s_mov_b64 s[12:13], 0
	s_branch .LBB38_592
.LBB38_590:
	s_mov_b64 s[12:13], -1
                                        ; implicit-def: $vgpr4
	s_branch .LBB38_595
.LBB38_591:
	s_mov_b64 s[12:13], -1
                                        ; implicit-def: $sgpr16
.LBB38_592:
	s_andn2_b64 vcc, exec, s[12:13]
	v_mov_b32_e32 v4, s16
	s_cbranch_vccnz .LBB38_594
; %bb.593:
	s_mov_b32 s12, 0x46800000
	v_add_f32_e64 v4, |v3|, s12
.LBB38_594:
	s_mov_b64 s[12:13], 0
.LBB38_595:
	s_andn2_b64 vcc, exec, s[12:13]
	s_cbranch_vccnz .LBB38_597
; %bb.596:
	s_cmp_gt_u32 s15, 0x7f800000
	s_movk_i32 s12, 0x7f
	s_cselect_b32 s12, s12, 0x7e
	v_mov_b32_e32 v4, s12
.LBB38_597:
	s_lshr_b32 s12, s14, 24
	s_and_b32 s12, s12, 0x80
	v_or_b32_e32 v3, s12, v4
	global_store_byte v[0:1], v3, off
.LBB38_598:
	s_mov_b64 s[12:13], 0
.LBB38_599:
	s_andn2_b64 vcc, exec, s[12:13]
	s_cbranch_vccnz .LBB38_611
; %bb.600:
	s_sext_i32_i16 s12, s11
	v_cvt_f32_i32_e32 v3, s12
	v_readfirstlane_b32 s14, v3
	s_and_b32 s15, s14, 0x7fffffff
	s_cmp_lt_u32 s15, 0x47800000
	s_cbranch_scc0 .LBB38_603
; %bb.601:
	s_cmp_gt_u32 s15, 0x387fffff
	s_cbranch_scc0 .LBB38_604
; %bb.602:
	s_bfe_u32 s12, s14, 0x10015
	s_add_i32 s12, s14, s12
	s_add_i32 s12, s12, 0x80fffff
	s_lshr_b32 s16, s12, 21
	s_mov_b64 s[12:13], 0
	s_branch .LBB38_605
.LBB38_603:
	s_mov_b64 s[12:13], -1
                                        ; implicit-def: $vgpr4
	s_branch .LBB38_608
.LBB38_604:
	s_mov_b64 s[12:13], -1
                                        ; implicit-def: $sgpr16
.LBB38_605:
	s_andn2_b64 vcc, exec, s[12:13]
	v_mov_b32_e32 v4, s16
	s_cbranch_vccnz .LBB38_607
; %bb.606:
	s_mov_b32 s12, 0x43000000
	v_add_f32_e64 v4, |v3|, s12
.LBB38_607:
	s_mov_b64 s[12:13], 0
.LBB38_608:
	s_andn2_b64 vcc, exec, s[12:13]
	s_cbranch_vccnz .LBB38_610
; %bb.609:
	s_cmp_gt_u32 s15, 0x7f800000
	s_movk_i32 s12, 0x7f
	s_cselect_b32 s12, s12, 0x7c
	v_mov_b32_e32 v4, s12
.LBB38_610:
	s_lshr_b32 s12, s14, 24
	s_and_b32 s12, s12, 0x80
	v_or_b32_e32 v3, s12, v4
	global_store_byte v[0:1], v3, off
.LBB38_611:
	s_mov_b64 s[12:13], 0
	s_mov_b64 s[14:15], -1
.LBB38_612:
	s_andn2_b64 vcc, exec, s[12:13]
	s_mov_b64 s[12:13], 0
	s_cbranch_vccnz .LBB38_619
; %bb.613:
	s_cmp_gt_i32 s19, 14
	s_mov_b64 s[16:17], -1
	s_cbranch_scc0 .LBB38_617
; %bb.614:
	s_cmp_eq_u32 s19, 15
	s_mov_b64 s[6:7], -1
	s_cbranch_scc0 .LBB38_616
; %bb.615:
	s_sext_i32_i16 s6, s11
	v_cvt_f32_i32_e32 v3, s6
	s_mov_b64 s[6:7], 0
	s_mov_b64 s[14:15], -1
	v_bfe_u32 v4, v3, 16, 1
	v_add_u32_e32 v3, v3, v4
	v_add_u32_e32 v3, 0x7fff, v3
	global_store_short_d16_hi v[0:1], v3, off
.LBB38_616:
	s_mov_b64 s[16:17], 0
.LBB38_617:
	s_and_b64 vcc, exec, s[16:17]
	s_cbranch_vccz .LBB38_619
; %bb.618:
	s_cmp_lg_u32 s19, 11
	s_mov_b64 s[12:13], -1
	s_cselect_b64 s[6:7], -1, 0
.LBB38_619:
	s_and_b64 vcc, exec, s[6:7]
	s_cbranch_vccnz .LBB38_721
; %bb.620:
	s_andn2_b64 vcc, exec, s[12:13]
	s_cbranch_vccnz .LBB38_622
.LBB38_621:
	s_and_b32 s6, 0xffff, s11
	s_cmp_lg_u32 s6, 0
	s_cselect_b64 s[6:7], -1, 0
	v_cndmask_b32_e64 v3, 0, 1, s[6:7]
	s_mov_b64 s[14:15], -1
	global_store_byte v[0:1], v3, off
.LBB38_622:
	s_branch .LBB38_563
.LBB38_623:
	s_and_b32 s12, 0xffff, s18
	s_cmp_lt_i32 s12, 5
	s_mov_b64 s[6:7], -1
	s_cbranch_scc1 .LBB38_644
; %bb.624:
	s_cmp_lt_i32 s12, 8
	s_cbranch_scc1 .LBB38_634
; %bb.625:
	s_cmp_lt_i32 s12, 9
	s_cbranch_scc1 .LBB38_631
; %bb.626:
	s_cmp_gt_i32 s12, 9
	s_cbranch_scc0 .LBB38_628
; %bb.627:
	s_sext_i32_i16 s6, s11
	v_cvt_f64_i32_e32 v[3:4], s6
	v_mov_b32_e32 v5, 0
	v_mov_b32_e32 v6, v5
	s_mov_b64 s[6:7], 0
	global_store_dwordx4 v[0:1], v[3:6], off
.LBB38_628:
	s_andn2_b64 vcc, exec, s[6:7]
	s_cbranch_vccnz .LBB38_630
; %bb.629:
	s_sext_i32_i16 s6, s11
	v_cvt_f32_i32_e32 v3, s6
	v_mov_b32_e32 v4, 0
	global_store_dwordx2 v[0:1], v[3:4], off
.LBB38_630:
	s_mov_b64 s[6:7], 0
.LBB38_631:
	s_andn2_b64 vcc, exec, s[6:7]
	s_cbranch_vccnz .LBB38_633
; %bb.632:
	v_cvt_f16_i16_e32 v3, s11
	global_store_dword v[0:1], v3, off
.LBB38_633:
	s_mov_b64 s[6:7], 0
.LBB38_634:
	s_andn2_b64 vcc, exec, s[6:7]
	s_cbranch_vccnz .LBB38_643
; %bb.635:
	s_cmp_lt_i32 s12, 6
	s_mov_b64 s[6:7], -1
	s_cbranch_scc1 .LBB38_641
; %bb.636:
	s_cmp_gt_i32 s12, 6
	s_cbranch_scc0 .LBB38_638
; %bb.637:
	s_sext_i32_i16 s6, s11
	v_cvt_f64_i32_e32 v[3:4], s6
	s_mov_b64 s[6:7], 0
	global_store_dwordx2 v[0:1], v[3:4], off
.LBB38_638:
	s_andn2_b64 vcc, exec, s[6:7]
	s_cbranch_vccnz .LBB38_640
; %bb.639:
	s_sext_i32_i16 s6, s11
	v_cvt_f32_i32_e32 v3, s6
	global_store_dword v[0:1], v3, off
.LBB38_640:
	s_mov_b64 s[6:7], 0
.LBB38_641:
	s_andn2_b64 vcc, exec, s[6:7]
	s_cbranch_vccnz .LBB38_643
; %bb.642:
	v_cvt_f16_i16_e32 v3, s11
	global_store_short v[0:1], v3, off
.LBB38_643:
	s_mov_b64 s[6:7], 0
.LBB38_644:
	s_andn2_b64 vcc, exec, s[6:7]
	s_cbranch_vccnz .LBB38_660
; %bb.645:
	s_cmp_lt_i32 s12, 2
	s_mov_b64 s[6:7], -1
	s_cbranch_scc1 .LBB38_655
; %bb.646:
	s_cmp_lt_i32 s12, 3
	s_cbranch_scc1 .LBB38_652
; %bb.647:
	s_cmp_gt_i32 s12, 3
	s_cbranch_scc0 .LBB38_649
; %bb.648:
	s_sext_i32_i16 s6, s11
	s_ashr_i32 s7, s6, 31
	v_mov_b32_e32 v3, s6
	v_mov_b32_e32 v4, s7
	global_store_dwordx2 v[0:1], v[3:4], off
	s_mov_b64 s[6:7], 0
.LBB38_649:
	s_andn2_b64 vcc, exec, s[6:7]
	s_cbranch_vccnz .LBB38_651
; %bb.650:
	s_sext_i32_i16 s6, s11
	v_mov_b32_e32 v3, s6
	global_store_dword v[0:1], v3, off
.LBB38_651:
	s_mov_b64 s[6:7], 0
.LBB38_652:
	s_andn2_b64 vcc, exec, s[6:7]
	s_cbranch_vccnz .LBB38_654
; %bb.653:
	v_mov_b32_e32 v3, s11
	global_store_short v[0:1], v3, off
.LBB38_654:
	s_mov_b64 s[6:7], 0
.LBB38_655:
	s_andn2_b64 vcc, exec, s[6:7]
	s_cbranch_vccnz .LBB38_660
; %bb.656:
	s_cmp_gt_i32 s12, 0
	s_mov_b64 s[6:7], -1
	s_cbranch_scc0 .LBB38_658
; %bb.657:
	v_mov_b32_e32 v3, s11
	global_store_byte v[0:1], v3, off
	s_mov_b64 s[6:7], 0
.LBB38_658:
	s_andn2_b64 vcc, exec, s[6:7]
	s_cbranch_vccnz .LBB38_660
; %bb.659:
	v_mov_b32_e32 v3, s11
	global_store_byte v[0:1], v3, off
.LBB38_660:
.LBB38_661:
	v_add_u32_e32 v2, s10, v2
	v_ashrrev_i32_e32 v1, 31, v2
	v_mov_b32_e32 v3, s9
	v_add_co_u32_e32 v0, vcc, s8, v2
	s_cmp_lt_i32 s18, 11
	v_addc_co_u32_e32 v1, vcc, v3, v1, vcc
	s_cbranch_scc1 .LBB38_689
; %bb.662:
	s_and_b32 s19, 0xffff, s18
	s_mov_b64 s[16:17], -1
	s_mov_b64 s[12:13], 0
	s_cmp_gt_i32 s19, 25
	s_mov_b64 s[14:15], 0
	s_mov_b64 s[6:7], 0
	s_cbranch_scc0 .LBB38_730
; %bb.663:
	s_cmp_gt_i32 s19, 28
	s_cbranch_scc0 .LBB38_678
; %bb.664:
	s_cmp_gt_i32 s19, 43
	;; [unrolled: 3-line block ×3, first 2 shown]
	s_cbranch_scc0 .LBB38_668
; %bb.666:
	s_mov_b64 s[6:7], -1
	s_mov_b64 s[16:17], 0
	s_cmp_eq_u32 s19, 46
	s_cbranch_scc0 .LBB38_668
; %bb.667:
	s_sext_i32_i16 s6, s11
	v_cvt_f32_i32_e32 v3, s6
	s_mov_b64 s[6:7], 0
	s_mov_b64 s[14:15], -1
	v_bfe_u32 v4, v3, 16, 1
	v_add_u32_e32 v3, v3, v4
	v_add_u32_e32 v3, 0x7fff, v3
	v_lshrrev_b32_e32 v3, 16, v3
	global_store_dword v[0:1], v3, off
.LBB38_668:
	s_and_b64 vcc, exec, s[16:17]
	s_cbranch_vccz .LBB38_673
; %bb.669:
	s_cmp_eq_u32 s19, 44
	s_mov_b64 s[6:7], -1
	s_cbranch_scc0 .LBB38_673
; %bb.670:
	s_sext_i32_i16 s6, s11
	v_cvt_f32_i32_e32 v3, s6
	v_mov_b32_e32 v4, 0xff
	v_readfirstlane_b32 s6, v3
	s_bfe_u32 s7, s6, 0x80017
	s_cmpk_eq_i32 s7, 0xff
	s_cbranch_scc1 .LBB38_672
; %bb.671:
	s_bitcmp1_b32 s6, 22
	s_cselect_b64 s[14:15], -1, 0
	s_and_b32 s6, s6, 0x3fffff
	s_or_b32 s6, s7, s6
	s_cmp_lg_u32 s6, 0
	s_cselect_b64 s[6:7], -1, 0
	s_and_b64 s[6:7], s[14:15], s[6:7]
	v_lshrrev_b32_e32 v3, 23, v3
	v_cndmask_b32_e64 v4, 0, 1, s[6:7]
	v_add_u32_e32 v4, v3, v4
.LBB38_672:
	s_mov_b64 s[6:7], 0
	s_mov_b64 s[14:15], -1
	global_store_byte v[0:1], v4, off
.LBB38_673:
	s_mov_b64 s[16:17], 0
.LBB38_674:
	s_and_b64 vcc, exec, s[16:17]
	s_cbranch_vccz .LBB38_677
; %bb.675:
	s_cmp_eq_u32 s19, 29
	s_mov_b64 s[6:7], -1
	s_cbranch_scc0 .LBB38_677
; %bb.676:
	s_sext_i32_i16 s6, s11
	s_ashr_i32 s7, s6, 31
	v_mov_b32_e32 v3, s6
	v_mov_b32_e32 v4, s7
	global_store_dwordx2 v[0:1], v[3:4], off
	s_mov_b64 s[6:7], 0
	s_mov_b64 s[14:15], -1
.LBB38_677:
	s_mov_b64 s[16:17], 0
.LBB38_678:
	s_and_b64 vcc, exec, s[16:17]
	s_cbranch_vccz .LBB38_729
; %bb.679:
	s_cmp_lt_i32 s19, 27
	s_mov_b64 s[14:15], -1
	s_cbranch_scc1 .LBB38_685
; %bb.680:
	s_cmp_gt_i32 s19, 27
	s_cbranch_scc0 .LBB38_682
; %bb.681:
	s_sext_i32_i16 s14, s11
	v_mov_b32_e32 v3, s14
	s_mov_b64 s[14:15], 0
	global_store_dword v[0:1], v3, off
.LBB38_682:
	s_andn2_b64 vcc, exec, s[14:15]
	s_cbranch_vccnz .LBB38_684
; %bb.683:
	v_mov_b32_e32 v3, s11
	global_store_short v[0:1], v3, off
.LBB38_684:
	s_mov_b64 s[14:15], 0
.LBB38_685:
	s_andn2_b64 vcc, exec, s[14:15]
	s_cbranch_vccnz .LBB38_728
; %bb.686:
	s_sext_i32_i16 s14, s11
	v_cvt_f32_i32_e32 v3, s14
	v_mov_b32_e32 v4, 0x80
	v_readfirstlane_b32 s20, v3
	s_and_b32 s14, s20, 0x7fffffff
	s_cmp_gt_u32 s14, 0x437fffff
	s_cbranch_scc1 .LBB38_727
; %bb.687:
	s_cmp_gt_u32 s14, 0x3bffffff
	s_cbranch_scc0 .LBB38_722
; %bb.688:
	s_bfe_u32 s14, s20, 0x10014
	s_add_i32 s14, s20, s14
	s_add_i32 s14, s14, 0x487ffff
	s_lshr_b32 s21, s14, 20
	s_mov_b64 s[16:17], 0
	s_mov_b64 s[14:15], -1
	s_branch .LBB38_723
.LBB38_689:
	s_mov_b64 s[14:15], 0
	s_cbranch_execnz .LBB38_794
.LBB38_690:
	s_andn2_b64 vcc, exec, s[14:15]
	s_cbranch_vccnz .LBB38_832
.LBB38_691:
	v_add_u32_e32 v0, s10, v2
	v_ashrrev_i32_e32 v1, 31, v0
	v_mov_b32_e32 v2, s9
	v_add_co_u32_e32 v0, vcc, s8, v0
	s_cmp_lt_i32 s18, 11
	v_addc_co_u32_e32 v1, vcc, v2, v1, vcc
	s_cbranch_scc1 .LBB38_720
; %bb.692:
	s_and_b32 s10, 0xffff, s18
	s_mov_b64 s[12:13], -1
	s_mov_b64 s[8:9], 0
	s_cmp_gt_i32 s10, 25
	s_mov_b64 s[6:7], 0
	s_cbranch_scc0 .LBB38_744
; %bb.693:
	s_cmp_gt_i32 s10, 28
	s_cbranch_scc0 .LBB38_709
; %bb.694:
	s_cmp_gt_i32 s10, 43
	;; [unrolled: 3-line block ×3, first 2 shown]
	s_cbranch_scc0 .LBB38_699
; %bb.696:
	s_cmp_eq_u32 s10, 46
	s_mov_b64 s[6:7], -1
	s_cbranch_scc0 .LBB38_698
; %bb.697:
	s_sext_i32_i16 s6, s11
	v_cvt_f32_i32_e32 v2, s6
	s_mov_b64 s[6:7], 0
	v_bfe_u32 v3, v2, 16, 1
	v_add_u32_e32 v2, v2, v3
	v_add_u32_e32 v2, 0x7fff, v2
	v_lshrrev_b32_e32 v2, 16, v2
	global_store_dword v[0:1], v2, off
.LBB38_698:
	s_mov_b64 s[12:13], 0
.LBB38_699:
	s_and_b64 vcc, exec, s[12:13]
	s_cbranch_vccz .LBB38_704
; %bb.700:
	s_cmp_eq_u32 s10, 44
	s_mov_b64 s[6:7], -1
	s_cbranch_scc0 .LBB38_704
; %bb.701:
	s_sext_i32_i16 s6, s11
	v_cvt_f32_i32_e32 v2, s6
	v_mov_b32_e32 v3, 0xff
	v_readfirstlane_b32 s6, v2
	s_bfe_u32 s7, s6, 0x80017
	s_cmpk_eq_i32 s7, 0xff
	s_cbranch_scc1 .LBB38_703
; %bb.702:
	s_bitcmp1_b32 s6, 22
	s_cselect_b64 s[12:13], -1, 0
	s_and_b32 s6, s6, 0x3fffff
	s_or_b32 s6, s7, s6
	s_cmp_lg_u32 s6, 0
	s_cselect_b64 s[6:7], -1, 0
	s_and_b64 s[6:7], s[12:13], s[6:7]
	v_lshrrev_b32_e32 v2, 23, v2
	v_cndmask_b32_e64 v3, 0, 1, s[6:7]
	v_add_u32_e32 v3, v2, v3
.LBB38_703:
	s_mov_b64 s[6:7], 0
	global_store_byte v[0:1], v3, off
.LBB38_704:
	s_mov_b64 s[12:13], 0
.LBB38_705:
	s_and_b64 vcc, exec, s[12:13]
	s_cbranch_vccz .LBB38_708
; %bb.706:
	s_cmp_eq_u32 s10, 29
	s_mov_b64 s[6:7], -1
	s_cbranch_scc0 .LBB38_708
; %bb.707:
	s_sext_i32_i16 s6, s11
	s_ashr_i32 s7, s6, 31
	v_mov_b32_e32 v2, s6
	v_mov_b32_e32 v3, s7
	global_store_dwordx2 v[0:1], v[2:3], off
	s_mov_b64 s[6:7], 0
.LBB38_708:
	s_mov_b64 s[12:13], 0
.LBB38_709:
	s_and_b64 vcc, exec, s[12:13]
	s_cbranch_vccz .LBB38_743
; %bb.710:
	s_cmp_lt_i32 s10, 27
	s_mov_b64 s[12:13], -1
	s_cbranch_scc1 .LBB38_716
; %bb.711:
	s_cmp_gt_i32 s10, 27
	s_cbranch_scc0 .LBB38_713
; %bb.712:
	s_sext_i32_i16 s12, s11
	v_mov_b32_e32 v2, s12
	global_store_dword v[0:1], v2, off
	s_mov_b64 s[12:13], 0
.LBB38_713:
	s_andn2_b64 vcc, exec, s[12:13]
	s_cbranch_vccnz .LBB38_715
; %bb.714:
	v_mov_b32_e32 v2, s11
	global_store_short v[0:1], v2, off
.LBB38_715:
	s_mov_b64 s[12:13], 0
.LBB38_716:
	s_andn2_b64 vcc, exec, s[12:13]
	s_cbranch_vccnz .LBB38_743
; %bb.717:
	s_sext_i32_i16 s12, s11
	v_cvt_f32_i32_e32 v2, s12
	v_mov_b32_e32 v3, 0x80
	v_readfirstlane_b32 s16, v2
	s_and_b32 s12, s16, 0x7fffffff
	s_cmp_gt_u32 s12, 0x437fffff
	s_cbranch_scc1 .LBB38_742
; %bb.718:
	s_cmp_gt_u32 s12, 0x3bffffff
	s_cbranch_scc0 .LBB38_737
; %bb.719:
	s_bfe_u32 s12, s16, 0x10014
	s_add_i32 s12, s16, s12
	s_add_i32 s12, s12, 0x487ffff
	s_lshr_b32 s17, s12, 20
	s_mov_b64 s[14:15], 0
	s_mov_b64 s[12:13], -1
	s_branch .LBB38_738
.LBB38_720:
	s_mov_b64 s[8:9], 0
	s_mov_b64 s[6:7], -1
	s_branch .LBB38_833
.LBB38_721:
	s_trap 2
	s_or_b64 s[4:5], s[4:5], exec
	s_cbranch_execz .LBB38_621
	s_branch .LBB38_622
.LBB38_722:
	s_mov_b64 s[16:17], -1
	s_mov_b64 s[14:15], 0
                                        ; implicit-def: $sgpr21
.LBB38_723:
	s_andn2_b64 vcc, exec, s[16:17]
	v_mov_b32_e32 v3, s21
	s_cbranch_vccnz .LBB38_725
; %bb.724:
	v_mov_b32_e32 v3, 0x46000000
	v_add_f32_e64 v3, |s20|, v3
	v_and_b32_e32 v3, 0xff, v3
	v_cmp_ne_u32_e64 s[14:15], 0, v3
.LBB38_725:
	s_andn2_b64 vcc, exec, s[14:15]
	v_mov_b32_e32 v4, 0
	s_cbranch_vccnz .LBB38_727
; %bb.726:
	s_lshr_b32 s14, s20, 24
	s_and_b32 s14, s14, 0x80
	v_or_b32_e32 v4, s14, v3
.LBB38_727:
	global_store_byte v[0:1], v4, off
.LBB38_728:
	s_mov_b64 s[14:15], -1
.LBB38_729:
	s_mov_b64 s[16:17], 0
.LBB38_730:
	s_and_b64 vcc, exec, s[16:17]
	s_cbranch_vccz .LBB38_790
; %bb.731:
	s_cmp_gt_i32 s19, 22
	s_mov_b64 s[12:13], -1
	s_cbranch_scc0 .LBB38_783
; %bb.732:
	s_cmp_lt_i32 s19, 24
	s_cbranch_scc1 .LBB38_770
; %bb.733:
	s_cmp_gt_i32 s19, 24
	s_cbranch_scc0 .LBB38_757
; %bb.734:
	s_sext_i32_i16 s12, s11
	v_cvt_f32_i32_e32 v3, s12
	v_mov_b32_e32 v4, 0x80
	v_readfirstlane_b32 s16, v3
	s_and_b32 s12, s16, 0x7fffffff
	s_cmp_gt_u32 s12, 0x477fffff
	s_cbranch_scc1 .LBB38_756
; %bb.735:
	s_cmp_gt_u32 s12, 0x37ffffff
	s_cbranch_scc0 .LBB38_751
; %bb.736:
	s_bfe_u32 s12, s16, 0x10015
	s_add_i32 s12, s16, s12
	s_add_i32 s12, s12, 0x88fffff
	s_lshr_b32 s17, s12, 21
	s_mov_b64 s[14:15], 0
	s_mov_b64 s[12:13], -1
	s_branch .LBB38_752
.LBB38_737:
	s_mov_b64 s[14:15], -1
	s_mov_b64 s[12:13], 0
                                        ; implicit-def: $sgpr17
.LBB38_738:
	s_andn2_b64 vcc, exec, s[14:15]
	v_mov_b32_e32 v2, s17
	s_cbranch_vccnz .LBB38_740
; %bb.739:
	v_mov_b32_e32 v2, 0x46000000
	v_add_f32_e64 v2, |s16|, v2
	v_and_b32_e32 v2, 0xff, v2
	v_cmp_ne_u32_e64 s[12:13], 0, v2
.LBB38_740:
	s_andn2_b64 vcc, exec, s[12:13]
	v_mov_b32_e32 v3, 0
	s_cbranch_vccnz .LBB38_742
; %bb.741:
	s_lshr_b32 s12, s16, 24
	s_and_b32 s12, s12, 0x80
	v_or_b32_e32 v3, s12, v2
.LBB38_742:
	global_store_byte v[0:1], v3, off
.LBB38_743:
	s_mov_b64 s[12:13], 0
.LBB38_744:
	s_and_b64 vcc, exec, s[12:13]
	s_cbranch_vccz .LBB38_914
; %bb.745:
	s_cmp_gt_i32 s10, 22
	s_mov_b64 s[8:9], -1
	s_cbranch_scc0 .LBB38_907
; %bb.746:
	s_cmp_lt_i32 s10, 24
	s_cbranch_scc1 .LBB38_894
; %bb.747:
	s_cmp_gt_i32 s10, 24
	s_cbranch_scc0 .LBB38_881
; %bb.748:
	s_sext_i32_i16 s8, s11
	v_cvt_f32_i32_e32 v2, s8
	v_mov_b32_e32 v3, 0x80
	v_readfirstlane_b32 s14, v2
	s_and_b32 s8, s14, 0x7fffffff
	s_cmp_gt_u32 s8, 0x477fffff
	s_cbranch_scc1 .LBB38_880
; %bb.749:
	s_cmp_gt_u32 s8, 0x37ffffff
	s_cbranch_scc0 .LBB38_875
; %bb.750:
	s_bfe_u32 s8, s14, 0x10015
	s_add_i32 s8, s14, s8
	s_add_i32 s8, s8, 0x88fffff
	s_lshr_b32 s15, s8, 21
	s_mov_b64 s[12:13], 0
	s_mov_b64 s[8:9], -1
	s_branch .LBB38_876
.LBB38_751:
	s_mov_b64 s[14:15], -1
	s_mov_b64 s[12:13], 0
                                        ; implicit-def: $sgpr17
.LBB38_752:
	s_andn2_b64 vcc, exec, s[14:15]
	v_mov_b32_e32 v3, s17
	s_cbranch_vccnz .LBB38_754
; %bb.753:
	v_mov_b32_e32 v3, 0x42800000
	v_add_f32_e64 v3, |s16|, v3
	v_and_b32_e32 v3, 0xff, v3
	v_cmp_ne_u32_e64 s[12:13], 0, v3
.LBB38_754:
	s_andn2_b64 vcc, exec, s[12:13]
	v_mov_b32_e32 v4, 0
	s_cbranch_vccnz .LBB38_756
; %bb.755:
	s_lshr_b32 s12, s16, 24
	s_and_b32 s12, s12, 0x80
	v_or_b32_e32 v4, s12, v3
.LBB38_756:
	s_mov_b64 s[12:13], 0
	global_store_byte v[0:1], v4, off
.LBB38_757:
	s_and_b64 vcc, exec, s[12:13]
	s_cbranch_vccz .LBB38_769
; %bb.758:
	s_sext_i32_i16 s12, s11
	v_cvt_f32_i32_e32 v3, s12
	v_readfirstlane_b32 s14, v3
	s_and_b32 s15, s14, 0x7fffffff
	s_cmp_lt_u32 s15, 0x43f00000
	s_cbranch_scc0 .LBB38_761
; %bb.759:
	s_cmp_gt_u32 s15, 0x3c7fffff
	s_cbranch_scc0 .LBB38_762
; %bb.760:
	s_bfe_u32 s12, s14, 0x10014
	s_add_i32 s12, s14, s12
	s_add_i32 s12, s12, 0x407ffff
	s_lshr_b32 s13, s12, 20
	s_and_b32 s12, s12, 0xff00000
	s_cmp_lg_u32 s12, 0x7f00000
	s_cselect_b32 s16, s13, 0x7e
	s_mov_b64 s[12:13], 0
	s_branch .LBB38_763
.LBB38_761:
	s_mov_b64 s[12:13], -1
                                        ; implicit-def: $vgpr4
	s_branch .LBB38_766
.LBB38_762:
	s_mov_b64 s[12:13], -1
                                        ; implicit-def: $sgpr16
.LBB38_763:
	s_andn2_b64 vcc, exec, s[12:13]
	v_mov_b32_e32 v4, s16
	s_cbranch_vccnz .LBB38_765
; %bb.764:
	s_mov_b32 s12, 0x46800000
	v_add_f32_e64 v4, |v3|, s12
.LBB38_765:
	s_mov_b64 s[12:13], 0
.LBB38_766:
	s_andn2_b64 vcc, exec, s[12:13]
	s_cbranch_vccnz .LBB38_768
; %bb.767:
	s_cmp_gt_u32 s15, 0x7f800000
	s_movk_i32 s12, 0x7f
	s_cselect_b32 s12, s12, 0x7e
	v_mov_b32_e32 v4, s12
.LBB38_768:
	s_lshr_b32 s12, s14, 24
	s_and_b32 s12, s12, 0x80
	v_or_b32_e32 v3, s12, v4
	global_store_byte v[0:1], v3, off
.LBB38_769:
	s_mov_b64 s[12:13], 0
.LBB38_770:
	s_andn2_b64 vcc, exec, s[12:13]
	s_cbranch_vccnz .LBB38_782
; %bb.771:
	s_sext_i32_i16 s12, s11
	v_cvt_f32_i32_e32 v3, s12
	v_readfirstlane_b32 s14, v3
	s_and_b32 s15, s14, 0x7fffffff
	s_cmp_lt_u32 s15, 0x47800000
	s_cbranch_scc0 .LBB38_774
; %bb.772:
	s_cmp_gt_u32 s15, 0x387fffff
	s_cbranch_scc0 .LBB38_775
; %bb.773:
	s_bfe_u32 s12, s14, 0x10015
	s_add_i32 s12, s14, s12
	s_add_i32 s12, s12, 0x80fffff
	s_lshr_b32 s16, s12, 21
	s_mov_b64 s[12:13], 0
	s_branch .LBB38_776
.LBB38_774:
	s_mov_b64 s[12:13], -1
                                        ; implicit-def: $vgpr4
	s_branch .LBB38_779
.LBB38_775:
	s_mov_b64 s[12:13], -1
                                        ; implicit-def: $sgpr16
.LBB38_776:
	s_andn2_b64 vcc, exec, s[12:13]
	v_mov_b32_e32 v4, s16
	s_cbranch_vccnz .LBB38_778
; %bb.777:
	s_mov_b32 s12, 0x43000000
	v_add_f32_e64 v4, |v3|, s12
.LBB38_778:
	s_mov_b64 s[12:13], 0
.LBB38_779:
	s_andn2_b64 vcc, exec, s[12:13]
	s_cbranch_vccnz .LBB38_781
; %bb.780:
	s_cmp_gt_u32 s15, 0x7f800000
	s_movk_i32 s12, 0x7f
	s_cselect_b32 s12, s12, 0x7c
	v_mov_b32_e32 v4, s12
.LBB38_781:
	s_lshr_b32 s12, s14, 24
	s_and_b32 s12, s12, 0x80
	v_or_b32_e32 v3, s12, v4
	global_store_byte v[0:1], v3, off
.LBB38_782:
	s_mov_b64 s[12:13], 0
	s_mov_b64 s[14:15], -1
.LBB38_783:
	s_andn2_b64 vcc, exec, s[12:13]
	s_mov_b64 s[12:13], 0
	s_cbranch_vccnz .LBB38_790
; %bb.784:
	s_cmp_gt_i32 s19, 14
	s_mov_b64 s[16:17], -1
	s_cbranch_scc0 .LBB38_788
; %bb.785:
	s_cmp_eq_u32 s19, 15
	s_mov_b64 s[6:7], -1
	s_cbranch_scc0 .LBB38_787
; %bb.786:
	s_sext_i32_i16 s6, s11
	v_cvt_f32_i32_e32 v3, s6
	s_mov_b64 s[6:7], 0
	s_mov_b64 s[14:15], -1
	v_bfe_u32 v4, v3, 16, 1
	v_add_u32_e32 v3, v3, v4
	v_add_u32_e32 v3, 0x7fff, v3
	global_store_short_d16_hi v[0:1], v3, off
.LBB38_787:
	s_mov_b64 s[16:17], 0
.LBB38_788:
	s_and_b64 vcc, exec, s[16:17]
	s_cbranch_vccz .LBB38_790
; %bb.789:
	s_cmp_lg_u32 s19, 11
	s_mov_b64 s[12:13], -1
	s_cselect_b64 s[6:7], -1, 0
.LBB38_790:
	s_and_b64 vcc, exec, s[6:7]
	s_cbranch_vccnz .LBB38_874
; %bb.791:
	s_andn2_b64 vcc, exec, s[12:13]
	s_cbranch_vccnz .LBB38_793
.LBB38_792:
	s_and_b32 s6, 0xffff, s11
	s_cmp_lg_u32 s6, 0
	s_cselect_b64 s[6:7], -1, 0
	v_cndmask_b32_e64 v3, 0, 1, s[6:7]
	s_mov_b64 s[14:15], -1
	global_store_byte v[0:1], v3, off
.LBB38_793:
	s_branch .LBB38_690
.LBB38_794:
	s_and_b32 s12, 0xffff, s18
	s_cmp_lt_i32 s12, 5
	s_mov_b64 s[6:7], -1
	s_cbranch_scc1 .LBB38_815
; %bb.795:
	s_cmp_lt_i32 s12, 8
	s_cbranch_scc1 .LBB38_805
; %bb.796:
	s_cmp_lt_i32 s12, 9
	s_cbranch_scc1 .LBB38_802
; %bb.797:
	s_cmp_gt_i32 s12, 9
	s_cbranch_scc0 .LBB38_799
; %bb.798:
	s_sext_i32_i16 s6, s11
	v_cvt_f64_i32_e32 v[3:4], s6
	v_mov_b32_e32 v5, 0
	v_mov_b32_e32 v6, v5
	s_mov_b64 s[6:7], 0
	global_store_dwordx4 v[0:1], v[3:6], off
.LBB38_799:
	s_andn2_b64 vcc, exec, s[6:7]
	s_cbranch_vccnz .LBB38_801
; %bb.800:
	s_sext_i32_i16 s6, s11
	v_cvt_f32_i32_e32 v3, s6
	v_mov_b32_e32 v4, 0
	global_store_dwordx2 v[0:1], v[3:4], off
.LBB38_801:
	s_mov_b64 s[6:7], 0
.LBB38_802:
	s_andn2_b64 vcc, exec, s[6:7]
	s_cbranch_vccnz .LBB38_804
; %bb.803:
	v_cvt_f16_i16_e32 v3, s11
	global_store_dword v[0:1], v3, off
.LBB38_804:
	s_mov_b64 s[6:7], 0
.LBB38_805:
	s_andn2_b64 vcc, exec, s[6:7]
	s_cbranch_vccnz .LBB38_814
; %bb.806:
	s_cmp_lt_i32 s12, 6
	s_mov_b64 s[6:7], -1
	s_cbranch_scc1 .LBB38_812
; %bb.807:
	s_cmp_gt_i32 s12, 6
	s_cbranch_scc0 .LBB38_809
; %bb.808:
	s_sext_i32_i16 s6, s11
	v_cvt_f64_i32_e32 v[3:4], s6
	s_mov_b64 s[6:7], 0
	global_store_dwordx2 v[0:1], v[3:4], off
.LBB38_809:
	s_andn2_b64 vcc, exec, s[6:7]
	s_cbranch_vccnz .LBB38_811
; %bb.810:
	s_sext_i32_i16 s6, s11
	v_cvt_f32_i32_e32 v3, s6
	global_store_dword v[0:1], v3, off
.LBB38_811:
	s_mov_b64 s[6:7], 0
.LBB38_812:
	s_andn2_b64 vcc, exec, s[6:7]
	s_cbranch_vccnz .LBB38_814
; %bb.813:
	v_cvt_f16_i16_e32 v3, s11
	global_store_short v[0:1], v3, off
.LBB38_814:
	s_mov_b64 s[6:7], 0
.LBB38_815:
	s_andn2_b64 vcc, exec, s[6:7]
	s_cbranch_vccnz .LBB38_831
; %bb.816:
	s_cmp_lt_i32 s12, 2
	s_mov_b64 s[6:7], -1
	s_cbranch_scc1 .LBB38_826
; %bb.817:
	s_cmp_lt_i32 s12, 3
	s_cbranch_scc1 .LBB38_823
; %bb.818:
	s_cmp_gt_i32 s12, 3
	s_cbranch_scc0 .LBB38_820
; %bb.819:
	s_sext_i32_i16 s6, s11
	s_ashr_i32 s7, s6, 31
	v_mov_b32_e32 v3, s6
	v_mov_b32_e32 v4, s7
	global_store_dwordx2 v[0:1], v[3:4], off
	s_mov_b64 s[6:7], 0
.LBB38_820:
	s_andn2_b64 vcc, exec, s[6:7]
	s_cbranch_vccnz .LBB38_822
; %bb.821:
	s_sext_i32_i16 s6, s11
	v_mov_b32_e32 v3, s6
	global_store_dword v[0:1], v3, off
.LBB38_822:
	s_mov_b64 s[6:7], 0
.LBB38_823:
	s_andn2_b64 vcc, exec, s[6:7]
	s_cbranch_vccnz .LBB38_825
; %bb.824:
	v_mov_b32_e32 v3, s11
	global_store_short v[0:1], v3, off
.LBB38_825:
	s_mov_b64 s[6:7], 0
.LBB38_826:
	s_andn2_b64 vcc, exec, s[6:7]
	s_cbranch_vccnz .LBB38_831
; %bb.827:
	s_cmp_gt_i32 s12, 0
	s_mov_b64 s[6:7], -1
	s_cbranch_scc0 .LBB38_829
; %bb.828:
	v_mov_b32_e32 v3, s11
	global_store_byte v[0:1], v3, off
	s_mov_b64 s[6:7], 0
.LBB38_829:
	s_andn2_b64 vcc, exec, s[6:7]
	s_cbranch_vccnz .LBB38_831
; %bb.830:
	v_mov_b32_e32 v3, s11
	global_store_byte v[0:1], v3, off
.LBB38_831:
	s_branch .LBB38_691
.LBB38_832:
	s_mov_b64 s[6:7], 0
	s_mov_b64 s[8:9], 0
                                        ; implicit-def: $sgpr18
                                        ; implicit-def: $vgpr0_vgpr1
.LBB38_833:
	s_andn2_b64 s[0:1], s[0:1], exec
	s_and_b64 s[4:5], s[4:5], exec
	s_and_b64 s[12:13], s[6:7], exec
	;; [unrolled: 1-line block ×3, first 2 shown]
	s_or_b64 s[0:1], s[0:1], s[4:5]
	s_or_b64 exec, exec, s[2:3]
	s_and_saveexec_b64 s[2:3], s[0:1]
	s_cbranch_execnz .LBB38_434
.LBB38_834:
	s_or_b64 exec, exec, s[2:3]
	s_and_saveexec_b64 s[0:1], s[6:7]
	s_xor_b64 s[0:1], exec, s[0:1]
	s_cbranch_execz .LBB38_435
.LBB38_835:
	s_and_b32 s2, 0xffff, s11
	s_cmp_lg_u32 s2, 0
	s_cselect_b64 s[2:3], -1, 0
	v_cndmask_b32_e64 v2, 0, 1, s[2:3]
	global_store_byte v[0:1], v2, off
	s_or_b64 exec, exec, s[0:1]
	s_and_saveexec_b64 s[0:1], s[12:13]
	s_cbranch_execz .LBB38_873
.LBB38_836:
	s_sext_i32_i16 s2, s18
	s_cmp_lt_i32 s2, 5
	s_mov_b64 s[0:1], -1
	s_cbranch_scc1 .LBB38_857
; %bb.837:
	s_cmp_lt_i32 s2, 8
	s_cbranch_scc1 .LBB38_847
; %bb.838:
	s_cmp_lt_i32 s2, 9
	s_cbranch_scc1 .LBB38_844
; %bb.839:
	s_cmp_gt_i32 s2, 9
	s_cbranch_scc0 .LBB38_841
; %bb.840:
	s_sext_i32_i16 s0, s11
	v_cvt_f64_i32_e32 v[2:3], s0
	v_mov_b32_e32 v4, 0
	v_mov_b32_e32 v5, v4
	s_mov_b64 s[0:1], 0
	global_store_dwordx4 v[0:1], v[2:5], off
.LBB38_841:
	s_andn2_b64 vcc, exec, s[0:1]
	s_cbranch_vccnz .LBB38_843
; %bb.842:
	s_sext_i32_i16 s0, s11
	v_cvt_f32_i32_e32 v2, s0
	v_mov_b32_e32 v3, 0
	global_store_dwordx2 v[0:1], v[2:3], off
.LBB38_843:
	s_mov_b64 s[0:1], 0
.LBB38_844:
	s_andn2_b64 vcc, exec, s[0:1]
	s_cbranch_vccnz .LBB38_846
; %bb.845:
	v_cvt_f16_i16_e32 v2, s11
	global_store_dword v[0:1], v2, off
.LBB38_846:
	s_mov_b64 s[0:1], 0
.LBB38_847:
	s_andn2_b64 vcc, exec, s[0:1]
	s_cbranch_vccnz .LBB38_856
; %bb.848:
	s_sext_i32_i16 s2, s18
	s_cmp_lt_i32 s2, 6
	s_mov_b64 s[0:1], -1
	s_cbranch_scc1 .LBB38_854
; %bb.849:
	s_cmp_gt_i32 s2, 6
	s_cbranch_scc0 .LBB38_851
; %bb.850:
	s_sext_i32_i16 s0, s11
	v_cvt_f64_i32_e32 v[2:3], s0
	s_mov_b64 s[0:1], 0
	global_store_dwordx2 v[0:1], v[2:3], off
.LBB38_851:
	s_andn2_b64 vcc, exec, s[0:1]
	s_cbranch_vccnz .LBB38_853
; %bb.852:
	s_sext_i32_i16 s0, s11
	v_cvt_f32_i32_e32 v2, s0
	global_store_dword v[0:1], v2, off
.LBB38_853:
	s_mov_b64 s[0:1], 0
.LBB38_854:
	s_andn2_b64 vcc, exec, s[0:1]
	s_cbranch_vccnz .LBB38_856
; %bb.855:
	v_cvt_f16_i16_e32 v2, s11
	global_store_short v[0:1], v2, off
.LBB38_856:
	s_mov_b64 s[0:1], 0
.LBB38_857:
	s_andn2_b64 vcc, exec, s[0:1]
	s_cbranch_vccnz .LBB38_873
; %bb.858:
	s_sext_i32_i16 s2, s18
	s_cmp_lt_i32 s2, 2
	s_mov_b64 s[0:1], -1
	s_cbranch_scc1 .LBB38_868
; %bb.859:
	s_cmp_lt_i32 s2, 3
	s_cbranch_scc1 .LBB38_865
; %bb.860:
	s_cmp_gt_i32 s2, 3
	s_sext_i32_i16 s2, s11
	s_cbranch_scc0 .LBB38_862
; %bb.861:
	s_ashr_i32 s0, s2, 31
	v_mov_b32_e32 v2, s2
	v_mov_b32_e32 v3, s0
	global_store_dwordx2 v[0:1], v[2:3], off
	s_mov_b64 s[0:1], 0
.LBB38_862:
	s_andn2_b64 vcc, exec, s[0:1]
	s_cbranch_vccnz .LBB38_864
; %bb.863:
	v_mov_b32_e32 v2, s2
	global_store_dword v[0:1], v2, off
.LBB38_864:
	s_mov_b64 s[0:1], 0
.LBB38_865:
	s_andn2_b64 vcc, exec, s[0:1]
	s_cbranch_vccnz .LBB38_867
; %bb.866:
	v_mov_b32_e32 v2, s11
	global_store_short v[0:1], v2, off
.LBB38_867:
	s_mov_b64 s[0:1], 0
.LBB38_868:
	s_andn2_b64 vcc, exec, s[0:1]
	s_cbranch_vccnz .LBB38_873
; %bb.869:
	s_sext_i32_i16 s0, s18
	s_cmp_gt_i32 s0, 0
	s_mov_b64 s[0:1], -1
	s_cbranch_scc0 .LBB38_871
; %bb.870:
	v_mov_b32_e32 v2, s11
	global_store_byte v[0:1], v2, off
	s_mov_b64 s[0:1], 0
.LBB38_871:
	s_andn2_b64 vcc, exec, s[0:1]
	s_cbranch_vccnz .LBB38_873
; %bb.872:
	v_mov_b32_e32 v2, s11
	global_store_byte v[0:1], v2, off
	s_endpgm
.LBB38_873:
	s_endpgm
.LBB38_874:
	s_trap 2
	s_or_b64 s[4:5], s[4:5], exec
	s_cbranch_execz .LBB38_792
	s_branch .LBB38_793
.LBB38_875:
	s_mov_b64 s[12:13], -1
	s_mov_b64 s[8:9], 0
                                        ; implicit-def: $sgpr15
.LBB38_876:
	s_andn2_b64 vcc, exec, s[12:13]
	v_mov_b32_e32 v2, s15
	s_cbranch_vccnz .LBB38_878
; %bb.877:
	v_mov_b32_e32 v2, 0x42800000
	v_add_f32_e64 v2, |s14|, v2
	v_and_b32_e32 v2, 0xff, v2
	v_cmp_ne_u32_e64 s[8:9], 0, v2
.LBB38_878:
	s_andn2_b64 vcc, exec, s[8:9]
	v_mov_b32_e32 v3, 0
	s_cbranch_vccnz .LBB38_880
; %bb.879:
	s_lshr_b32 s8, s14, 24
	s_and_b32 s8, s8, 0x80
	v_or_b32_e32 v3, s8, v2
.LBB38_880:
	s_mov_b64 s[8:9], 0
	global_store_byte v[0:1], v3, off
.LBB38_881:
	s_and_b64 vcc, exec, s[8:9]
	s_cbranch_vccz .LBB38_893
; %bb.882:
	s_sext_i32_i16 s8, s11
	v_cvt_f32_i32_e32 v2, s8
	v_readfirstlane_b32 s12, v2
	s_and_b32 s13, s12, 0x7fffffff
	s_cmp_lt_u32 s13, 0x43f00000
	s_cbranch_scc0 .LBB38_885
; %bb.883:
	s_cmp_gt_u32 s13, 0x3c7fffff
	s_cbranch_scc0 .LBB38_886
; %bb.884:
	s_bfe_u32 s8, s12, 0x10014
	s_add_i32 s8, s12, s8
	s_add_i32 s8, s8, 0x407ffff
	s_lshr_b32 s9, s8, 20
	s_and_b32 s8, s8, 0xff00000
	s_cmp_lg_u32 s8, 0x7f00000
	s_cselect_b32 s14, s9, 0x7e
	s_mov_b64 s[8:9], 0
	s_branch .LBB38_887
.LBB38_885:
	s_mov_b64 s[8:9], -1
                                        ; implicit-def: $vgpr3
	s_branch .LBB38_890
.LBB38_886:
	s_mov_b64 s[8:9], -1
                                        ; implicit-def: $sgpr14
.LBB38_887:
	s_andn2_b64 vcc, exec, s[8:9]
	v_mov_b32_e32 v3, s14
	s_cbranch_vccnz .LBB38_889
; %bb.888:
	s_mov_b32 s8, 0x46800000
	v_add_f32_e64 v3, |v2|, s8
.LBB38_889:
	s_mov_b64 s[8:9], 0
.LBB38_890:
	s_andn2_b64 vcc, exec, s[8:9]
	s_cbranch_vccnz .LBB38_892
; %bb.891:
	s_cmp_gt_u32 s13, 0x7f800000
	s_movk_i32 s8, 0x7f
	s_cselect_b32 s8, s8, 0x7e
	v_mov_b32_e32 v3, s8
.LBB38_892:
	s_lshr_b32 s8, s12, 24
	s_and_b32 s8, s8, 0x80
	v_or_b32_e32 v2, s8, v3
	global_store_byte v[0:1], v2, off
.LBB38_893:
	s_mov_b64 s[8:9], 0
.LBB38_894:
	s_andn2_b64 vcc, exec, s[8:9]
	s_cbranch_vccnz .LBB38_906
; %bb.895:
	s_sext_i32_i16 s8, s11
	v_cvt_f32_i32_e32 v2, s8
	v_readfirstlane_b32 s12, v2
	s_and_b32 s13, s12, 0x7fffffff
	s_cmp_lt_u32 s13, 0x47800000
	s_cbranch_scc0 .LBB38_898
; %bb.896:
	s_cmp_gt_u32 s13, 0x387fffff
	s_cbranch_scc0 .LBB38_899
; %bb.897:
	s_bfe_u32 s8, s12, 0x10015
	s_add_i32 s8, s12, s8
	s_add_i32 s8, s8, 0x80fffff
	s_lshr_b32 s14, s8, 21
	s_mov_b64 s[8:9], 0
	s_branch .LBB38_900
.LBB38_898:
	s_mov_b64 s[8:9], -1
                                        ; implicit-def: $vgpr3
	s_branch .LBB38_903
.LBB38_899:
	s_mov_b64 s[8:9], -1
                                        ; implicit-def: $sgpr14
.LBB38_900:
	s_andn2_b64 vcc, exec, s[8:9]
	v_mov_b32_e32 v3, s14
	s_cbranch_vccnz .LBB38_902
; %bb.901:
	s_mov_b32 s8, 0x43000000
	v_add_f32_e64 v3, |v2|, s8
.LBB38_902:
	s_mov_b64 s[8:9], 0
.LBB38_903:
	s_andn2_b64 vcc, exec, s[8:9]
	s_cbranch_vccnz .LBB38_905
; %bb.904:
	s_cmp_gt_u32 s13, 0x7f800000
	s_movk_i32 s8, 0x7f
	s_cselect_b32 s8, s8, 0x7c
	v_mov_b32_e32 v3, s8
.LBB38_905:
	s_lshr_b32 s8, s12, 24
	s_and_b32 s8, s8, 0x80
	v_or_b32_e32 v2, s8, v3
	global_store_byte v[0:1], v2, off
.LBB38_906:
	s_mov_b64 s[8:9], 0
.LBB38_907:
	s_andn2_b64 vcc, exec, s[8:9]
	s_mov_b64 s[8:9], 0
	s_cbranch_vccnz .LBB38_914
; %bb.908:
	s_cmp_gt_i32 s10, 14
	s_mov_b64 s[12:13], -1
	s_cbranch_scc0 .LBB38_912
; %bb.909:
	s_cmp_eq_u32 s10, 15
	s_mov_b64 s[6:7], -1
	s_cbranch_scc0 .LBB38_911
; %bb.910:
	s_sext_i32_i16 s6, s11
	v_cvt_f32_i32_e32 v2, s6
	s_mov_b64 s[6:7], 0
	v_bfe_u32 v3, v2, 16, 1
	v_add_u32_e32 v2, v2, v3
	v_add_u32_e32 v2, 0x7fff, v2
	global_store_short_d16_hi v[0:1], v2, off
.LBB38_911:
	s_mov_b64 s[12:13], 0
.LBB38_912:
	s_and_b64 vcc, exec, s[12:13]
	s_cbranch_vccz .LBB38_914
; %bb.913:
	s_cmp_lg_u32 s10, 11
	s_mov_b64 s[8:9], -1
	s_cselect_b64 s[6:7], -1, 0
.LBB38_914:
	s_and_b64 vcc, exec, s[6:7]
	s_cbranch_vccnz .LBB38_916
.LBB38_915:
	s_mov_b64 s[6:7], 0
	s_branch .LBB38_833
.LBB38_916:
	s_mov_b64 s[8:9], 0
	s_or_b64 s[4:5], s[4:5], exec
	s_trap 2
	s_branch .LBB38_915
	.section	.rodata,"a",@progbits
	.p2align	6, 0x0
	.amdhsa_kernel _ZN2at6native32elementwise_kernel_manual_unrollILi128ELi4EZNS0_15gpu_kernel_implINS0_11FillFunctorIsEEEEvRNS_18TensorIteratorBaseERKT_EUlibE_EEviT1_
		.amdhsa_group_segment_fixed_size 0
		.amdhsa_private_segment_fixed_size 0
		.amdhsa_kernarg_size 24
		.amdhsa_user_sgpr_count 6
		.amdhsa_user_sgpr_private_segment_buffer 1
		.amdhsa_user_sgpr_dispatch_ptr 0
		.amdhsa_user_sgpr_queue_ptr 0
		.amdhsa_user_sgpr_kernarg_segment_ptr 1
		.amdhsa_user_sgpr_dispatch_id 0
		.amdhsa_user_sgpr_flat_scratch_init 0
		.amdhsa_user_sgpr_private_segment_size 0
		.amdhsa_uses_dynamic_stack 0
		.amdhsa_system_sgpr_private_segment_wavefront_offset 0
		.amdhsa_system_sgpr_workgroup_id_x 1
		.amdhsa_system_sgpr_workgroup_id_y 0
		.amdhsa_system_sgpr_workgroup_id_z 0
		.amdhsa_system_sgpr_workgroup_info 0
		.amdhsa_system_vgpr_workitem_id 0
		.amdhsa_next_free_vgpr 16
		.amdhsa_next_free_sgpr 63
		.amdhsa_reserve_vcc 1
		.amdhsa_reserve_flat_scratch 0
		.amdhsa_float_round_mode_32 0
		.amdhsa_float_round_mode_16_64 0
		.amdhsa_float_denorm_mode_32 3
		.amdhsa_float_denorm_mode_16_64 3
		.amdhsa_dx10_clamp 1
		.amdhsa_ieee_mode 1
		.amdhsa_fp16_overflow 0
		.amdhsa_exception_fp_ieee_invalid_op 0
		.amdhsa_exception_fp_denorm_src 0
		.amdhsa_exception_fp_ieee_div_zero 0
		.amdhsa_exception_fp_ieee_overflow 0
		.amdhsa_exception_fp_ieee_underflow 0
		.amdhsa_exception_fp_ieee_inexact 0
		.amdhsa_exception_int_div_zero 0
	.end_amdhsa_kernel
	.section	.text._ZN2at6native32elementwise_kernel_manual_unrollILi128ELi4EZNS0_15gpu_kernel_implINS0_11FillFunctorIsEEEEvRNS_18TensorIteratorBaseERKT_EUlibE_EEviT1_,"axG",@progbits,_ZN2at6native32elementwise_kernel_manual_unrollILi128ELi4EZNS0_15gpu_kernel_implINS0_11FillFunctorIsEEEEvRNS_18TensorIteratorBaseERKT_EUlibE_EEviT1_,comdat
.Lfunc_end38:
	.size	_ZN2at6native32elementwise_kernel_manual_unrollILi128ELi4EZNS0_15gpu_kernel_implINS0_11FillFunctorIsEEEEvRNS_18TensorIteratorBaseERKT_EUlibE_EEviT1_, .Lfunc_end38-_ZN2at6native32elementwise_kernel_manual_unrollILi128ELi4EZNS0_15gpu_kernel_implINS0_11FillFunctorIsEEEEvRNS_18TensorIteratorBaseERKT_EUlibE_EEviT1_
                                        ; -- End function
	.set _ZN2at6native32elementwise_kernel_manual_unrollILi128ELi4EZNS0_15gpu_kernel_implINS0_11FillFunctorIsEEEEvRNS_18TensorIteratorBaseERKT_EUlibE_EEviT1_.num_vgpr, 16
	.set _ZN2at6native32elementwise_kernel_manual_unrollILi128ELi4EZNS0_15gpu_kernel_implINS0_11FillFunctorIsEEEEvRNS_18TensorIteratorBaseERKT_EUlibE_EEviT1_.num_agpr, 0
	.set _ZN2at6native32elementwise_kernel_manual_unrollILi128ELi4EZNS0_15gpu_kernel_implINS0_11FillFunctorIsEEEEvRNS_18TensorIteratorBaseERKT_EUlibE_EEviT1_.numbered_sgpr, 63
	.set _ZN2at6native32elementwise_kernel_manual_unrollILi128ELi4EZNS0_15gpu_kernel_implINS0_11FillFunctorIsEEEEvRNS_18TensorIteratorBaseERKT_EUlibE_EEviT1_.num_named_barrier, 0
	.set _ZN2at6native32elementwise_kernel_manual_unrollILi128ELi4EZNS0_15gpu_kernel_implINS0_11FillFunctorIsEEEEvRNS_18TensorIteratorBaseERKT_EUlibE_EEviT1_.private_seg_size, 0
	.set _ZN2at6native32elementwise_kernel_manual_unrollILi128ELi4EZNS0_15gpu_kernel_implINS0_11FillFunctorIsEEEEvRNS_18TensorIteratorBaseERKT_EUlibE_EEviT1_.uses_vcc, 1
	.set _ZN2at6native32elementwise_kernel_manual_unrollILi128ELi4EZNS0_15gpu_kernel_implINS0_11FillFunctorIsEEEEvRNS_18TensorIteratorBaseERKT_EUlibE_EEviT1_.uses_flat_scratch, 0
	.set _ZN2at6native32elementwise_kernel_manual_unrollILi128ELi4EZNS0_15gpu_kernel_implINS0_11FillFunctorIsEEEEvRNS_18TensorIteratorBaseERKT_EUlibE_EEviT1_.has_dyn_sized_stack, 0
	.set _ZN2at6native32elementwise_kernel_manual_unrollILi128ELi4EZNS0_15gpu_kernel_implINS0_11FillFunctorIsEEEEvRNS_18TensorIteratorBaseERKT_EUlibE_EEviT1_.has_recursion, 0
	.set _ZN2at6native32elementwise_kernel_manual_unrollILi128ELi4EZNS0_15gpu_kernel_implINS0_11FillFunctorIsEEEEvRNS_18TensorIteratorBaseERKT_EUlibE_EEviT1_.has_indirect_call, 0
	.section	.AMDGPU.csdata,"",@progbits
; Kernel info:
; codeLenInByte = 12488
; TotalNumSgprs: 67
; NumVgprs: 16
; ScratchSize: 0
; MemoryBound: 0
; FloatMode: 240
; IeeeMode: 1
; LDSByteSize: 0 bytes/workgroup (compile time only)
; SGPRBlocks: 8
; VGPRBlocks: 3
; NumSGPRsForWavesPerEU: 67
; NumVGPRsForWavesPerEU: 16
; Occupancy: 10
; WaveLimiterHint : 0
; COMPUTE_PGM_RSRC2:SCRATCH_EN: 0
; COMPUTE_PGM_RSRC2:USER_SGPR: 6
; COMPUTE_PGM_RSRC2:TRAP_HANDLER: 0
; COMPUTE_PGM_RSRC2:TGID_X_EN: 1
; COMPUTE_PGM_RSRC2:TGID_Y_EN: 0
; COMPUTE_PGM_RSRC2:TGID_Z_EN: 0
; COMPUTE_PGM_RSRC2:TIDIG_COMP_CNT: 0
	.section	.text._ZN2at6native32elementwise_kernel_manual_unrollILi128ELi4EZNS0_15gpu_kernel_implINS0_11FillFunctorIsEEEEvRNS_18TensorIteratorBaseERKT_EUlibE0_EEviT1_,"axG",@progbits,_ZN2at6native32elementwise_kernel_manual_unrollILi128ELi4EZNS0_15gpu_kernel_implINS0_11FillFunctorIsEEEEvRNS_18TensorIteratorBaseERKT_EUlibE0_EEviT1_,comdat
	.protected	_ZN2at6native32elementwise_kernel_manual_unrollILi128ELi4EZNS0_15gpu_kernel_implINS0_11FillFunctorIsEEEEvRNS_18TensorIteratorBaseERKT_EUlibE0_EEviT1_ ; -- Begin function _ZN2at6native32elementwise_kernel_manual_unrollILi128ELi4EZNS0_15gpu_kernel_implINS0_11FillFunctorIsEEEEvRNS_18TensorIteratorBaseERKT_EUlibE0_EEviT1_
	.globl	_ZN2at6native32elementwise_kernel_manual_unrollILi128ELi4EZNS0_15gpu_kernel_implINS0_11FillFunctorIsEEEEvRNS_18TensorIteratorBaseERKT_EUlibE0_EEviT1_
	.p2align	8
	.type	_ZN2at6native32elementwise_kernel_manual_unrollILi128ELi4EZNS0_15gpu_kernel_implINS0_11FillFunctorIsEEEEvRNS_18TensorIteratorBaseERKT_EUlibE0_EEviT1_,@function
_ZN2at6native32elementwise_kernel_manual_unrollILi128ELi4EZNS0_15gpu_kernel_implINS0_11FillFunctorIsEEEEvRNS_18TensorIteratorBaseERKT_EUlibE0_EEviT1_: ; @_ZN2at6native32elementwise_kernel_manual_unrollILi128ELi4EZNS0_15gpu_kernel_implINS0_11FillFunctorIsEEEEvRNS_18TensorIteratorBaseERKT_EUlibE0_EEviT1_
; %bb.0:
	s_load_dword s94, s[4:5], 0x0
	s_load_dword s33, s[4:5], 0x8
	s_add_u32 s28, s4, 8
	s_addc_u32 s29, s5, 0
	v_lshl_or_b32 v8, s6, 9, v0
	v_or_b32_e32 v9, 0x180, v8
	s_waitcnt lgkmcnt(0)
	s_add_i32 s39, s33, -1
	s_cmp_gt_u32 s39, 1
	v_cmp_le_i32_e32 vcc, s94, v9
	s_cselect_b64 s[34:35], -1, 0
	s_mov_b64 s[30:31], 0
	s_mov_b64 s[6:7], 0
	s_and_saveexec_b64 s[0:1], vcc
	s_xor_b64 s[36:37], exec, s[0:1]
	s_cbranch_execz .LBB39_466
; %bb.1:
	s_load_dword s38, s[28:29], 0x110
	s_load_dwordx2 s[62:63], s[28:29], 0xc4
	s_cmp_lg_u32 s33, 0
	s_cselect_b64 s[68:69], -1, 0
	s_add_u32 s66, s28, 0xc4
	s_addc_u32 s67, s29, 0
	s_min_u32 s95, s39, 15
	s_cmp_gt_u32 s33, 1
	s_cselect_b64 s[60:61], -1, 0
	s_waitcnt lgkmcnt(0)
	s_and_b32 s8, s38, 0xffff
	s_sext_i32_i16 s84, s8
	v_cvt_f32_i32_e32 v4, s84
	s_load_dword s0, s[4:5], 0x118
	s_load_dwordx2 s[58:59], s[28:29], 0x108
	s_bfe_i64 s[22:23], s[38:39], 0x100000
	s_load_dwordx2 s[82:83], s[28:29], 0x14
	s_load_dwordx4 s[16:19], s[28:29], 0x4
	v_and_b32_e32 v2, 0x400000, v4
	s_waitcnt lgkmcnt(0)
	s_lshr_b32 s93, s0, 16
	v_bfe_u32 v1, v4, 23, 8
	s_movk_i32 s0, 0xff
	v_cmp_ne_u32_e32 vcc, 0, v2
	v_and_b32_e32 v2, 0x3fffff, v4
	v_cmp_eq_u32_e64 s[6:7], s0, v1
	v_or_b32_e32 v1, v1, v2
	v_cmp_ne_u32_e64 s[0:1], 0, v1
	v_readfirstlane_b32 s9, v4
	s_and_b64 s[0:1], vcc, s[0:1]
	s_and_b32 s10, s9, 0x7fffffff
	s_cmp_lt_u32 s10, 0x43800000
	s_cselect_b64 s[54:55], -1, 0
	s_cmp_gt_u32 s10, 0x3bffffff
	v_cndmask_b32_e64 v1, 0, 1, s[0:1]
	s_cselect_b64 s[2:3], -1, 0
	s_bfe_u32 s0, s9, 0x10014
	s_add_i32 s11, s9, s0
	s_add_i32 s0, s11, 0x487ffff
	s_lshr_b32 s92, s0, 20
	s_mov_b32 s0, 0x46000000
	v_add_f32_e64 v14, |v4|, s0
	v_readfirstlane_b32 s0, v14
	s_and_b32 s0, s0, 0xff
	s_cmp_lg_u32 s0, 0
	s_cselect_b64 s[56:57], -1, 0
	s_cmp_gt_u32 s10, 0x477fffff
	s_cselect_b64 s[42:43], -1, 0
	s_cmp_lt_u32 s10, 0x47800000
	s_movk_i32 s0, 0x80
	s_cselect_b64 s[50:51], -1, 0
	s_cmp_gt_u32 s10, 0x37ffffff
	v_and_b32_sdwa v11, v4, s0 dst_sel:DWORD dst_unused:UNUSED_PAD src0_sel:BYTE_3 src1_sel:DWORD
	s_cselect_b64 s[0:1], -1, 0
	s_bfe_u32 s12, s9, 0x10015
	s_add_i32 s9, s9, s12
	s_add_i32 s12, s9, 0x88fffff
	s_lshr_b32 s90, s12, 21
	s_mov_b32 s12, 0x42800000
	v_add_f32_e64 v13, |v4|, s12
	v_readfirstlane_b32 s12, v13
	s_and_b32 s12, s12, 0xff
	s_cmp_lg_u32 s12, 0
	s_cselect_b64 s[52:53], -1, 0
	s_cmp_gt_u32 s10, 0x43efffff
	s_cselect_b64 s[46:47], -1, 0
	s_cmp_lt_u32 s10, 0x3c800000
	s_cselect_b64 s[48:49], -1, 0
	s_add_i32 s11, s11, 0x407ffff
	s_lshr_b32 s12, s11, 20
	s_and_b32 s11, s11, 0xff00000
	s_cmp_lg_u32 s11, 0x7f00000
	s_cselect_b32 s88, s12, 0x7e
	s_cmp_lt_u32 s10, 0x38800000
	s_cselect_b64 s[44:45], -1, 0
	s_add_i32 s9, s9, 0x80fffff
	s_lshr_b32 s85, s9, 21
	v_lshrrev_b32_e32 v0, 23, v4
	s_mov_b32 s11, 0x46800000
	s_cmp_gt_u32 s10, 0x7f800000
	s_movk_i32 s9, 0x7f
	v_add_u32_e32 v15, v0, v1
	v_add_f32_e64 v0, |v4|, s11
	s_cselect_b32 s91, s9, 0x7e
	s_mov_b32 s9, 0x43000000
	v_readfirstlane_b32 s89, v0
	v_add_f32_e64 v0, |v4|, s9
	v_readfirstlane_b32 s86, v0
	v_bfe_u32 v0, v4, 16, 1
	v_add_u32_e32 v0, v4, v0
	v_add_u32_e32 v0, 0x7fff, v0
	s_movk_i32 s9, 0x7c
	v_lshrrev_b32_e32 v12, 16, v0
	v_cvt_f64_i32_e32 v[0:1], s84
	s_cselect_b32 s87, 0x7f, s9
	s_cmp_lg_u32 s8, 0
	s_cselect_b64 s[8:9], -1, 0
	v_cndmask_b32_e64 v10, 0, 1, s[8:9]
	v_cvt_f16_i16_e32 v9, s38
	v_cmp_gt_i32_e32 vcc, s94, v8
	s_mov_b64 s[10:11], -1
	s_mov_b64 s[76:77], 0
	s_mov_b64 s[70:71], 0
	s_and_saveexec_b64 s[72:73], vcc
	s_cbranch_execz .LBB39_115
; %bb.2:
	s_andn2_b64 vcc, exec, s[34:35]
	s_cbranch_vccnz .LBB39_8
; %bb.3:
	s_andn2_b64 vcc, exec, s[68:69]
	s_cbranch_vccnz .LBB39_9
; %bb.4:
	s_add_i32 s64, s95, 1
	s_cmp_eq_u32 s39, 2
	s_cbranch_scc1 .LBB39_10
; %bb.5:
	s_mov_b64 s[40:41], s[22:23]
	s_and_b32 s78, s64, 28
	s_mov_b32 s65, 0
	v_mov_b32_e32 v2, 0
	s_mov_b64 s[70:71], s[28:29]
	s_mov_b64 s[74:75], s[66:67]
	v_mov_b32_e32 v3, v8
.LBB39_6:                               ; =>This Inner Loop Header: Depth=1
	s_load_dwordx8 s[8:15], s[70:71], 0x4
	s_load_dwordx4 s[20:23], s[70:71], 0x24
	s_load_dwordx4 s[24:27], s[74:75], 0x0
	s_add_u32 s70, s70, 48
	s_addc_u32 s71, s71, 0
	s_waitcnt lgkmcnt(0)
	v_mul_hi_u32 v5, s9, v3
	s_add_i32 s65, s65, 4
	s_add_u32 s74, s74, 16
	s_addc_u32 s75, s75, 0
	v_add_u32_e32 v5, v3, v5
	v_lshrrev_b32_e32 v5, s10, v5
	v_mul_lo_u32 v6, v5, s8
	v_mul_hi_u32 v7, s12, v5
	s_cmp_lg_u32 s78, s65
	v_sub_u32_e32 v3, v3, v6
	v_add_u32_e32 v6, v5, v7
	v_lshrrev_b32_e32 v6, s13, v6
	v_mul_lo_u32 v7, v3, s24
	v_mul_hi_u32 v3, s15, v6
	v_mul_lo_u32 v17, v6, s11
	v_add_u32_e32 v3, v6, v3
	v_lshrrev_b32_e32 v16, s20, v3
	v_mul_hi_u32 v3, s22, v16
	v_sub_u32_e32 v5, v5, v17
	v_mul_lo_u32 v17, v16, s14
	v_mul_lo_u32 v5, v5, s25
	v_add_u32_e32 v3, v16, v3
	v_lshrrev_b32_e32 v3, s23, v3
	v_mul_lo_u32 v18, v3, s21
	v_sub_u32_e32 v6, v6, v17
	v_mul_lo_u32 v6, v6, s26
	v_add3_u32 v2, v7, v2, v5
	v_sub_u32_e32 v16, v16, v18
	v_mul_lo_u32 v16, v16, s27
	v_add3_u32 v2, v6, v2, v16
	s_cbranch_scc1 .LBB39_6
; %bb.7:
	s_mov_b64 s[22:23], s[40:41]
	s_branch .LBB39_11
.LBB39_8:
                                        ; implicit-def: $vgpr2
	s_branch .LBB39_15
.LBB39_9:
	v_mov_b32_e32 v2, 0
	s_branch .LBB39_14
.LBB39_10:
	v_mov_b32_e32 v2, 0
	s_mov_b32 s78, 0
	v_mov_b32_e32 v3, v8
.LBB39_11:
	s_and_b32 s12, s64, 3
	s_cmp_eq_u32 s12, 0
	s_cbranch_scc1 .LBB39_14
; %bb.12:
	s_lshl_b32 s8, s78, 2
	s_add_u32 s8, s28, s8
	s_addc_u32 s9, s29, 0
	s_add_u32 s8, s8, 0xc4
	s_addc_u32 s9, s9, 0
	s_mul_i32 s10, s78, 12
	s_add_u32 s10, s28, s10
	s_addc_u32 s11, s29, 0
.LBB39_13:                              ; =>This Inner Loop Header: Depth=1
	s_load_dwordx2 s[14:15], s[10:11], 0x4
	s_load_dword s13, s[10:11], 0xc
	s_add_u32 s10, s10, 12
	s_addc_u32 s11, s11, 0
	s_waitcnt lgkmcnt(0)
	v_mul_hi_u32 v5, s15, v3
	s_load_dword s15, s[8:9], 0x0
	s_add_u32 s8, s8, 4
	s_addc_u32 s9, s9, 0
	v_add_u32_e32 v5, v3, v5
	v_lshrrev_b32_e32 v5, s13, v5
	v_mul_lo_u32 v6, v5, s14
	s_add_i32 s12, s12, -1
	s_cmp_lg_u32 s12, 0
	v_sub_u32_e32 v3, v3, v6
	s_waitcnt lgkmcnt(0)
	v_mad_u64_u32 v[2:3], s[14:15], v3, s15, v[2:3]
	v_mov_b32_e32 v3, v5
	s_cbranch_scc1 .LBB39_13
.LBB39_14:
	s_cbranch_execnz .LBB39_17
.LBB39_15:
	v_mul_hi_u32 v2, s17, v8
	s_andn2_b64 vcc, exec, s[60:61]
	v_add_u32_e32 v2, v8, v2
	v_lshrrev_b32_e32 v3, s18, v2
	v_mul_lo_u32 v2, v3, s16
	v_sub_u32_e32 v2, v8, v2
	v_mul_lo_u32 v2, v2, s62
	s_cbranch_vccnz .LBB39_17
; %bb.16:
	v_mul_hi_u32 v5, s82, v3
	v_add_u32_e32 v5, v3, v5
	v_lshrrev_b32_e32 v5, s83, v5
	v_mul_lo_u32 v5, v5, s19
	v_sub_u32_e32 v3, v3, v5
	v_mad_u64_u32 v[2:3], s[8:9], v3, s63, v[2:3]
.LBB39_17:
	v_mov_b32_e32 v3, s59
	s_and_b32 s14, s93, 0xff
	v_add_co_u32_e32 v6, vcc, s58, v2
	s_cmp_lt_i32 s14, 11
	v_addc_co_u32_e32 v7, vcc, 0, v3, vcc
	s_cbranch_scc1 .LBB39_24
; %bb.18:
	s_and_b32 s15, 0xffff, s14
	s_cmp_gt_i32 s15, 25
	s_cbranch_scc0 .LBB39_27
; %bb.19:
	s_cmp_gt_i32 s15, 28
	s_cbranch_scc0 .LBB39_28
; %bb.20:
	;; [unrolled: 3-line block ×4, first 2 shown]
	s_mov_b64 s[12:13], 0
	s_mov_b64 s[8:9], -1
	s_cmp_eq_u32 s15, 46
	s_mov_b64 s[10:11], 0
	s_cbranch_scc0 .LBB39_31
; %bb.23:
	global_store_dword v[6:7], v12, off
	s_mov_b64 s[10:11], -1
	s_mov_b64 s[8:9], 0
	s_branch .LBB39_31
.LBB39_24:
	s_mov_b64 s[8:9], 0
	s_mov_b64 s[10:11], 0
	s_cbranch_execnz .LBB39_75
.LBB39_25:
	s_andn2_b64 vcc, exec, s[10:11]
	s_cbranch_vccnz .LBB39_113
.LBB39_26:
	v_add_u32_e32 v8, 0x80, v8
	s_mov_b64 s[10:11], -1
	s_branch .LBB39_114
.LBB39_27:
	s_mov_b64 s[8:9], 0
	s_mov_b64 s[10:11], 0
	s_cbranch_execnz .LBB39_53
	s_branch .LBB39_74
.LBB39_28:
	s_mov_b64 s[12:13], -1
	s_mov_b64 s[8:9], 0
	s_mov_b64 s[10:11], 0
	s_branch .LBB39_39
.LBB39_29:
	s_mov_b64 s[12:13], -1
	s_mov_b64 s[8:9], 0
	s_mov_b64 s[10:11], 0
	s_branch .LBB39_35
.LBB39_30:
	s_mov_b64 s[12:13], -1
	s_mov_b64 s[8:9], 0
	s_mov_b64 s[10:11], 0
.LBB39_31:
	s_and_b64 vcc, exec, s[12:13]
	s_cbranch_vccz .LBB39_34
; %bb.32:
	s_cmp_eq_u32 s15, 44
	s_mov_b64 s[8:9], -1
	s_cbranch_scc0 .LBB39_34
; %bb.33:
	v_mov_b32_e32 v2, 0xffff
	v_cndmask_b32_e64 v2, v15, v2, s[6:7]
	global_store_byte v[6:7], v2, off
	s_mov_b64 s[10:11], -1
	s_mov_b64 s[8:9], 0
.LBB39_34:
	s_mov_b64 s[12:13], 0
.LBB39_35:
	s_and_b64 vcc, exec, s[12:13]
	s_cbranch_vccz .LBB39_38
; %bb.36:
	s_cmp_eq_u32 s15, 29
	s_mov_b64 s[8:9], -1
	s_cbranch_scc0 .LBB39_38
; %bb.37:
	v_mov_b32_e32 v2, s22
	v_mov_b32_e32 v3, s23
	global_store_dwordx2 v[6:7], v[2:3], off
	s_mov_b64 s[10:11], -1
	s_mov_b64 s[8:9], 0
.LBB39_38:
	s_mov_b64 s[12:13], 0
.LBB39_39:
	s_and_b64 vcc, exec, s[12:13]
	s_cbranch_vccz .LBB39_52
; %bb.40:
	s_cmp_lt_i32 s15, 27
	s_mov_b64 s[10:11], -1
	s_cbranch_scc1 .LBB39_46
; %bb.41:
	s_cmp_gt_i32 s15, 27
	s_cbranch_scc0 .LBB39_43
; %bb.42:
	v_mov_b32_e32 v2, s84
	s_mov_b64 s[10:11], 0
	global_store_dword v[6:7], v2, off
.LBB39_43:
	s_andn2_b64 vcc, exec, s[10:11]
	s_cbranch_vccnz .LBB39_45
; %bb.44:
	v_mov_b32_e32 v2, s38
	global_store_short v[6:7], v2, off
.LBB39_45:
	s_mov_b64 s[10:11], 0
.LBB39_46:
	s_andn2_b64 vcc, exec, s[10:11]
	s_cbranch_vccnz .LBB39_51
; %bb.47:
	s_andn2_b64 vcc, exec, s[54:55]
	v_mov_b32_e32 v2, 0x80
	s_cbranch_vccnz .LBB39_50
; %bb.48:
	s_or_b64 s[10:11], s[2:3], s[56:57]
	s_andn2_b64 vcc, exec, s[10:11]
	v_mov_b32_e32 v2, 0
	s_cbranch_vccnz .LBB39_50
; %bb.49:
	v_mov_b32_e32 v2, s92
	v_cndmask_b32_e64 v2, v14, v2, s[2:3]
	v_or_b32_e32 v2, v2, v11
.LBB39_50:
	global_store_byte v[6:7], v2, off
.LBB39_51:
	s_mov_b64 s[10:11], -1
.LBB39_52:
	s_branch .LBB39_74
.LBB39_53:
	s_cmp_gt_i32 s15, 22
	s_mov_b64 s[12:13], -1
	s_cbranch_scc0 .LBB39_66
; %bb.54:
	s_cmp_lt_i32 s15, 24
	s_mov_b64 s[10:11], -1
	s_cbranch_scc1 .LBB39_63
; %bb.55:
	s_cmp_gt_i32 s15, 24
	s_cbranch_scc0 .LBB39_60
; %bb.56:
	s_andn2_b64 vcc, exec, s[50:51]
	v_mov_b32_e32 v2, 0x80
	s_cbranch_vccnz .LBB39_59
; %bb.57:
	s_or_b64 s[10:11], s[0:1], s[52:53]
	s_andn2_b64 vcc, exec, s[10:11]
	v_mov_b32_e32 v2, 0
	s_cbranch_vccnz .LBB39_59
; %bb.58:
	v_mov_b32_e32 v2, s90
	v_cndmask_b32_e64 v2, v13, v2, s[0:1]
	v_or_b32_e32 v2, v2, v11
.LBB39_59:
	s_mov_b64 s[10:11], 0
	global_store_byte v[6:7], v2, off
.LBB39_60:
	s_and_b64 vcc, exec, s[10:11]
	s_cbranch_vccz .LBB39_62
; %bb.61:
	s_and_b64 s[10:11], s[48:49], exec
	s_cselect_b32 s12, s89, s88
	s_and_b64 s[10:11], s[46:47], exec
	s_cselect_b32 s10, s91, s12
	v_or_b32_e32 v2, s10, v11
	global_store_byte v[6:7], v2, off
.LBB39_62:
	s_mov_b64 s[10:11], 0
.LBB39_63:
	s_andn2_b64 vcc, exec, s[10:11]
	s_cbranch_vccnz .LBB39_65
; %bb.64:
	s_and_b64 s[10:11], s[44:45], exec
	s_cselect_b32 s12, s86, s85
	s_and_b64 s[10:11], s[42:43], exec
	s_cselect_b32 s10, s87, s12
	v_or_b32_e32 v2, s10, v11
	global_store_byte v[6:7], v2, off
.LBB39_65:
	s_mov_b64 s[12:13], 0
	s_mov_b64 s[10:11], -1
.LBB39_66:
	s_andn2_b64 vcc, exec, s[12:13]
	s_cbranch_vccnz .LBB39_74
; %bb.67:
	s_cmp_gt_i32 s15, 14
	s_mov_b64 s[12:13], -1
	s_cbranch_scc0 .LBB39_71
; %bb.68:
	s_cmp_eq_u32 s15, 15
	s_mov_b64 s[8:9], -1
	s_cbranch_scc0 .LBB39_70
; %bb.69:
	global_store_short v[6:7], v12, off
	s_mov_b64 s[10:11], -1
	s_mov_b64 s[8:9], 0
.LBB39_70:
	s_mov_b64 s[12:13], 0
.LBB39_71:
	s_and_b64 vcc, exec, s[12:13]
	s_cbranch_vccz .LBB39_74
; %bb.72:
	s_cmp_eq_u32 s15, 11
	s_mov_b64 s[8:9], -1
	s_cbranch_scc0 .LBB39_74
; %bb.73:
	s_mov_b64 s[10:11], -1
	s_mov_b64 s[8:9], 0
	global_store_byte v[6:7], v10, off
.LBB39_74:
	s_branch .LBB39_25
.LBB39_75:
	s_and_b32 s12, 0xffff, s14
	s_cmp_lt_i32 s12, 5
	s_mov_b64 s[10:11], -1
	s_cbranch_scc1 .LBB39_96
; %bb.76:
	s_cmp_lt_i32 s12, 8
	s_cbranch_scc1 .LBB39_86
; %bb.77:
	s_cmp_lt_i32 s12, 9
	s_cbranch_scc1 .LBB39_83
; %bb.78:
	s_cmp_gt_i32 s12, 9
	s_cbranch_scc0 .LBB39_80
; %bb.79:
	v_mov_b32_e32 v2, 0
	v_mov_b32_e32 v3, v2
	global_store_dwordx4 v[6:7], v[0:3], off
	s_mov_b64 s[10:11], 0
.LBB39_80:
	s_andn2_b64 vcc, exec, s[10:11]
	s_cbranch_vccnz .LBB39_82
; %bb.81:
	v_mov_b32_e32 v5, 0
	global_store_dwordx2 v[6:7], v[4:5], off
.LBB39_82:
	s_mov_b64 s[10:11], 0
.LBB39_83:
	s_andn2_b64 vcc, exec, s[10:11]
	s_cbranch_vccnz .LBB39_85
; %bb.84:
	global_store_dword v[6:7], v9, off
.LBB39_85:
	s_mov_b64 s[10:11], 0
.LBB39_86:
	s_andn2_b64 vcc, exec, s[10:11]
	s_cbranch_vccnz .LBB39_95
; %bb.87:
	s_cmp_lt_i32 s12, 6
	s_mov_b64 s[10:11], -1
	s_cbranch_scc1 .LBB39_93
; %bb.88:
	s_cmp_gt_i32 s12, 6
	s_cbranch_scc0 .LBB39_90
; %bb.89:
	global_store_dwordx2 v[6:7], v[0:1], off
	s_mov_b64 s[10:11], 0
.LBB39_90:
	s_andn2_b64 vcc, exec, s[10:11]
	s_cbranch_vccnz .LBB39_92
; %bb.91:
	global_store_dword v[6:7], v4, off
.LBB39_92:
	s_mov_b64 s[10:11], 0
.LBB39_93:
	s_andn2_b64 vcc, exec, s[10:11]
	s_cbranch_vccnz .LBB39_95
; %bb.94:
	global_store_short v[6:7], v9, off
.LBB39_95:
	s_mov_b64 s[10:11], 0
.LBB39_96:
	s_andn2_b64 vcc, exec, s[10:11]
	s_cbranch_vccnz .LBB39_112
; %bb.97:
	s_cmp_lt_i32 s12, 2
	s_mov_b64 s[10:11], -1
	s_cbranch_scc1 .LBB39_107
; %bb.98:
	s_cmp_lt_i32 s12, 3
	s_cbranch_scc1 .LBB39_104
; %bb.99:
	s_cmp_gt_i32 s12, 3
	s_cbranch_scc0 .LBB39_101
; %bb.100:
	v_mov_b32_e32 v2, s22
	v_mov_b32_e32 v3, s23
	global_store_dwordx2 v[6:7], v[2:3], off
	s_mov_b64 s[10:11], 0
.LBB39_101:
	s_andn2_b64 vcc, exec, s[10:11]
	s_cbranch_vccnz .LBB39_103
; %bb.102:
	v_mov_b32_e32 v2, s84
	global_store_dword v[6:7], v2, off
.LBB39_103:
	s_mov_b64 s[10:11], 0
.LBB39_104:
	s_andn2_b64 vcc, exec, s[10:11]
	s_cbranch_vccnz .LBB39_106
; %bb.105:
	v_mov_b32_e32 v2, s38
	global_store_short v[6:7], v2, off
.LBB39_106:
	s_mov_b64 s[10:11], 0
.LBB39_107:
	s_andn2_b64 vcc, exec, s[10:11]
	s_cbranch_vccnz .LBB39_112
; %bb.108:
	s_cmp_gt_i32 s12, 0
	s_mov_b64 s[10:11], -1
	s_cbranch_scc0 .LBB39_110
; %bb.109:
	v_mov_b32_e32 v2, s38
	global_store_byte v[6:7], v2, off
	s_mov_b64 s[10:11], 0
.LBB39_110:
	s_andn2_b64 vcc, exec, s[10:11]
	s_cbranch_vccnz .LBB39_112
; %bb.111:
	v_mov_b32_e32 v2, s38
	global_store_byte v[6:7], v2, off
.LBB39_112:
	s_branch .LBB39_26
.LBB39_113:
	s_mov_b64 s[10:11], 0
                                        ; implicit-def: $vgpr8
.LBB39_114:
	s_and_b64 s[70:71], s[8:9], exec
	s_orn2_b64 s[10:11], s[10:11], exec
.LBB39_115:
	s_or_b64 exec, exec, s[72:73]
	s_mov_b64 s[8:9], 0
                                        ; implicit-def: $sgpr20
                                        ; implicit-def: $vgpr6_vgpr7
	s_and_saveexec_b64 s[72:73], s[10:11]
	s_cbranch_execz .LBB39_123
; %bb.116:
	v_cmp_gt_i32_e32 vcc, s94, v8
	s_mov_b64 s[8:9], -1
	s_mov_b64 s[74:75], s[70:71]
	s_and_saveexec_b64 s[76:77], vcc
	s_cbranch_execz .LBB39_234
; %bb.117:
	s_andn2_b64 vcc, exec, s[34:35]
	s_cbranch_vccnz .LBB39_126
; %bb.118:
	s_andn2_b64 vcc, exec, s[68:69]
	s_cbranch_vccnz .LBB39_127
; %bb.119:
	s_add_i32 s64, s95, 1
	s_cmp_eq_u32 s39, 2
	s_cbranch_scc1 .LBB39_128
; %bb.120:
	s_mov_b64 s[40:41], s[22:23]
	s_and_b32 s80, s64, 28
	s_mov_b32 s65, 0
	v_mov_b32_e32 v2, 0
	s_mov_b64 s[74:75], s[28:29]
	s_mov_b64 s[78:79], s[66:67]
	v_mov_b32_e32 v3, v8
.LBB39_121:                             ; =>This Inner Loop Header: Depth=1
	s_load_dwordx8 s[8:15], s[74:75], 0x4
	s_load_dwordx4 s[20:23], s[74:75], 0x24
	s_load_dwordx4 s[24:27], s[78:79], 0x0
	s_add_u32 s74, s74, 48
	s_addc_u32 s75, s75, 0
	s_waitcnt lgkmcnt(0)
	v_mul_hi_u32 v5, s9, v3
	s_add_i32 s65, s65, 4
	s_add_u32 s78, s78, 16
	s_addc_u32 s79, s79, 0
	v_add_u32_e32 v5, v3, v5
	v_lshrrev_b32_e32 v5, s10, v5
	v_mul_lo_u32 v6, v5, s8
	v_mul_hi_u32 v7, s12, v5
	s_cmp_eq_u32 s80, s65
	v_sub_u32_e32 v3, v3, v6
	v_add_u32_e32 v6, v5, v7
	v_lshrrev_b32_e32 v6, s13, v6
	v_mul_lo_u32 v7, v3, s24
	v_mul_hi_u32 v3, s15, v6
	v_mul_lo_u32 v17, v6, s11
	v_add_u32_e32 v3, v6, v3
	v_lshrrev_b32_e32 v16, s20, v3
	v_mul_hi_u32 v3, s22, v16
	v_sub_u32_e32 v5, v5, v17
	v_mul_lo_u32 v17, v16, s14
	v_mul_lo_u32 v5, v5, s25
	v_add_u32_e32 v3, v16, v3
	v_lshrrev_b32_e32 v3, s23, v3
	v_mul_lo_u32 v18, v3, s21
	v_sub_u32_e32 v6, v6, v17
	v_mul_lo_u32 v6, v6, s26
	v_add3_u32 v2, v7, v2, v5
	v_sub_u32_e32 v16, v16, v18
	v_mul_lo_u32 v16, v16, s27
	v_add3_u32 v2, v6, v2, v16
	s_cbranch_scc0 .LBB39_121
; %bb.122:
	s_mov_b64 s[22:23], s[40:41]
	s_branch .LBB39_129
.LBB39_123:
	s_or_b64 exec, exec, s[72:73]
	s_mov_b64 s[0:1], 0
	s_and_saveexec_b64 s[2:3], s[70:71]
	s_cbranch_execnz .LBB39_426
.LBB39_124:
	s_or_b64 exec, exec, s[2:3]
	s_and_saveexec_b64 s[2:3], s[76:77]
	s_xor_b64 s[2:3], exec, s[2:3]
	s_cbranch_execz .LBB39_427
.LBB39_125:
	global_store_byte v[6:7], v10, off
	s_or_b64 exec, exec, s[2:3]
	s_and_saveexec_b64 s[2:3], s[8:9]
	s_xor_b64 s[2:3], exec, s[2:3]
	s_cbranch_execz .LBB39_465
	s_branch .LBB39_428
.LBB39_126:
                                        ; implicit-def: $vgpr2
	s_andn2_b64 vcc, exec, s[8:9]
	s_cbranch_vccz .LBB39_133
	s_branch .LBB39_135
.LBB39_127:
	v_mov_b32_e32 v2, 0
	s_branch .LBB39_132
.LBB39_128:
	v_mov_b32_e32 v2, 0
	s_mov_b32 s80, 0
	v_mov_b32_e32 v3, v8
.LBB39_129:
	s_and_b32 s12, s64, 3
	s_cmp_eq_u32 s12, 0
	s_cbranch_scc1 .LBB39_132
; %bb.130:
	s_lshl_b32 s8, s80, 2
	s_add_u32 s8, s28, s8
	s_addc_u32 s9, s29, 0
	s_add_u32 s8, s8, 0xc4
	s_addc_u32 s9, s9, 0
	s_mul_i32 s10, s80, 12
	s_add_u32 s10, s28, s10
	s_addc_u32 s11, s29, 0
.LBB39_131:                             ; =>This Inner Loop Header: Depth=1
	s_load_dwordx2 s[14:15], s[10:11], 0x4
	s_load_dword s13, s[10:11], 0xc
	s_add_u32 s10, s10, 12
	s_addc_u32 s11, s11, 0
	s_waitcnt lgkmcnt(0)
	v_mul_hi_u32 v5, s15, v3
	s_load_dword s15, s[8:9], 0x0
	s_add_u32 s8, s8, 4
	s_addc_u32 s9, s9, 0
	v_add_u32_e32 v5, v3, v5
	v_lshrrev_b32_e32 v5, s13, v5
	v_mul_lo_u32 v6, v5, s14
	s_add_i32 s12, s12, -1
	s_cmp_lg_u32 s12, 0
	v_sub_u32_e32 v3, v3, v6
	s_waitcnt lgkmcnt(0)
	v_mad_u64_u32 v[2:3], s[14:15], v3, s15, v[2:3]
	v_mov_b32_e32 v3, v5
	s_cbranch_scc1 .LBB39_131
.LBB39_132:
	s_cbranch_execnz .LBB39_135
.LBB39_133:
	v_mul_hi_u32 v2, s17, v8
	s_andn2_b64 vcc, exec, s[60:61]
	v_add_u32_e32 v2, v8, v2
	v_lshrrev_b32_e32 v3, s18, v2
	v_mul_lo_u32 v2, v3, s16
	v_sub_u32_e32 v2, v8, v2
	v_mul_lo_u32 v2, v2, s62
	s_cbranch_vccnz .LBB39_135
; %bb.134:
	v_mul_hi_u32 v5, s82, v3
	v_add_u32_e32 v5, v3, v5
	v_lshrrev_b32_e32 v5, s83, v5
	v_mul_lo_u32 v5, v5, s19
	v_sub_u32_e32 v3, v3, v5
	v_mad_u64_u32 v[2:3], s[8:9], v3, s63, v[2:3]
.LBB39_135:
	v_mov_b32_e32 v3, s59
	s_and_b32 s14, s93, 0xff
	v_add_co_u32_e32 v6, vcc, s58, v2
	s_cmp_lt_i32 s14, 11
	v_addc_co_u32_e32 v7, vcc, 0, v3, vcc
	s_cbranch_scc1 .LBB39_142
; %bb.136:
	s_and_b32 s15, 0xffff, s14
	s_cmp_gt_i32 s15, 25
	s_cbranch_scc0 .LBB39_145
; %bb.137:
	s_cmp_gt_i32 s15, 28
	s_cbranch_scc0 .LBB39_146
; %bb.138:
	;; [unrolled: 3-line block ×4, first 2 shown]
	s_mov_b64 s[12:13], 0
	s_mov_b64 s[8:9], -1
	s_cmp_eq_u32 s15, 46
	s_mov_b64 s[10:11], 0
	s_cbranch_scc0 .LBB39_149
; %bb.141:
	global_store_dword v[6:7], v12, off
	s_mov_b64 s[10:11], -1
	s_mov_b64 s[8:9], 0
	s_branch .LBB39_149
.LBB39_142:
	s_mov_b64 s[10:11], 0
	s_mov_b64 s[8:9], s[70:71]
	s_cbranch_execnz .LBB39_194
.LBB39_143:
	s_andn2_b64 vcc, exec, s[10:11]
	s_cbranch_vccnz .LBB39_232
.LBB39_144:
	v_add_u32_e32 v8, 0x80, v8
	s_mov_b64 s[10:11], -1
	s_branch .LBB39_233
.LBB39_145:
	s_mov_b64 s[12:13], -1
	s_mov_b64 s[10:11], 0
	s_mov_b64 s[8:9], s[70:71]
	s_branch .LBB39_171
.LBB39_146:
	s_mov_b64 s[12:13], -1
	s_mov_b64 s[10:11], 0
	s_mov_b64 s[8:9], s[70:71]
	s_branch .LBB39_157
.LBB39_147:
	s_mov_b64 s[12:13], -1
	s_mov_b64 s[10:11], 0
	s_mov_b64 s[8:9], s[70:71]
	s_branch .LBB39_153
.LBB39_148:
	s_mov_b64 s[12:13], -1
	s_mov_b64 s[10:11], 0
	s_mov_b64 s[8:9], s[70:71]
.LBB39_149:
	s_and_b64 vcc, exec, s[12:13]
	s_cbranch_vccz .LBB39_152
; %bb.150:
	s_cmp_eq_u32 s15, 44
	s_mov_b64 s[8:9], -1
	s_cbranch_scc0 .LBB39_152
; %bb.151:
	v_mov_b32_e32 v2, 0xffff
	v_cndmask_b32_e64 v2, v15, v2, s[6:7]
	s_mov_b64 s[10:11], -1
	s_mov_b64 s[8:9], 0
	global_store_byte v[6:7], v2, off
.LBB39_152:
	s_mov_b64 s[12:13], 0
.LBB39_153:
	s_and_b64 vcc, exec, s[12:13]
	s_cbranch_vccz .LBB39_156
; %bb.154:
	s_cmp_eq_u32 s15, 29
	s_mov_b64 s[8:9], -1
	s_cbranch_scc0 .LBB39_156
; %bb.155:
	v_mov_b32_e32 v2, s22
	v_mov_b32_e32 v3, s23
	global_store_dwordx2 v[6:7], v[2:3], off
	s_mov_b64 s[10:11], -1
	s_mov_b64 s[8:9], 0
.LBB39_156:
	s_mov_b64 s[12:13], 0
.LBB39_157:
	s_and_b64 vcc, exec, s[12:13]
	s_cbranch_vccz .LBB39_170
; %bb.158:
	s_cmp_lt_i32 s15, 27
	s_mov_b64 s[10:11], -1
	s_cbranch_scc1 .LBB39_164
; %bb.159:
	s_cmp_gt_i32 s15, 27
	s_cbranch_scc0 .LBB39_161
; %bb.160:
	v_mov_b32_e32 v2, s84
	s_mov_b64 s[10:11], 0
	global_store_dword v[6:7], v2, off
.LBB39_161:
	s_andn2_b64 vcc, exec, s[10:11]
	s_cbranch_vccnz .LBB39_163
; %bb.162:
	v_mov_b32_e32 v2, s38
	global_store_short v[6:7], v2, off
.LBB39_163:
	s_mov_b64 s[10:11], 0
.LBB39_164:
	s_andn2_b64 vcc, exec, s[10:11]
	s_cbranch_vccnz .LBB39_169
; %bb.165:
	s_andn2_b64 vcc, exec, s[54:55]
	v_mov_b32_e32 v2, 0x80
	s_cbranch_vccnz .LBB39_168
; %bb.166:
	s_or_b64 s[10:11], s[2:3], s[56:57]
	s_andn2_b64 vcc, exec, s[10:11]
	v_mov_b32_e32 v2, 0
	s_cbranch_vccnz .LBB39_168
; %bb.167:
	v_mov_b32_e32 v2, s92
	v_cndmask_b32_e64 v2, v14, v2, s[2:3]
	v_or_b32_e32 v2, v2, v11
.LBB39_168:
	global_store_byte v[6:7], v2, off
.LBB39_169:
	s_mov_b64 s[10:11], -1
.LBB39_170:
	s_mov_b64 s[12:13], 0
.LBB39_171:
	s_and_b64 vcc, exec, s[12:13]
	s_cbranch_vccz .LBB39_193
; %bb.172:
	s_cmp_gt_i32 s15, 22
	s_mov_b64 s[12:13], -1
	s_cbranch_scc0 .LBB39_185
; %bb.173:
	s_cmp_lt_i32 s15, 24
	s_mov_b64 s[10:11], -1
	s_cbranch_scc1 .LBB39_182
; %bb.174:
	s_cmp_gt_i32 s15, 24
	s_cbranch_scc0 .LBB39_179
; %bb.175:
	s_andn2_b64 vcc, exec, s[50:51]
	v_mov_b32_e32 v2, 0x80
	s_cbranch_vccnz .LBB39_178
; %bb.176:
	s_or_b64 s[10:11], s[0:1], s[52:53]
	s_andn2_b64 vcc, exec, s[10:11]
	v_mov_b32_e32 v2, 0
	s_cbranch_vccnz .LBB39_178
; %bb.177:
	v_mov_b32_e32 v2, s90
	v_cndmask_b32_e64 v2, v13, v2, s[0:1]
	v_or_b32_e32 v2, v2, v11
.LBB39_178:
	s_mov_b64 s[10:11], 0
	global_store_byte v[6:7], v2, off
.LBB39_179:
	s_and_b64 vcc, exec, s[10:11]
	s_cbranch_vccz .LBB39_181
; %bb.180:
	s_and_b64 s[10:11], s[48:49], exec
	s_cselect_b32 s12, s89, s88
	s_and_b64 s[10:11], s[46:47], exec
	s_cselect_b32 s10, s91, s12
	v_or_b32_e32 v2, s10, v11
	global_store_byte v[6:7], v2, off
.LBB39_181:
	s_mov_b64 s[10:11], 0
.LBB39_182:
	s_andn2_b64 vcc, exec, s[10:11]
	s_cbranch_vccnz .LBB39_184
; %bb.183:
	s_and_b64 s[10:11], s[44:45], exec
	s_cselect_b32 s12, s86, s85
	s_and_b64 s[10:11], s[42:43], exec
	s_cselect_b32 s10, s87, s12
	v_or_b32_e32 v2, s10, v11
	global_store_byte v[6:7], v2, off
.LBB39_184:
	s_mov_b64 s[12:13], 0
	s_mov_b64 s[10:11], -1
.LBB39_185:
	s_andn2_b64 vcc, exec, s[12:13]
	s_cbranch_vccnz .LBB39_193
; %bb.186:
	s_cmp_gt_i32 s15, 14
	s_mov_b64 s[12:13], -1
	s_cbranch_scc0 .LBB39_190
; %bb.187:
	s_cmp_eq_u32 s15, 15
	s_mov_b64 s[8:9], -1
	s_cbranch_scc0 .LBB39_189
; %bb.188:
	global_store_short v[6:7], v12, off
	s_mov_b64 s[10:11], -1
	s_mov_b64 s[8:9], 0
.LBB39_189:
	s_mov_b64 s[12:13], 0
.LBB39_190:
	s_and_b64 vcc, exec, s[12:13]
	s_cbranch_vccz .LBB39_193
; %bb.191:
	s_cmp_eq_u32 s15, 11
	s_mov_b64 s[8:9], -1
	s_cbranch_scc0 .LBB39_193
; %bb.192:
	s_mov_b64 s[10:11], -1
	s_mov_b64 s[8:9], 0
	global_store_byte v[6:7], v10, off
.LBB39_193:
	s_branch .LBB39_143
.LBB39_194:
	s_and_b32 s12, 0xffff, s14
	s_cmp_lt_i32 s12, 5
	s_mov_b64 s[10:11], -1
	s_cbranch_scc1 .LBB39_215
; %bb.195:
	s_cmp_lt_i32 s12, 8
	s_cbranch_scc1 .LBB39_205
; %bb.196:
	s_cmp_lt_i32 s12, 9
	s_cbranch_scc1 .LBB39_202
; %bb.197:
	s_cmp_gt_i32 s12, 9
	s_cbranch_scc0 .LBB39_199
; %bb.198:
	v_mov_b32_e32 v2, 0
	v_mov_b32_e32 v3, v2
	s_mov_b64 s[10:11], 0
	global_store_dwordx4 v[6:7], v[0:3], off
.LBB39_199:
	s_andn2_b64 vcc, exec, s[10:11]
	s_cbranch_vccnz .LBB39_201
; %bb.200:
	v_mov_b32_e32 v5, 0
	global_store_dwordx2 v[6:7], v[4:5], off
.LBB39_201:
	s_mov_b64 s[10:11], 0
.LBB39_202:
	s_andn2_b64 vcc, exec, s[10:11]
	s_cbranch_vccnz .LBB39_204
; %bb.203:
	global_store_dword v[6:7], v9, off
.LBB39_204:
	s_mov_b64 s[10:11], 0
.LBB39_205:
	s_andn2_b64 vcc, exec, s[10:11]
	s_cbranch_vccnz .LBB39_214
; %bb.206:
	s_cmp_lt_i32 s12, 6
	s_mov_b64 s[10:11], -1
	s_cbranch_scc1 .LBB39_212
; %bb.207:
	s_cmp_gt_i32 s12, 6
	s_cbranch_scc0 .LBB39_209
; %bb.208:
	s_mov_b64 s[10:11], 0
	global_store_dwordx2 v[6:7], v[0:1], off
.LBB39_209:
	s_andn2_b64 vcc, exec, s[10:11]
	s_cbranch_vccnz .LBB39_211
; %bb.210:
	global_store_dword v[6:7], v4, off
.LBB39_211:
	s_mov_b64 s[10:11], 0
.LBB39_212:
	s_andn2_b64 vcc, exec, s[10:11]
	s_cbranch_vccnz .LBB39_214
; %bb.213:
	global_store_short v[6:7], v9, off
.LBB39_214:
	s_mov_b64 s[10:11], 0
.LBB39_215:
	s_andn2_b64 vcc, exec, s[10:11]
	s_cbranch_vccnz .LBB39_231
; %bb.216:
	s_cmp_lt_i32 s12, 2
	s_mov_b64 s[10:11], -1
	s_cbranch_scc1 .LBB39_226
; %bb.217:
	s_cmp_lt_i32 s12, 3
	s_cbranch_scc1 .LBB39_223
; %bb.218:
	s_cmp_gt_i32 s12, 3
	s_cbranch_scc0 .LBB39_220
; %bb.219:
	v_mov_b32_e32 v2, s22
	v_mov_b32_e32 v3, s23
	s_mov_b64 s[10:11], 0
	global_store_dwordx2 v[6:7], v[2:3], off
.LBB39_220:
	s_andn2_b64 vcc, exec, s[10:11]
	s_cbranch_vccnz .LBB39_222
; %bb.221:
	v_mov_b32_e32 v2, s84
	global_store_dword v[6:7], v2, off
.LBB39_222:
	s_mov_b64 s[10:11], 0
.LBB39_223:
	s_andn2_b64 vcc, exec, s[10:11]
	s_cbranch_vccnz .LBB39_225
; %bb.224:
	v_mov_b32_e32 v2, s38
	global_store_short v[6:7], v2, off
.LBB39_225:
	s_mov_b64 s[10:11], 0
.LBB39_226:
	s_andn2_b64 vcc, exec, s[10:11]
	s_cbranch_vccnz .LBB39_231
; %bb.227:
	s_cmp_gt_i32 s12, 0
	s_mov_b64 s[10:11], -1
	s_cbranch_scc0 .LBB39_229
; %bb.228:
	v_mov_b32_e32 v2, s38
	s_mov_b64 s[10:11], 0
	global_store_byte v[6:7], v2, off
.LBB39_229:
	s_andn2_b64 vcc, exec, s[10:11]
	s_cbranch_vccnz .LBB39_231
; %bb.230:
	v_mov_b32_e32 v2, s38
	global_store_byte v[6:7], v2, off
.LBB39_231:
	s_branch .LBB39_144
.LBB39_232:
	s_mov_b64 s[10:11], 0
                                        ; implicit-def: $vgpr8
.LBB39_233:
	s_andn2_b64 s[12:13], s[70:71], exec
	s_and_b64 s[8:9], s[8:9], exec
	s_or_b64 s[74:75], s[12:13], s[8:9]
	s_orn2_b64 s[8:9], s[10:11], exec
.LBB39_234:
	s_or_b64 exec, exec, s[76:77]
	s_mov_b64 s[10:11], 0
	s_mov_b64 s[12:13], 0
                                        ; implicit-def: $sgpr20
                                        ; implicit-def: $vgpr6_vgpr7
	s_and_saveexec_b64 s[76:77], s[8:9]
	s_cbranch_execz .LBB39_425
; %bb.235:
	v_cmp_gt_i32_e32 vcc, s94, v8
	s_mov_b64 s[10:11], -1
	s_mov_b64 s[80:81], s[74:75]
	s_and_saveexec_b64 s[78:79], vcc
	s_cbranch_execz .LBB39_352
; %bb.236:
	s_andn2_b64 vcc, exec, s[34:35]
	s_cbranch_vccnz .LBB39_242
; %bb.237:
	s_andn2_b64 vcc, exec, s[68:69]
	s_cbranch_vccnz .LBB39_243
; %bb.238:
	s_add_i32 s65, s95, 1
	s_cmp_eq_u32 s39, 2
	s_cbranch_scc1 .LBB39_244
; %bb.239:
	s_mov_b64 s[40:41], s[22:23]
	s_mov_b64 s[62:63], s[82:83]
	s_and_b32 s64, s65, 28
	s_mov_b32 vcc_lo, 0
	v_mov_b32_e32 v2, 0
	s_mov_b64 s[80:81], s[28:29]
	s_mov_b64 s[82:83], s[66:67]
	v_mov_b32_e32 v3, v8
.LBB39_240:                             ; =>This Inner Loop Header: Depth=1
	s_load_dwordx8 s[8:15], s[80:81], 0x4
	s_load_dwordx4 s[20:23], s[80:81], 0x24
	s_load_dwordx4 s[24:27], s[82:83], 0x0
	s_add_u32 s80, s80, 48
	s_addc_u32 s81, s81, 0
	s_waitcnt lgkmcnt(0)
	v_mul_hi_u32 v5, s9, v3
	s_add_i32 vcc_lo, vcc_lo, 4
	s_add_u32 s82, s82, 16
	s_addc_u32 s83, s83, 0
	v_add_u32_e32 v5, v3, v5
	v_lshrrev_b32_e32 v5, s10, v5
	v_mul_lo_u32 v6, v5, s8
	v_mul_hi_u32 v7, s12, v5
	s_cmp_eq_u32 s64, vcc_lo
	v_sub_u32_e32 v3, v3, v6
	v_add_u32_e32 v6, v5, v7
	v_lshrrev_b32_e32 v6, s13, v6
	v_mul_lo_u32 v7, v3, s24
	v_mul_hi_u32 v3, s15, v6
	v_mul_lo_u32 v17, v6, s11
	v_add_u32_e32 v3, v6, v3
	v_lshrrev_b32_e32 v16, s20, v3
	v_mul_hi_u32 v3, s22, v16
	v_sub_u32_e32 v5, v5, v17
	v_mul_lo_u32 v17, v16, s14
	v_mul_lo_u32 v5, v5, s25
	v_add_u32_e32 v3, v16, v3
	v_lshrrev_b32_e32 v3, s23, v3
	v_mul_lo_u32 v18, v3, s21
	v_sub_u32_e32 v6, v6, v17
	v_mul_lo_u32 v6, v6, s26
	v_add3_u32 v2, v7, v2, v5
	v_sub_u32_e32 v16, v16, v18
	v_mul_lo_u32 v16, v16, s27
	v_add3_u32 v2, v6, v2, v16
	s_cbranch_scc0 .LBB39_240
; %bb.241:
	s_mov_b64 s[82:83], s[62:63]
	s_load_dwordx2 s[62:63], s[28:29], 0xc4
	s_mov_b64 s[22:23], s[40:41]
	s_branch .LBB39_245
.LBB39_242:
	s_mov_b64 s[8:9], -1
                                        ; implicit-def: $vgpr2
	s_branch .LBB39_249
.LBB39_243:
	v_mov_b32_e32 v2, 0
	s_branch .LBB39_248
.LBB39_244:
	v_mov_b32_e32 v2, 0
	s_mov_b32 s64, 0
	v_mov_b32_e32 v3, v8
.LBB39_245:
	s_and_b32 s12, s65, 3
	s_cmp_eq_u32 s12, 0
	s_cbranch_scc1 .LBB39_248
; %bb.246:
	s_lshl_b32 s8, s64, 2
	s_add_u32 s8, s28, s8
	s_addc_u32 s9, s29, 0
	s_add_u32 s8, s8, 0xc4
	s_addc_u32 s9, s9, 0
	s_mul_i32 s10, s64, 12
	s_add_u32 s10, s28, s10
	s_addc_u32 s11, s29, 0
.LBB39_247:                             ; =>This Inner Loop Header: Depth=1
	s_load_dwordx2 s[14:15], s[10:11], 0x4
	s_load_dword s13, s[10:11], 0xc
	s_add_u32 s10, s10, 12
	s_addc_u32 s11, s11, 0
	s_waitcnt lgkmcnt(0)
	v_mul_hi_u32 v5, s15, v3
	s_load_dword s15, s[8:9], 0x0
	s_add_u32 s8, s8, 4
	s_addc_u32 s9, s9, 0
	v_add_u32_e32 v5, v3, v5
	v_lshrrev_b32_e32 v5, s13, v5
	v_mul_lo_u32 v6, v5, s14
	s_add_i32 s12, s12, -1
	s_cmp_lg_u32 s12, 0
	v_sub_u32_e32 v3, v3, v6
	s_waitcnt lgkmcnt(0)
	v_mad_u64_u32 v[2:3], s[14:15], v3, s15, v[2:3]
	v_mov_b32_e32 v3, v5
	s_cbranch_scc1 .LBB39_247
.LBB39_248:
	s_mov_b64 s[8:9], 0
.LBB39_249:
	s_andn2_b64 vcc, exec, s[8:9]
	s_cbranch_vccnz .LBB39_252
; %bb.250:
	v_mul_hi_u32 v2, s17, v8
	s_andn2_b64 vcc, exec, s[60:61]
	v_add_u32_e32 v2, v8, v2
	v_lshrrev_b32_e32 v3, s18, v2
	v_mul_lo_u32 v2, v3, s16
	v_sub_u32_e32 v2, v8, v2
	s_waitcnt lgkmcnt(0)
	v_mul_lo_u32 v2, v2, s62
	s_cbranch_vccnz .LBB39_252
; %bb.251:
	v_mul_hi_u32 v5, s82, v3
	v_add_u32_e32 v5, v3, v5
	v_lshrrev_b32_e32 v5, s83, v5
	v_mul_lo_u32 v5, v5, s19
	v_sub_u32_e32 v3, v3, v5
	v_mad_u64_u32 v[2:3], s[8:9], v3, s63, v[2:3]
.LBB39_252:
	v_mov_b32_e32 v3, s59
	s_and_b32 s14, s93, 0xff
	v_add_co_u32_e32 v6, vcc, s58, v2
	s_cmp_lt_i32 s14, 11
	v_addc_co_u32_e32 v7, vcc, 0, v3, vcc
	s_cbranch_scc1 .LBB39_259
; %bb.253:
	s_and_b32 s15, 0xffff, s14
	s_cmp_gt_i32 s15, 25
	s_cbranch_scc0 .LBB39_260
; %bb.254:
	s_cmp_gt_i32 s15, 28
	s_cbranch_scc0 .LBB39_261
; %bb.255:
	;; [unrolled: 3-line block ×4, first 2 shown]
	s_mov_b64 s[12:13], 0
	s_mov_b64 s[8:9], -1
	s_cmp_eq_u32 s15, 46
	s_mov_b64 s[10:11], 0
	s_cbranch_scc0 .LBB39_264
; %bb.258:
	global_store_dword v[6:7], v12, off
	s_mov_b64 s[10:11], -1
	s_mov_b64 s[8:9], 0
	s_branch .LBB39_264
.LBB39_259:
	s_mov_b64 s[12:13], -1
	s_mov_b64 s[10:11], 0
	s_mov_b64 s[8:9], s[74:75]
	s_branch .LBB39_309
.LBB39_260:
	s_mov_b64 s[12:13], -1
	s_mov_b64 s[10:11], 0
	s_mov_b64 s[8:9], s[74:75]
	s_branch .LBB39_286
.LBB39_261:
	s_mov_b64 s[12:13], -1
	s_mov_b64 s[10:11], 0
	s_mov_b64 s[8:9], s[74:75]
	s_branch .LBB39_272
.LBB39_262:
	s_mov_b64 s[12:13], -1
	s_mov_b64 s[10:11], 0
	s_mov_b64 s[8:9], s[74:75]
	s_branch .LBB39_268
.LBB39_263:
	s_mov_b64 s[12:13], -1
	s_mov_b64 s[10:11], 0
	s_mov_b64 s[8:9], s[74:75]
.LBB39_264:
	s_and_b64 vcc, exec, s[12:13]
	s_cbranch_vccz .LBB39_267
; %bb.265:
	s_cmp_eq_u32 s15, 44
	s_mov_b64 s[8:9], -1
	s_cbranch_scc0 .LBB39_267
; %bb.266:
	v_mov_b32_e32 v2, 0xffff
	v_cndmask_b32_e64 v2, v15, v2, s[6:7]
	s_mov_b64 s[10:11], -1
	s_mov_b64 s[8:9], 0
	global_store_byte v[6:7], v2, off
.LBB39_267:
	s_mov_b64 s[12:13], 0
.LBB39_268:
	s_and_b64 vcc, exec, s[12:13]
	s_cbranch_vccz .LBB39_271
; %bb.269:
	s_cmp_eq_u32 s15, 29
	s_mov_b64 s[8:9], -1
	s_cbranch_scc0 .LBB39_271
; %bb.270:
	v_mov_b32_e32 v2, s22
	v_mov_b32_e32 v3, s23
	global_store_dwordx2 v[6:7], v[2:3], off
	s_mov_b64 s[10:11], -1
	s_mov_b64 s[8:9], 0
.LBB39_271:
	s_mov_b64 s[12:13], 0
.LBB39_272:
	s_and_b64 vcc, exec, s[12:13]
	s_cbranch_vccz .LBB39_285
; %bb.273:
	s_cmp_lt_i32 s15, 27
	s_mov_b64 s[10:11], -1
	s_cbranch_scc1 .LBB39_279
; %bb.274:
	s_cmp_gt_i32 s15, 27
	s_cbranch_scc0 .LBB39_276
; %bb.275:
	v_mov_b32_e32 v2, s84
	s_mov_b64 s[10:11], 0
	global_store_dword v[6:7], v2, off
.LBB39_276:
	s_andn2_b64 vcc, exec, s[10:11]
	s_cbranch_vccnz .LBB39_278
; %bb.277:
	v_mov_b32_e32 v2, s38
	global_store_short v[6:7], v2, off
.LBB39_278:
	s_mov_b64 s[10:11], 0
.LBB39_279:
	s_andn2_b64 vcc, exec, s[10:11]
	s_cbranch_vccnz .LBB39_284
; %bb.280:
	s_andn2_b64 vcc, exec, s[54:55]
	v_mov_b32_e32 v2, 0x80
	s_cbranch_vccnz .LBB39_283
; %bb.281:
	s_or_b64 s[10:11], s[2:3], s[56:57]
	s_andn2_b64 vcc, exec, s[10:11]
	v_mov_b32_e32 v2, 0
	s_cbranch_vccnz .LBB39_283
; %bb.282:
	v_mov_b32_e32 v2, s92
	v_cndmask_b32_e64 v2, v14, v2, s[2:3]
	v_or_b32_e32 v2, v2, v11
.LBB39_283:
	global_store_byte v[6:7], v2, off
.LBB39_284:
	s_mov_b64 s[10:11], -1
.LBB39_285:
	s_mov_b64 s[12:13], 0
.LBB39_286:
	s_and_b64 vcc, exec, s[12:13]
	s_cbranch_vccz .LBB39_308
; %bb.287:
	s_cmp_gt_i32 s15, 22
	s_mov_b64 s[12:13], -1
	s_cbranch_scc0 .LBB39_300
; %bb.288:
	s_cmp_lt_i32 s15, 24
	s_mov_b64 s[10:11], -1
	s_cbranch_scc1 .LBB39_297
; %bb.289:
	s_cmp_gt_i32 s15, 24
	s_cbranch_scc0 .LBB39_294
; %bb.290:
	s_andn2_b64 vcc, exec, s[50:51]
	v_mov_b32_e32 v2, 0x80
	s_cbranch_vccnz .LBB39_293
; %bb.291:
	s_or_b64 s[10:11], s[0:1], s[52:53]
	s_andn2_b64 vcc, exec, s[10:11]
	v_mov_b32_e32 v2, 0
	s_cbranch_vccnz .LBB39_293
; %bb.292:
	v_mov_b32_e32 v2, s90
	v_cndmask_b32_e64 v2, v13, v2, s[0:1]
	v_or_b32_e32 v2, v2, v11
.LBB39_293:
	s_mov_b64 s[10:11], 0
	global_store_byte v[6:7], v2, off
.LBB39_294:
	s_and_b64 vcc, exec, s[10:11]
	s_cbranch_vccz .LBB39_296
; %bb.295:
	s_and_b64 s[10:11], s[48:49], exec
	s_cselect_b32 s12, s89, s88
	s_and_b64 s[10:11], s[46:47], exec
	s_cselect_b32 s10, s91, s12
	v_or_b32_e32 v2, s10, v11
	global_store_byte v[6:7], v2, off
.LBB39_296:
	s_mov_b64 s[10:11], 0
.LBB39_297:
	s_andn2_b64 vcc, exec, s[10:11]
	s_cbranch_vccnz .LBB39_299
; %bb.298:
	s_and_b64 s[10:11], s[44:45], exec
	s_cselect_b32 s12, s86, s85
	s_and_b64 s[10:11], s[42:43], exec
	s_cselect_b32 s10, s87, s12
	v_or_b32_e32 v2, s10, v11
	global_store_byte v[6:7], v2, off
.LBB39_299:
	s_mov_b64 s[12:13], 0
	s_mov_b64 s[10:11], -1
.LBB39_300:
	s_andn2_b64 vcc, exec, s[12:13]
	s_cbranch_vccnz .LBB39_308
; %bb.301:
	s_cmp_gt_i32 s15, 14
	s_mov_b64 s[12:13], -1
	s_cbranch_scc0 .LBB39_305
; %bb.302:
	s_cmp_eq_u32 s15, 15
	s_mov_b64 s[8:9], -1
	s_cbranch_scc0 .LBB39_304
; %bb.303:
	global_store_short v[6:7], v12, off
	s_mov_b64 s[10:11], -1
	s_mov_b64 s[8:9], 0
.LBB39_304:
	s_mov_b64 s[12:13], 0
.LBB39_305:
	s_and_b64 vcc, exec, s[12:13]
	s_cbranch_vccz .LBB39_308
; %bb.306:
	s_cmp_eq_u32 s15, 11
	s_mov_b64 s[8:9], -1
	s_cbranch_scc0 .LBB39_308
; %bb.307:
	s_mov_b64 s[10:11], -1
	s_mov_b64 s[8:9], 0
	global_store_byte v[6:7], v10, off
.LBB39_308:
	s_mov_b64 s[12:13], 0
.LBB39_309:
	s_and_b64 vcc, exec, s[12:13]
	s_cbranch_vccz .LBB39_348
; %bb.310:
	s_and_b32 s12, 0xffff, s14
	s_cmp_lt_i32 s12, 5
	s_mov_b64 s[10:11], -1
	s_cbranch_scc1 .LBB39_331
; %bb.311:
	s_cmp_lt_i32 s12, 8
	s_cbranch_scc1 .LBB39_321
; %bb.312:
	s_cmp_lt_i32 s12, 9
	s_cbranch_scc1 .LBB39_318
; %bb.313:
	s_cmp_gt_i32 s12, 9
	s_cbranch_scc0 .LBB39_315
; %bb.314:
	v_mov_b32_e32 v2, 0
	v_mov_b32_e32 v3, v2
	s_mov_b64 s[10:11], 0
	global_store_dwordx4 v[6:7], v[0:3], off
.LBB39_315:
	s_andn2_b64 vcc, exec, s[10:11]
	s_cbranch_vccnz .LBB39_317
; %bb.316:
	v_mov_b32_e32 v5, 0
	global_store_dwordx2 v[6:7], v[4:5], off
.LBB39_317:
	s_mov_b64 s[10:11], 0
.LBB39_318:
	s_andn2_b64 vcc, exec, s[10:11]
	s_cbranch_vccnz .LBB39_320
; %bb.319:
	global_store_dword v[6:7], v9, off
.LBB39_320:
	s_mov_b64 s[10:11], 0
.LBB39_321:
	s_andn2_b64 vcc, exec, s[10:11]
	s_cbranch_vccnz .LBB39_330
; %bb.322:
	s_cmp_lt_i32 s12, 6
	s_mov_b64 s[10:11], -1
	s_cbranch_scc1 .LBB39_328
; %bb.323:
	s_cmp_gt_i32 s12, 6
	s_cbranch_scc0 .LBB39_325
; %bb.324:
	s_mov_b64 s[10:11], 0
	global_store_dwordx2 v[6:7], v[0:1], off
.LBB39_325:
	s_andn2_b64 vcc, exec, s[10:11]
	s_cbranch_vccnz .LBB39_327
; %bb.326:
	global_store_dword v[6:7], v4, off
.LBB39_327:
	s_mov_b64 s[10:11], 0
.LBB39_328:
	s_andn2_b64 vcc, exec, s[10:11]
	s_cbranch_vccnz .LBB39_330
; %bb.329:
	global_store_short v[6:7], v9, off
.LBB39_330:
	s_mov_b64 s[10:11], 0
.LBB39_331:
	s_andn2_b64 vcc, exec, s[10:11]
	s_cbranch_vccnz .LBB39_347
; %bb.332:
	s_cmp_lt_i32 s12, 2
	s_mov_b64 s[10:11], -1
	s_cbranch_scc1 .LBB39_342
; %bb.333:
	s_cmp_lt_i32 s12, 3
	s_cbranch_scc1 .LBB39_339
; %bb.334:
	s_cmp_gt_i32 s12, 3
	s_cbranch_scc0 .LBB39_336
; %bb.335:
	v_mov_b32_e32 v2, s22
	v_mov_b32_e32 v3, s23
	s_mov_b64 s[10:11], 0
	global_store_dwordx2 v[6:7], v[2:3], off
.LBB39_336:
	s_andn2_b64 vcc, exec, s[10:11]
	s_cbranch_vccnz .LBB39_338
; %bb.337:
	v_mov_b32_e32 v2, s84
	global_store_dword v[6:7], v2, off
.LBB39_338:
	s_mov_b64 s[10:11], 0
.LBB39_339:
	s_andn2_b64 vcc, exec, s[10:11]
	s_cbranch_vccnz .LBB39_341
; %bb.340:
	v_mov_b32_e32 v2, s38
	global_store_short v[6:7], v2, off
.LBB39_341:
	s_mov_b64 s[10:11], 0
.LBB39_342:
	s_andn2_b64 vcc, exec, s[10:11]
	s_cbranch_vccnz .LBB39_347
; %bb.343:
	s_cmp_gt_i32 s12, 0
	s_mov_b64 s[10:11], -1
	s_cbranch_scc0 .LBB39_345
; %bb.344:
	v_mov_b32_e32 v2, s38
	s_mov_b64 s[10:11], 0
	global_store_byte v[6:7], v2, off
.LBB39_345:
	s_andn2_b64 vcc, exec, s[10:11]
	s_cbranch_vccnz .LBB39_347
; %bb.346:
	v_mov_b32_e32 v2, s38
	global_store_byte v[6:7], v2, off
.LBB39_347:
	s_mov_b64 s[10:11], -1
.LBB39_348:
	s_andn2_b64 vcc, exec, s[10:11]
	s_cbranch_vccnz .LBB39_350
; %bb.349:
	v_add_u32_e32 v8, 0x80, v8
	s_mov_b64 s[10:11], -1
	s_branch .LBB39_351
.LBB39_350:
	s_mov_b64 s[10:11], 0
                                        ; implicit-def: $vgpr8
.LBB39_351:
	s_andn2_b64 s[12:13], s[74:75], exec
	s_and_b64 s[8:9], s[8:9], exec
	s_or_b64 s[80:81], s[12:13], s[8:9]
	s_orn2_b64 s[10:11], s[10:11], exec
.LBB39_352:
	s_or_b64 exec, exec, s[78:79]
	s_mov_b64 s[8:9], 0
	s_mov_b64 s[14:15], 0
                                        ; implicit-def: $sgpr20
                                        ; implicit-def: $vgpr6_vgpr7
	s_and_saveexec_b64 s[78:79], s[10:11]
	s_cbranch_execz .LBB39_424
; %bb.353:
	s_mov_b64 s[40:41], s[82:83]
	v_cmp_gt_i32_e32 vcc, s94, v8
	s_mov_b64 s[10:11], 0
	s_mov_b64 s[12:13], s[80:81]
                                        ; implicit-def: $sgpr20
                                        ; implicit-def: $vgpr6_vgpr7
	s_and_saveexec_b64 s[82:83], vcc
	s_cbranch_execz .LBB39_423
; %bb.354:
	s_andn2_b64 vcc, exec, s[34:35]
	s_cbranch_vccnz .LBB39_360
; %bb.355:
	s_andn2_b64 vcc, exec, s[68:69]
	s_cbranch_vccnz .LBB39_361
; %bb.356:
	s_add_i32 s95, s95, 1
	s_cmp_eq_u32 s39, 2
	s_cbranch_scc1 .LBB39_362
; %bb.357:
	s_mov_b64 vcc, s[22:23]
	s_and_b32 s64, s95, 28
	s_mov_b32 s65, 0
	v_mov_b32_e32 v2, 0
	s_mov_b64 s[68:69], s[28:29]
	v_mov_b32_e32 v3, v8
.LBB39_358:                             ; =>This Inner Loop Header: Depth=1
	s_load_dwordx8 s[8:15], s[68:69], 0x4
	s_load_dwordx4 s[20:23], s[68:69], 0x24
	s_load_dwordx4 s[24:27], s[66:67], 0x0
	s_add_u32 s68, s68, 48
	s_addc_u32 s69, s69, 0
	s_waitcnt lgkmcnt(0)
	v_mul_hi_u32 v5, s9, v3
	s_add_i32 s65, s65, 4
	s_add_u32 s66, s66, 16
	s_addc_u32 s67, s67, 0
	v_add_u32_e32 v5, v3, v5
	v_lshrrev_b32_e32 v5, s10, v5
	v_mul_lo_u32 v6, v5, s8
	v_mul_hi_u32 v7, s12, v5
	s_cmp_eq_u32 s64, s65
	v_sub_u32_e32 v3, v3, v6
	v_add_u32_e32 v6, v5, v7
	v_lshrrev_b32_e32 v6, s13, v6
	v_mul_lo_u32 v7, v3, s24
	v_mul_hi_u32 v3, s15, v6
	v_mul_lo_u32 v17, v6, s11
	v_add_u32_e32 v3, v6, v3
	v_lshrrev_b32_e32 v16, s20, v3
	v_mul_hi_u32 v3, s22, v16
	v_sub_u32_e32 v5, v5, v17
	v_mul_lo_u32 v17, v16, s14
	v_mul_lo_u32 v5, v5, s25
	v_add_u32_e32 v3, v16, v3
	v_lshrrev_b32_e32 v3, s23, v3
	v_mul_lo_u32 v18, v3, s21
	v_sub_u32_e32 v6, v6, v17
	v_mul_lo_u32 v6, v6, s26
	v_add3_u32 v2, v7, v2, v5
	v_sub_u32_e32 v16, v16, v18
	v_mul_lo_u32 v16, v16, s27
	v_add3_u32 v2, v6, v2, v16
	s_cbranch_scc0 .LBB39_358
; %bb.359:
	s_mov_b64 s[22:23], vcc
	s_branch .LBB39_363
.LBB39_360:
	s_mov_b64 s[8:9], -1
                                        ; implicit-def: $vgpr2
	s_branch .LBB39_367
.LBB39_361:
	v_mov_b32_e32 v2, 0
	s_branch .LBB39_366
.LBB39_362:
	v_mov_b32_e32 v2, 0
	s_mov_b32 s64, 0
	v_mov_b32_e32 v3, v8
.LBB39_363:
	s_and_b32 s12, s95, 3
	s_cmp_eq_u32 s12, 0
	s_cbranch_scc1 .LBB39_366
; %bb.364:
	s_lshl_b32 s8, s64, 2
	s_add_u32 s8, s28, s8
	s_addc_u32 s9, s29, 0
	s_add_u32 s8, s8, 0xc4
	s_addc_u32 s9, s9, 0
	s_mul_i32 s10, s64, 12
	s_add_u32 s10, s28, s10
	s_addc_u32 s11, s29, 0
.LBB39_365:                             ; =>This Inner Loop Header: Depth=1
	s_load_dwordx2 s[14:15], s[10:11], 0x4
	s_load_dword s13, s[10:11], 0xc
	s_add_u32 s10, s10, 12
	s_addc_u32 s11, s11, 0
	s_waitcnt lgkmcnt(0)
	v_mul_hi_u32 v5, s15, v3
	s_load_dword s15, s[8:9], 0x0
	s_add_u32 s8, s8, 4
	s_addc_u32 s9, s9, 0
	v_add_u32_e32 v5, v3, v5
	v_lshrrev_b32_e32 v5, s13, v5
	v_mul_lo_u32 v6, v5, s14
	s_add_i32 s12, s12, -1
	s_cmp_lg_u32 s12, 0
	v_sub_u32_e32 v3, v3, v6
	s_waitcnt lgkmcnt(0)
	v_mad_u64_u32 v[2:3], s[14:15], v3, s15, v[2:3]
	v_mov_b32_e32 v3, v5
	s_cbranch_scc1 .LBB39_365
.LBB39_366:
	s_mov_b64 s[8:9], 0
.LBB39_367:
	s_andn2_b64 vcc, exec, s[8:9]
	s_cbranch_vccnz .LBB39_370
; %bb.368:
	v_mul_hi_u32 v2, s17, v8
	s_andn2_b64 vcc, exec, s[60:61]
	v_add_u32_e32 v2, v8, v2
	v_lshrrev_b32_e32 v3, s18, v2
	v_mul_lo_u32 v2, v3, s16
	v_sub_u32_e32 v2, v8, v2
	s_waitcnt lgkmcnt(0)
	v_mul_lo_u32 v2, v2, s62
	s_cbranch_vccnz .LBB39_370
; %bb.369:
	v_mul_hi_u32 v5, s40, v3
	v_add_u32_e32 v5, v3, v5
	v_lshrrev_b32_e32 v5, s41, v5
	v_mul_lo_u32 v5, v5, s19
	v_sub_u32_e32 v3, v3, v5
	v_mad_u64_u32 v[2:3], s[8:9], v3, s63, v[2:3]
.LBB39_370:
	v_mov_b32_e32 v3, s59
	s_and_b32 s20, s93, 0xff
	v_add_co_u32_e32 v6, vcc, s58, v2
	s_cmp_lt_i32 s20, 11
	v_addc_co_u32_e32 v7, vcc, 0, v3, vcc
	s_cbranch_scc1 .LBB39_420
; %bb.371:
	s_and_b32 s12, 0xffff, s20
	s_mov_b64 s[10:11], -1
	s_cmp_gt_i32 s12, 25
	s_mov_b64 s[8:9], s[80:81]
	s_cbranch_scc0 .LBB39_399
; %bb.372:
	s_cmp_gt_i32 s12, 28
	s_mov_b64 s[8:9], s[80:81]
	s_cbranch_scc0 .LBB39_386
; %bb.373:
	;; [unrolled: 4-line block ×4, first 2 shown]
	s_cmp_eq_u32 s12, 46
	s_mov_b64 s[8:9], -1
	s_cbranch_scc0 .LBB39_377
; %bb.376:
	global_store_dword v[6:7], v12, off
	s_mov_b64 s[8:9], 0
.LBB39_377:
	s_mov_b64 s[10:11], 0
.LBB39_378:
	s_and_b64 vcc, exec, s[10:11]
	s_cbranch_vccz .LBB39_381
; %bb.379:
	s_cmp_eq_u32 s12, 44
	s_mov_b64 s[8:9], -1
	s_cbranch_scc0 .LBB39_381
; %bb.380:
	v_mov_b32_e32 v2, 0xffff
	v_cndmask_b32_e64 v2, v15, v2, s[6:7]
	global_store_byte v[6:7], v2, off
	s_mov_b64 s[8:9], 0
.LBB39_381:
	s_mov_b64 s[10:11], 0
.LBB39_382:
	s_and_b64 vcc, exec, s[10:11]
	s_cbranch_vccz .LBB39_385
; %bb.383:
	s_cmp_eq_u32 s12, 29
	s_mov_b64 s[8:9], -1
	s_cbranch_scc0 .LBB39_385
; %bb.384:
	v_mov_b32_e32 v2, s22
	v_mov_b32_e32 v3, s23
	global_store_dwordx2 v[6:7], v[2:3], off
	s_mov_b64 s[8:9], 0
.LBB39_385:
	s_mov_b64 s[10:11], 0
.LBB39_386:
	s_and_b64 vcc, exec, s[10:11]
	s_cbranch_vccz .LBB39_398
; %bb.387:
	s_cmp_lt_i32 s12, 27
	s_mov_b64 s[6:7], -1
	s_cbranch_scc1 .LBB39_393
; %bb.388:
	s_cmp_gt_i32 s12, 27
	s_cbranch_scc0 .LBB39_390
; %bb.389:
	v_mov_b32_e32 v2, s84
	s_mov_b64 s[6:7], 0
	global_store_dword v[6:7], v2, off
.LBB39_390:
	s_andn2_b64 vcc, exec, s[6:7]
	s_cbranch_vccnz .LBB39_392
; %bb.391:
	v_mov_b32_e32 v2, s38
	global_store_short v[6:7], v2, off
.LBB39_392:
	s_mov_b64 s[6:7], 0
.LBB39_393:
	s_andn2_b64 vcc, exec, s[6:7]
	s_cbranch_vccnz .LBB39_398
; %bb.394:
	s_andn2_b64 vcc, exec, s[54:55]
	v_mov_b32_e32 v2, 0x80
	s_cbranch_vccnz .LBB39_397
; %bb.395:
	s_or_b64 s[6:7], s[2:3], s[56:57]
	s_andn2_b64 vcc, exec, s[6:7]
	v_mov_b32_e32 v2, 0
	s_cbranch_vccnz .LBB39_397
; %bb.396:
	v_mov_b32_e32 v2, s92
	v_cndmask_b32_e64 v2, v14, v2, s[2:3]
	v_or_b32_e32 v2, v2, v11
.LBB39_397:
	global_store_byte v[6:7], v2, off
.LBB39_398:
	s_mov_b64 s[10:11], 0
.LBB39_399:
	s_mov_b64 s[2:3], 0
	s_and_b64 vcc, exec, s[10:11]
	s_cbranch_vccz .LBB39_421
; %bb.400:
	s_cmp_gt_i32 s12, 22
	s_mov_b64 s[6:7], -1
	s_cbranch_scc0 .LBB39_413
; %bb.401:
	s_cmp_lt_i32 s12, 24
	s_cbranch_scc1 .LBB39_410
; %bb.402:
	s_cmp_gt_i32 s12, 24
	s_cbranch_scc0 .LBB39_407
; %bb.403:
	s_andn2_b64 vcc, exec, s[50:51]
	v_mov_b32_e32 v2, 0x80
	s_cbranch_vccnz .LBB39_406
; %bb.404:
	s_or_b64 s[6:7], s[0:1], s[52:53]
	s_andn2_b64 vcc, exec, s[6:7]
	v_mov_b32_e32 v2, 0
	s_cbranch_vccnz .LBB39_406
; %bb.405:
	v_mov_b32_e32 v2, s90
	v_cndmask_b32_e64 v2, v13, v2, s[0:1]
	v_or_b32_e32 v2, v2, v11
.LBB39_406:
	s_mov_b64 s[6:7], 0
	global_store_byte v[6:7], v2, off
.LBB39_407:
	s_and_b64 vcc, exec, s[6:7]
	s_cbranch_vccz .LBB39_409
; %bb.408:
	s_and_b64 s[0:1], s[48:49], exec
	s_cselect_b32 s6, s89, s88
	s_and_b64 s[0:1], s[46:47], exec
	s_cselect_b32 s0, s91, s6
	v_or_b32_e32 v2, s0, v11
	global_store_byte v[6:7], v2, off
.LBB39_409:
	s_mov_b64 s[6:7], 0
.LBB39_410:
	s_andn2_b64 vcc, exec, s[6:7]
	s_cbranch_vccnz .LBB39_412
; %bb.411:
	s_and_b64 s[0:1], s[44:45], exec
	s_cselect_b32 s6, s86, s85
	s_and_b64 s[0:1], s[42:43], exec
	s_cselect_b32 s0, s87, s6
	v_or_b32_e32 v2, s0, v11
	global_store_byte v[6:7], v2, off
.LBB39_412:
	s_mov_b64 s[6:7], 0
.LBB39_413:
	s_andn2_b64 vcc, exec, s[6:7]
	s_mov_b64 s[0:1], 0
	s_cbranch_vccnz .LBB39_422
; %bb.414:
	s_cmp_gt_i32 s12, 14
	s_mov_b64 s[6:7], -1
	s_cbranch_scc0 .LBB39_418
; %bb.415:
	s_cmp_eq_u32 s12, 15
	s_mov_b64 s[8:9], -1
	s_cbranch_scc0 .LBB39_417
; %bb.416:
	global_store_short v[6:7], v12, off
	s_mov_b64 s[8:9], 0
.LBB39_417:
	s_mov_b64 s[6:7], 0
.LBB39_418:
	s_and_b64 vcc, exec, s[6:7]
	s_cbranch_vccz .LBB39_422
; %bb.419:
	s_cmp_lg_u32 s12, 11
	s_cselect_b64 s[6:7], -1, 0
	s_andn2_b64 s[8:9], s[8:9], exec
	s_and_b64 s[6:7], s[6:7], exec
	s_mov_b64 s[0:1], -1
	s_or_b64 s[8:9], s[8:9], s[6:7]
	s_branch .LBB39_422
.LBB39_420:
	s_mov_b64 s[0:1], 0
	s_mov_b64 s[2:3], -1
	s_mov_b64 s[8:9], s[80:81]
	s_branch .LBB39_422
.LBB39_421:
	s_mov_b64 s[0:1], 0
.LBB39_422:
	s_and_b64 s[14:15], s[2:3], exec
	s_and_b64 s[10:11], s[0:1], exec
	s_andn2_b64 s[0:1], s[80:81], exec
	s_and_b64 s[2:3], s[8:9], exec
	s_or_b64 s[12:13], s[0:1], s[2:3]
.LBB39_423:
	s_or_b64 exec, exec, s[82:83]
	s_andn2_b64 s[0:1], s[80:81], exec
	s_and_b64 s[2:3], s[12:13], exec
	s_and_b64 s[14:15], s[14:15], exec
	;; [unrolled: 1-line block ×3, first 2 shown]
	s_or_b64 s[80:81], s[0:1], s[2:3]
.LBB39_424:
	s_or_b64 exec, exec, s[78:79]
	s_andn2_b64 s[0:1], s[74:75], exec
	s_and_b64 s[2:3], s[80:81], exec
	s_and_b64 s[12:13], s[14:15], exec
	;; [unrolled: 1-line block ×3, first 2 shown]
	s_or_b64 s[74:75], s[0:1], s[2:3]
.LBB39_425:
	s_or_b64 exec, exec, s[76:77]
	s_andn2_b64 s[0:1], s[70:71], exec
	s_and_b64 s[2:3], s[74:75], exec
	s_and_b64 s[8:9], s[12:13], exec
	;; [unrolled: 1-line block ×3, first 2 shown]
	s_or_b64 s[70:71], s[0:1], s[2:3]
	s_or_b64 exec, exec, s[72:73]
	s_mov_b64 s[0:1], 0
	s_and_saveexec_b64 s[2:3], s[70:71]
	s_cbranch_execz .LBB39_124
.LBB39_426:
	s_mov_b64 s[0:1], exec
	s_andn2_b64 s[76:77], s[76:77], exec
	s_trap 2
	s_or_b64 exec, exec, s[2:3]
	s_and_saveexec_b64 s[2:3], s[76:77]
	s_xor_b64 s[2:3], exec, s[2:3]
	s_cbranch_execnz .LBB39_125
.LBB39_427:
	s_or_b64 exec, exec, s[2:3]
	s_and_saveexec_b64 s[2:3], s[8:9]
	s_xor_b64 s[2:3], exec, s[2:3]
	s_cbranch_execz .LBB39_465
.LBB39_428:
	s_sext_i32_i16 s8, s20
	s_cmp_lt_i32 s8, 5
	s_mov_b64 s[6:7], -1
	s_cbranch_scc1 .LBB39_449
; %bb.429:
	s_cmp_lt_i32 s8, 8
	s_cbranch_scc1 .LBB39_439
; %bb.430:
	s_cmp_lt_i32 s8, 9
	s_cbranch_scc1 .LBB39_436
; %bb.431:
	s_cmp_gt_i32 s8, 9
	s_cbranch_scc0 .LBB39_433
; %bb.432:
	v_mov_b32_e32 v2, 0
	v_mov_b32_e32 v3, v2
	s_mov_b64 s[6:7], 0
	global_store_dwordx4 v[6:7], v[0:3], off
.LBB39_433:
	s_andn2_b64 vcc, exec, s[6:7]
	s_cbranch_vccnz .LBB39_435
; %bb.434:
	v_mov_b32_e32 v5, 0
	global_store_dwordx2 v[6:7], v[4:5], off
.LBB39_435:
	s_mov_b64 s[6:7], 0
.LBB39_436:
	s_andn2_b64 vcc, exec, s[6:7]
	s_cbranch_vccnz .LBB39_438
; %bb.437:
	global_store_dword v[6:7], v9, off
.LBB39_438:
	s_mov_b64 s[6:7], 0
.LBB39_439:
	s_andn2_b64 vcc, exec, s[6:7]
	s_cbranch_vccnz .LBB39_448
; %bb.440:
	s_sext_i32_i16 s8, s20
	s_cmp_lt_i32 s8, 6
	s_mov_b64 s[6:7], -1
	s_cbranch_scc1 .LBB39_446
; %bb.441:
	s_cmp_gt_i32 s8, 6
	s_cbranch_scc0 .LBB39_443
; %bb.442:
	s_mov_b64 s[6:7], 0
	global_store_dwordx2 v[6:7], v[0:1], off
.LBB39_443:
	s_andn2_b64 vcc, exec, s[6:7]
	s_cbranch_vccnz .LBB39_445
; %bb.444:
	global_store_dword v[6:7], v4, off
.LBB39_445:
	s_mov_b64 s[6:7], 0
.LBB39_446:
	s_andn2_b64 vcc, exec, s[6:7]
	s_cbranch_vccnz .LBB39_448
; %bb.447:
	global_store_short v[6:7], v9, off
.LBB39_448:
	s_mov_b64 s[6:7], 0
.LBB39_449:
	s_andn2_b64 vcc, exec, s[6:7]
	s_cbranch_vccnz .LBB39_465
; %bb.450:
	s_sext_i32_i16 s8, s20
	s_cmp_lt_i32 s8, 2
	s_mov_b64 s[6:7], -1
	s_cbranch_scc1 .LBB39_460
; %bb.451:
	s_cmp_lt_i32 s8, 3
	s_cbranch_scc1 .LBB39_457
; %bb.452:
	s_cmp_gt_i32 s8, 3
	s_cbranch_scc0 .LBB39_454
; %bb.453:
	v_mov_b32_e32 v0, s22
	v_mov_b32_e32 v1, s23
	s_mov_b64 s[6:7], 0
	global_store_dwordx2 v[6:7], v[0:1], off
.LBB39_454:
	s_andn2_b64 vcc, exec, s[6:7]
	s_cbranch_vccnz .LBB39_456
; %bb.455:
	v_mov_b32_e32 v0, s84
	global_store_dword v[6:7], v0, off
.LBB39_456:
	s_mov_b64 s[6:7], 0
.LBB39_457:
	s_andn2_b64 vcc, exec, s[6:7]
	s_cbranch_vccnz .LBB39_459
; %bb.458:
	v_mov_b32_e32 v0, s38
	global_store_short v[6:7], v0, off
.LBB39_459:
	s_mov_b64 s[6:7], 0
.LBB39_460:
	s_andn2_b64 vcc, exec, s[6:7]
	s_cbranch_vccnz .LBB39_465
; %bb.461:
	s_sext_i32_i16 s6, s20
	s_cmp_gt_i32 s6, 0
	s_mov_b64 s[6:7], -1
	s_cbranch_scc0 .LBB39_463
; %bb.462:
	v_mov_b32_e32 v0, s38
	s_mov_b64 s[6:7], 0
	global_store_byte v[6:7], v0, off
.LBB39_463:
	s_andn2_b64 vcc, exec, s[6:7]
	s_cbranch_vccnz .LBB39_465
; %bb.464:
	v_mov_b32_e32 v0, s38
	global_store_byte v[6:7], v0, off
.LBB39_465:
	s_or_b64 exec, exec, s[2:3]
	s_and_b64 s[6:7], s[0:1], exec
                                        ; implicit-def: $vgpr9
                                        ; implicit-def: $vgpr8
.LBB39_466:
	s_or_saveexec_b64 s[24:25], s[36:37]
	s_mov_b64 s[2:3], 0
                                        ; implicit-def: $sgpr15
                                        ; implicit-def: $vgpr0_vgpr1
                                        ; implicit-def: $sgpr14
	s_xor_b64 exec, exec, s[24:25]
	s_cbranch_execz .LBB39_949
; %bb.467:
	v_cndmask_b32_e64 v0, 0, 1, s[34:35]
	v_cmp_ne_u32_e64 s[0:1], 1, v0
	s_andn2_b64 vcc, exec, s[34:35]
	s_cbranch_vccnz .LBB39_473
; %bb.468:
	s_cmp_lg_u32 s33, 0
	s_mov_b32 s30, 0
	s_cbranch_scc0 .LBB39_474
; %bb.469:
	s_min_u32 s31, s39, 15
	s_add_i32 s31, s31, 1
	s_cmp_eq_u32 s39, 2
	s_cbranch_scc1 .LBB39_475
; %bb.470:
	s_and_b32 s30, s31, 28
	s_add_u32 s2, s28, 0xc4
	s_addc_u32 s3, s29, 0
	s_mov_b32 s34, 0
	v_mov_b32_e32 v6, 0
	s_mov_b64 s[26:27], s[28:29]
	v_mov_b32_e32 v0, v8
.LBB39_471:                             ; =>This Inner Loop Header: Depth=1
	s_load_dwordx8 s[8:15], s[26:27], 0x4
	s_load_dwordx4 s[16:19], s[26:27], 0x24
	s_load_dwordx4 s[20:23], s[2:3], 0x0
	s_add_u32 s26, s26, 48
	s_addc_u32 s27, s27, 0
	s_waitcnt lgkmcnt(0)
	v_mul_hi_u32 v1, s9, v0
	s_add_i32 s34, s34, 4
	s_add_u32 s2, s2, 16
	s_addc_u32 s3, s3, 0
	v_add_u32_e32 v1, v0, v1
	v_lshrrev_b32_e32 v1, s10, v1
	v_mul_lo_u32 v2, v1, s8
	v_mul_hi_u32 v3, s12, v1
	s_cmp_lg_u32 s30, s34
	v_sub_u32_e32 v0, v0, v2
	v_add_u32_e32 v2, v1, v3
	v_lshrrev_b32_e32 v2, s13, v2
	v_mul_lo_u32 v3, v0, s20
	v_mul_hi_u32 v0, s15, v2
	v_mul_lo_u32 v5, v2, s11
	v_add_u32_e32 v0, v2, v0
	v_lshrrev_b32_e32 v4, s16, v0
	v_mul_hi_u32 v0, s18, v4
	v_sub_u32_e32 v1, v1, v5
	v_mul_lo_u32 v5, v4, s14
	v_mul_lo_u32 v1, v1, s21
	v_add_u32_e32 v0, v4, v0
	v_lshrrev_b32_e32 v0, s19, v0
	v_mul_lo_u32 v7, v0, s17
	v_sub_u32_e32 v2, v2, v5
	v_mul_lo_u32 v2, v2, s22
	v_add3_u32 v1, v3, v6, v1
	v_sub_u32_e32 v4, v4, v7
	v_mul_lo_u32 v4, v4, s23
	v_add3_u32 v6, v2, v1, v4
	s_cbranch_scc1 .LBB39_471
; %bb.472:
	s_and_b32 s10, s31, 3
	s_cmp_eq_u32 s10, 0
	s_cbranch_scc0 .LBB39_476
	s_branch .LBB39_478
.LBB39_473:
                                        ; implicit-def: $vgpr6
	s_branch .LBB39_479
.LBB39_474:
	v_mov_b32_e32 v6, 0
	s_branch .LBB39_478
.LBB39_475:
	v_mov_b32_e32 v6, 0
	v_mov_b32_e32 v0, v8
	s_and_b32 s10, s31, 3
	s_cmp_eq_u32 s10, 0
	s_cbranch_scc1 .LBB39_478
.LBB39_476:
	s_lshl_b32 s2, s30, 2
	s_add_u32 s2, s28, s2
	s_addc_u32 s3, s29, 0
	s_add_u32 s2, s2, 0xc4
	s_addc_u32 s3, s3, 0
	s_mul_i32 s8, s30, 12
	s_add_u32 s8, s28, s8
	s_addc_u32 s9, s29, 0
.LBB39_477:                             ; =>This Inner Loop Header: Depth=1
	s_load_dwordx2 s[12:13], s[8:9], 0x4
	s_load_dword s11, s[8:9], 0xc
	s_add_u32 s8, s8, 12
	s_addc_u32 s9, s9, 0
	s_waitcnt lgkmcnt(0)
	v_mul_hi_u32 v1, s13, v0
	s_load_dword s13, s[2:3], 0x0
	s_add_u32 s2, s2, 4
	s_addc_u32 s3, s3, 0
	v_add_u32_e32 v1, v0, v1
	v_lshrrev_b32_e32 v1, s11, v1
	v_mul_lo_u32 v2, v1, s12
	s_add_i32 s10, s10, -1
	s_cmp_lg_u32 s10, 0
	v_sub_u32_e32 v0, v0, v2
	s_waitcnt lgkmcnt(0)
	v_mad_u64_u32 v[6:7], s[12:13], v0, s13, v[6:7]
	v_mov_b32_e32 v0, v1
	s_cbranch_scc1 .LBB39_477
.LBB39_478:
	s_cbranch_execnz .LBB39_481
.LBB39_479:
	s_load_dwordx4 s[8:11], s[28:29], 0x4
	s_load_dword s2, s[28:29], 0xc4
	s_cmp_lt_u32 s33, 2
	s_waitcnt lgkmcnt(0)
	v_mul_hi_u32 v0, s9, v8
	v_add_u32_e32 v0, v8, v0
	v_lshrrev_b32_e32 v0, s10, v0
	v_mul_lo_u32 v1, v0, s8
	v_sub_u32_e32 v1, v8, v1
	v_mul_lo_u32 v6, v1, s2
	s_cbranch_scc1 .LBB39_481
; %bb.480:
	s_load_dwordx4 s[8:11], s[28:29], 0x10
	s_load_dword s2, s[28:29], 0xc8
	s_waitcnt lgkmcnt(0)
	v_mul_hi_u32 v1, s9, v0
	v_add_u32_e32 v1, v0, v1
	v_lshrrev_b32_e32 v1, s10, v1
	v_mul_lo_u32 v1, v1, s8
	v_sub_u32_e32 v0, v0, v1
	v_mad_u64_u32 v[6:7], s[2:3], v0, s2, v[6:7]
.LBB39_481:
	s_and_b64 vcc, exec, s[0:1]
	v_add_u32_e32 v0, 0x80, v8
	s_cbranch_vccnz .LBB39_487
; %bb.482:
	s_cmp_lg_u32 s33, 0
	s_mov_b32 s30, 0
	s_cbranch_scc0 .LBB39_488
; %bb.483:
	s_min_u32 s31, s39, 15
	s_add_i32 s31, s31, 1
	s_cmp_eq_u32 s39, 2
	s_cbranch_scc1 .LBB39_489
; %bb.484:
	s_and_b32 s30, s31, 28
	s_add_u32 s2, s28, 0xc4
	s_addc_u32 s3, s29, 0
	s_mov_b32 s34, 0
	v_mov_b32_e32 v4, 0
	s_mov_b64 s[26:27], s[28:29]
	v_mov_b32_e32 v1, v0
.LBB39_485:                             ; =>This Inner Loop Header: Depth=1
	s_load_dwordx8 s[8:15], s[26:27], 0x4
	s_load_dwordx4 s[16:19], s[26:27], 0x24
	s_load_dwordx4 s[20:23], s[2:3], 0x0
	s_add_u32 s26, s26, 48
	s_addc_u32 s27, s27, 0
	s_waitcnt lgkmcnt(0)
	v_mul_hi_u32 v2, s9, v1
	s_add_i32 s34, s34, 4
	s_add_u32 s2, s2, 16
	s_addc_u32 s3, s3, 0
	v_add_u32_e32 v2, v1, v2
	v_lshrrev_b32_e32 v2, s10, v2
	v_mul_lo_u32 v3, v2, s8
	v_mul_hi_u32 v5, s12, v2
	s_cmp_lg_u32 s30, s34
	v_sub_u32_e32 v1, v1, v3
	v_add_u32_e32 v3, v2, v5
	v_lshrrev_b32_e32 v3, s13, v3
	v_mul_lo_u32 v5, v1, s20
	v_mul_hi_u32 v1, s15, v3
	v_mul_lo_u32 v10, v3, s11
	v_add_u32_e32 v1, v3, v1
	v_lshrrev_b32_e32 v7, s16, v1
	v_mul_hi_u32 v1, s18, v7
	v_sub_u32_e32 v2, v2, v10
	v_mul_lo_u32 v10, v7, s14
	v_mul_lo_u32 v2, v2, s21
	v_add_u32_e32 v1, v7, v1
	v_lshrrev_b32_e32 v1, s19, v1
	v_mul_lo_u32 v11, v1, s17
	v_sub_u32_e32 v3, v3, v10
	v_mul_lo_u32 v3, v3, s22
	v_add3_u32 v2, v5, v4, v2
	v_sub_u32_e32 v7, v7, v11
	v_mul_lo_u32 v7, v7, s23
	v_add3_u32 v4, v3, v2, v7
	s_cbranch_scc1 .LBB39_485
; %bb.486:
	s_and_b32 s10, s31, 3
	s_cmp_eq_u32 s10, 0
	s_cbranch_scc0 .LBB39_490
	s_branch .LBB39_492
.LBB39_487:
                                        ; implicit-def: $vgpr4
	s_branch .LBB39_493
.LBB39_488:
	v_mov_b32_e32 v4, 0
	s_branch .LBB39_492
.LBB39_489:
	v_mov_b32_e32 v4, 0
	v_mov_b32_e32 v1, v0
	s_and_b32 s10, s31, 3
	s_cmp_eq_u32 s10, 0
	s_cbranch_scc1 .LBB39_492
.LBB39_490:
	s_lshl_b32 s2, s30, 2
	s_add_u32 s2, s28, s2
	s_addc_u32 s3, s29, 0
	s_add_u32 s2, s2, 0xc4
	s_addc_u32 s3, s3, 0
	s_mul_i32 s8, s30, 12
	s_add_u32 s8, s28, s8
	s_addc_u32 s9, s29, 0
.LBB39_491:                             ; =>This Inner Loop Header: Depth=1
	s_load_dwordx2 s[12:13], s[8:9], 0x4
	s_load_dword s11, s[8:9], 0xc
	s_add_u32 s8, s8, 12
	s_addc_u32 s9, s9, 0
	s_waitcnt lgkmcnt(0)
	v_mul_hi_u32 v2, s13, v1
	s_load_dword s13, s[2:3], 0x0
	s_add_u32 s2, s2, 4
	s_addc_u32 s3, s3, 0
	v_add_u32_e32 v2, v1, v2
	v_lshrrev_b32_e32 v2, s11, v2
	v_mul_lo_u32 v3, v2, s12
	s_add_i32 s10, s10, -1
	s_cmp_lg_u32 s10, 0
	v_sub_u32_e32 v1, v1, v3
	s_waitcnt lgkmcnt(0)
	v_mad_u64_u32 v[4:5], s[12:13], v1, s13, v[4:5]
	v_mov_b32_e32 v1, v2
	s_cbranch_scc1 .LBB39_491
.LBB39_492:
	s_cbranch_execnz .LBB39_495
.LBB39_493:
	s_load_dwordx4 s[8:11], s[28:29], 0x4
	s_load_dword s2, s[28:29], 0xc4
	s_cmp_lt_u32 s33, 2
	s_waitcnt lgkmcnt(0)
	v_mul_hi_u32 v1, s9, v0
	v_add_u32_e32 v1, v0, v1
	v_lshrrev_b32_e32 v1, s10, v1
	v_mul_lo_u32 v2, v1, s8
	v_sub_u32_e32 v0, v0, v2
	v_mul_lo_u32 v4, v0, s2
	s_cbranch_scc1 .LBB39_495
; %bb.494:
	s_load_dwordx4 s[8:11], s[28:29], 0x10
	s_load_dword s2, s[28:29], 0xc8
	s_waitcnt lgkmcnt(0)
	v_mul_hi_u32 v0, s9, v1
	v_add_u32_e32 v0, v1, v0
	v_lshrrev_b32_e32 v0, s10, v0
	v_mul_lo_u32 v0, v0, s8
	v_sub_u32_e32 v0, v1, v0
	v_mad_u64_u32 v[4:5], s[2:3], v0, s2, v[4:5]
.LBB39_495:
	s_and_b64 vcc, exec, s[0:1]
	v_add_u32_e32 v0, 0x100, v8
	s_cbranch_vccnz .LBB39_501
; %bb.496:
	s_cmp_lg_u32 s33, 0
	s_mov_b32 s30, 0
	s_cbranch_scc0 .LBB39_502
; %bb.497:
	s_min_u32 s31, s39, 15
	s_add_i32 s31, s31, 1
	s_cmp_eq_u32 s39, 2
	s_cbranch_scc1 .LBB39_503
; %bb.498:
	s_and_b32 s30, s31, 28
	s_add_u32 s2, s28, 0xc4
	s_addc_u32 s3, s29, 0
	s_mov_b32 s34, 0
	v_mov_b32_e32 v2, 0
	s_mov_b64 s[26:27], s[28:29]
	v_mov_b32_e32 v1, v0
.LBB39_499:                             ; =>This Inner Loop Header: Depth=1
	s_load_dwordx8 s[8:15], s[26:27], 0x4
	s_load_dwordx4 s[16:19], s[26:27], 0x24
	s_load_dwordx4 s[20:23], s[2:3], 0x0
	s_add_u32 s26, s26, 48
	s_addc_u32 s27, s27, 0
	s_waitcnt lgkmcnt(0)
	v_mul_hi_u32 v3, s9, v1
	s_add_i32 s34, s34, 4
	s_add_u32 s2, s2, 16
	s_addc_u32 s3, s3, 0
	v_add_u32_e32 v3, v1, v3
	v_lshrrev_b32_e32 v3, s10, v3
	v_mul_lo_u32 v5, v3, s8
	v_mul_hi_u32 v7, s12, v3
	s_cmp_lg_u32 s30, s34
	v_sub_u32_e32 v1, v1, v5
	v_add_u32_e32 v5, v3, v7
	v_lshrrev_b32_e32 v5, s13, v5
	v_mul_lo_u32 v7, v1, s20
	v_mul_hi_u32 v1, s15, v5
	v_mul_lo_u32 v10, v5, s11
	v_add_u32_e32 v1, v5, v1
	v_lshrrev_b32_e32 v8, s16, v1
	v_mul_hi_u32 v1, s18, v8
	v_sub_u32_e32 v3, v3, v10
	v_mul_lo_u32 v10, v8, s14
	v_mul_lo_u32 v3, v3, s21
	v_add_u32_e32 v1, v8, v1
	v_lshrrev_b32_e32 v1, s19, v1
	v_mul_lo_u32 v11, v1, s17
	v_sub_u32_e32 v5, v5, v10
	v_mul_lo_u32 v5, v5, s22
	v_add3_u32 v2, v7, v2, v3
	v_sub_u32_e32 v8, v8, v11
	v_mul_lo_u32 v8, v8, s23
	v_add3_u32 v2, v5, v2, v8
	s_cbranch_scc1 .LBB39_499
; %bb.500:
	s_and_b32 s10, s31, 3
	s_cmp_eq_u32 s10, 0
	s_cbranch_scc0 .LBB39_504
	s_branch .LBB39_506
.LBB39_501:
                                        ; implicit-def: $vgpr2
	s_branch .LBB39_507
.LBB39_502:
	v_mov_b32_e32 v2, 0
	s_branch .LBB39_506
.LBB39_503:
	v_mov_b32_e32 v2, 0
	v_mov_b32_e32 v1, v0
	s_and_b32 s10, s31, 3
	s_cmp_eq_u32 s10, 0
	s_cbranch_scc1 .LBB39_506
.LBB39_504:
	s_lshl_b32 s2, s30, 2
	s_add_u32 s2, s28, s2
	s_addc_u32 s3, s29, 0
	s_add_u32 s2, s2, 0xc4
	s_addc_u32 s3, s3, 0
	s_mul_i32 s8, s30, 12
	s_add_u32 s8, s28, s8
	s_addc_u32 s9, s29, 0
.LBB39_505:                             ; =>This Inner Loop Header: Depth=1
	s_load_dwordx2 s[12:13], s[8:9], 0x4
	s_load_dword s11, s[8:9], 0xc
	s_add_u32 s8, s8, 12
	s_addc_u32 s9, s9, 0
	s_waitcnt lgkmcnt(0)
	v_mul_hi_u32 v3, s13, v1
	s_load_dword s13, s[2:3], 0x0
	s_add_u32 s2, s2, 4
	s_addc_u32 s3, s3, 0
	v_add_u32_e32 v3, v1, v3
	v_lshrrev_b32_e32 v5, s11, v3
	v_mul_lo_u32 v3, v5, s12
	s_add_i32 s10, s10, -1
	s_cmp_lg_u32 s10, 0
	v_sub_u32_e32 v1, v1, v3
	s_waitcnt lgkmcnt(0)
	v_mad_u64_u32 v[2:3], s[12:13], v1, s13, v[2:3]
	v_mov_b32_e32 v1, v5
	s_cbranch_scc1 .LBB39_505
.LBB39_506:
	s_cbranch_execnz .LBB39_509
.LBB39_507:
	s_load_dwordx4 s[8:11], s[28:29], 0x4
	s_load_dword s2, s[28:29], 0xc4
	s_cmp_lt_u32 s33, 2
	s_waitcnt lgkmcnt(0)
	v_mul_hi_u32 v1, s9, v0
	v_add_u32_e32 v1, v0, v1
	v_lshrrev_b32_e32 v1, s10, v1
	v_mul_lo_u32 v2, v1, s8
	v_sub_u32_e32 v0, v0, v2
	v_mul_lo_u32 v2, v0, s2
	s_cbranch_scc1 .LBB39_509
; %bb.508:
	s_load_dwordx4 s[8:11], s[28:29], 0x10
	s_load_dword s2, s[28:29], 0xc8
	s_waitcnt lgkmcnt(0)
	v_mul_hi_u32 v0, s9, v1
	v_add_u32_e32 v0, v1, v0
	v_lshrrev_b32_e32 v0, s10, v0
	v_mul_lo_u32 v0, v0, s8
	v_sub_u32_e32 v0, v1, v0
	v_mad_u64_u32 v[2:3], s[2:3], v0, s2, v[2:3]
.LBB39_509:
	s_and_b64 vcc, exec, s[0:1]
	s_cbranch_vccnz .LBB39_515
; %bb.510:
	s_cmp_lg_u32 s33, 0
	s_mov_b32 s26, 0
	s_cbranch_scc0 .LBB39_516
; %bb.511:
	s_min_u32 s27, s39, 15
	s_add_i32 s27, s27, 1
	s_cmp_eq_u32 s39, 2
	s_cbranch_scc1 .LBB39_517
; %bb.512:
	s_and_b32 s26, s27, 28
	s_add_u32 s20, s28, 0xc4
	s_addc_u32 s21, s29, 0
	s_mov_b32 s30, 0
	v_mov_b32_e32 v0, 0
	s_mov_b64 s[22:23], s[28:29]
	v_mov_b32_e32 v1, v9
.LBB39_513:                             ; =>This Inner Loop Header: Depth=1
	s_load_dwordx8 s[8:15], s[22:23], 0x4
	s_load_dwordx4 s[0:3], s[22:23], 0x24
	s_load_dwordx4 s[16:19], s[20:21], 0x0
	s_add_u32 s22, s22, 48
	s_addc_u32 s23, s23, 0
	s_waitcnt lgkmcnt(0)
	v_mul_hi_u32 v3, s9, v1
	s_add_i32 s30, s30, 4
	s_add_u32 s20, s20, 16
	s_addc_u32 s21, s21, 0
	v_add_u32_e32 v3, v1, v3
	v_lshrrev_b32_e32 v3, s10, v3
	v_mul_lo_u32 v5, v3, s8
	v_mul_hi_u32 v7, s12, v3
	s_cmp_lg_u32 s26, s30
	v_sub_u32_e32 v1, v1, v5
	v_add_u32_e32 v5, v3, v7
	v_lshrrev_b32_e32 v5, s13, v5
	v_mul_lo_u32 v7, v1, s16
	v_mul_hi_u32 v1, s15, v5
	v_mul_lo_u32 v10, v5, s11
	v_add_u32_e32 v1, v5, v1
	v_lshrrev_b32_e32 v8, s0, v1
	v_mul_hi_u32 v1, s2, v8
	v_sub_u32_e32 v3, v3, v10
	v_mul_lo_u32 v10, v8, s14
	v_mul_lo_u32 v3, v3, s17
	v_add_u32_e32 v1, v8, v1
	v_lshrrev_b32_e32 v1, s3, v1
	v_mul_lo_u32 v11, v1, s1
	v_sub_u32_e32 v5, v5, v10
	v_mul_lo_u32 v5, v5, s18
	v_add3_u32 v0, v7, v0, v3
	v_sub_u32_e32 v8, v8, v11
	v_mul_lo_u32 v8, v8, s19
	v_add3_u32 v0, v5, v0, v8
	s_cbranch_scc1 .LBB39_513
; %bb.514:
	s_and_b32 s8, s27, 3
	s_cmp_eq_u32 s8, 0
	s_cbranch_scc0 .LBB39_518
	s_branch .LBB39_520
.LBB39_515:
                                        ; implicit-def: $vgpr0
	s_branch .LBB39_521
.LBB39_516:
	v_mov_b32_e32 v0, 0
	s_branch .LBB39_520
.LBB39_517:
	v_mov_b32_e32 v0, 0
	v_mov_b32_e32 v1, v9
	s_and_b32 s8, s27, 3
	s_cmp_eq_u32 s8, 0
	s_cbranch_scc1 .LBB39_520
.LBB39_518:
	s_lshl_b32 s0, s26, 2
	s_add_u32 s0, s28, s0
	s_addc_u32 s1, s29, 0
	s_add_u32 s0, s0, 0xc4
	s_addc_u32 s1, s1, 0
	s_mul_i32 s2, s26, 12
	s_add_u32 s2, s28, s2
	s_addc_u32 s3, s29, 0
.LBB39_519:                             ; =>This Inner Loop Header: Depth=1
	s_load_dwordx2 s[10:11], s[2:3], 0x4
	s_load_dword s9, s[2:3], 0xc
	s_add_u32 s2, s2, 12
	s_addc_u32 s3, s3, 0
	s_waitcnt lgkmcnt(0)
	v_mul_hi_u32 v3, s11, v1
	s_load_dword s11, s[0:1], 0x0
	s_add_u32 s0, s0, 4
	s_addc_u32 s1, s1, 0
	v_add_u32_e32 v3, v1, v3
	v_lshrrev_b32_e32 v3, s9, v3
	v_mul_lo_u32 v5, v3, s10
	s_add_i32 s8, s8, -1
	s_cmp_lg_u32 s8, 0
	v_sub_u32_e32 v1, v1, v5
	s_waitcnt lgkmcnt(0)
	v_mad_u64_u32 v[0:1], s[10:11], v1, s11, v[0:1]
	v_mov_b32_e32 v1, v3
	s_cbranch_scc1 .LBB39_519
.LBB39_520:
	s_cbranch_execnz .LBB39_523
.LBB39_521:
	s_load_dwordx4 s[0:3], s[28:29], 0x4
	s_waitcnt lgkmcnt(0)
	s_load_dword s3, s[28:29], 0xc4
	s_cmp_lt_u32 s33, 2
	v_mul_hi_u32 v0, s1, v9
	v_add_u32_e32 v0, v9, v0
	v_lshrrev_b32_e32 v1, s2, v0
	v_mul_lo_u32 v0, v1, s0
	v_sub_u32_e32 v0, v9, v0
	s_waitcnt lgkmcnt(0)
	v_mul_lo_u32 v0, v0, s3
	s_cbranch_scc1 .LBB39_523
; %bb.522:
	s_load_dwordx4 s[0:3], s[28:29], 0x10
	s_waitcnt lgkmcnt(0)
	s_load_dword s3, s[28:29], 0xc8
	v_mul_hi_u32 v3, s1, v1
	v_add_u32_e32 v3, v1, v3
	v_lshrrev_b32_e32 v3, s2, v3
	v_mul_lo_u32 v3, v3, s0
	v_sub_u32_e32 v1, v1, v3
	s_waitcnt lgkmcnt(0)
	v_mad_u64_u32 v[0:1], s[0:1], v1, s3, v[0:1]
.LBB39_523:
	s_load_dwordx2 s[2:3], s[28:29], 0x108
	s_load_dword s12, s[4:5], 0x118
	s_load_dword s14, s[28:29], 0x110
	s_waitcnt lgkmcnt(0)
	v_mov_b32_e32 v1, s3
	s_bfe_u32 s13, s12, 0x80010
	v_add_co_u32_e32 v5, vcc, s2, v6
	s_cmp_lt_i32 s13, 11
	v_addc_co_u32_e32 v6, vcc, 0, v1, vcc
	s_cbranch_scc1 .LBB39_551
; %bb.524:
	s_and_b32 s15, 0xffff, s13
	s_mov_b64 s[10:11], -1
	s_mov_b64 s[4:5], 0
	s_cmp_gt_i32 s15, 25
	s_mov_b64 s[8:9], 0
	s_mov_b64 s[0:1], 0
	s_cbranch_scc0 .LBB39_561
; %bb.525:
	s_cmp_gt_i32 s15, 28
	s_cbranch_scc0 .LBB39_540
; %bb.526:
	s_cmp_gt_i32 s15, 43
	;; [unrolled: 3-line block ×3, first 2 shown]
	s_cbranch_scc0 .LBB39_530
; %bb.528:
	s_mov_b64 s[0:1], -1
	s_mov_b64 s[10:11], 0
	s_cmp_eq_u32 s15, 46
	s_cbranch_scc0 .LBB39_530
; %bb.529:
	s_sext_i32_i16 s0, s14
	v_cvt_f32_i32_e32 v1, s0
	s_mov_b64 s[0:1], 0
	s_mov_b64 s[8:9], -1
	v_bfe_u32 v3, v1, 16, 1
	v_add_u32_e32 v1, v1, v3
	v_add_u32_e32 v1, 0x7fff, v1
	v_lshrrev_b32_e32 v1, 16, v1
	global_store_dword v[5:6], v1, off
.LBB39_530:
	s_and_b64 vcc, exec, s[10:11]
	s_cbranch_vccz .LBB39_535
; %bb.531:
	s_cmp_eq_u32 s15, 44
	s_mov_b64 s[0:1], -1
	s_cbranch_scc0 .LBB39_535
; %bb.532:
	s_sext_i32_i16 s0, s14
	v_cvt_f32_i32_e32 v1, s0
	v_mov_b32_e32 v3, 0xff
	v_readfirstlane_b32 s0, v1
	s_bfe_u32 s1, s0, 0x80017
	s_cmpk_eq_i32 s1, 0xff
	s_cbranch_scc1 .LBB39_534
; %bb.533:
	s_bitcmp1_b32 s0, 22
	s_cselect_b64 s[8:9], -1, 0
	s_and_b32 s0, s0, 0x3fffff
	s_or_b32 s0, s1, s0
	s_cmp_lg_u32 s0, 0
	s_cselect_b64 s[0:1], -1, 0
	s_and_b64 s[0:1], s[8:9], s[0:1]
	v_lshrrev_b32_e32 v1, 23, v1
	v_cndmask_b32_e64 v3, 0, 1, s[0:1]
	v_add_u32_e32 v3, v1, v3
.LBB39_534:
	s_mov_b64 s[0:1], 0
	s_mov_b64 s[8:9], -1
	global_store_byte v[5:6], v3, off
.LBB39_535:
	s_mov_b64 s[10:11], 0
.LBB39_536:
	s_and_b64 vcc, exec, s[10:11]
	s_cbranch_vccz .LBB39_539
; %bb.537:
	s_cmp_eq_u32 s15, 29
	s_mov_b64 s[0:1], -1
	s_cbranch_scc0 .LBB39_539
; %bb.538:
	s_sext_i32_i16 s0, s14
	s_ashr_i32 s1, s0, 31
	v_mov_b32_e32 v7, s0
	v_mov_b32_e32 v8, s1
	global_store_dwordx2 v[5:6], v[7:8], off
	s_mov_b64 s[0:1], 0
	s_mov_b64 s[8:9], -1
.LBB39_539:
	s_mov_b64 s[10:11], 0
.LBB39_540:
	s_and_b64 vcc, exec, s[10:11]
	s_cbranch_vccz .LBB39_560
; %bb.541:
	s_cmp_lt_i32 s15, 27
	s_mov_b64 s[8:9], -1
	s_cbranch_scc1 .LBB39_547
; %bb.542:
	s_cmp_gt_i32 s15, 27
	s_cbranch_scc0 .LBB39_544
; %bb.543:
	s_sext_i32_i16 s8, s14
	v_mov_b32_e32 v1, s8
	s_mov_b64 s[8:9], 0
	global_store_dword v[5:6], v1, off
.LBB39_544:
	s_andn2_b64 vcc, exec, s[8:9]
	s_cbranch_vccnz .LBB39_546
; %bb.545:
	v_mov_b32_e32 v1, s14
	global_store_short v[5:6], v1, off
.LBB39_546:
	s_mov_b64 s[8:9], 0
.LBB39_547:
	s_andn2_b64 vcc, exec, s[8:9]
	s_cbranch_vccnz .LBB39_559
; %bb.548:
	s_sext_i32_i16 s8, s14
	v_cvt_f32_i32_e32 v1, s8
	v_mov_b32_e32 v3, 0x80
	v_readfirstlane_b32 s16, v1
	s_and_b32 s8, s16, 0x7fffffff
	s_cmp_gt_u32 s8, 0x437fffff
	s_cbranch_scc1 .LBB39_558
; %bb.549:
	s_cmp_gt_u32 s8, 0x3bffffff
	s_cbranch_scc0 .LBB39_553
; %bb.550:
	s_bfe_u32 s8, s16, 0x10014
	s_add_i32 s8, s16, s8
	s_add_i32 s8, s8, 0x487ffff
	s_lshr_b32 s17, s8, 20
	s_mov_b64 s[10:11], 0
	s_mov_b64 s[8:9], -1
	s_branch .LBB39_554
.LBB39_551:
	s_mov_b64 s[8:9], 0
	s_mov_b64 s[0:1], s[6:7]
	s_cbranch_execnz .LBB39_611
.LBB39_552:
	s_andn2_b64 vcc, exec, s[8:9]
	s_cbranch_vccz .LBB39_649
	s_branch .LBB39_947
.LBB39_553:
	s_mov_b64 s[10:11], -1
	s_mov_b64 s[8:9], 0
                                        ; implicit-def: $sgpr17
.LBB39_554:
	s_andn2_b64 vcc, exec, s[10:11]
	v_mov_b32_e32 v1, s17
	s_cbranch_vccnz .LBB39_556
; %bb.555:
	v_mov_b32_e32 v1, 0x46000000
	v_add_f32_e64 v1, |s16|, v1
	v_and_b32_e32 v1, 0xff, v1
	v_cmp_ne_u32_e64 s[8:9], 0, v1
.LBB39_556:
	s_andn2_b64 vcc, exec, s[8:9]
	v_mov_b32_e32 v3, 0
	s_cbranch_vccnz .LBB39_558
; %bb.557:
	s_lshr_b32 s8, s16, 24
	s_and_b32 s8, s8, 0x80
	v_or_b32_e32 v3, s8, v1
.LBB39_558:
	global_store_byte v[5:6], v3, off
.LBB39_559:
	s_mov_b64 s[8:9], -1
.LBB39_560:
	s_mov_b64 s[10:11], 0
.LBB39_561:
	s_and_b64 vcc, exec, s[10:11]
	s_cbranch_vccz .LBB39_607
; %bb.562:
	s_cmp_gt_i32 s15, 22
	s_mov_b64 s[4:5], -1
	s_cbranch_scc0 .LBB39_600
; %bb.563:
	s_cmp_lt_i32 s15, 24
	s_cbranch_scc1 .LBB39_587
; %bb.564:
	s_cmp_gt_i32 s15, 24
	s_cbranch_scc0 .LBB39_574
; %bb.565:
	s_sext_i32_i16 s4, s14
	v_cvt_f32_i32_e32 v1, s4
	v_mov_b32_e32 v3, 0x80
	v_readfirstlane_b32 s10, v1
	s_and_b32 s4, s10, 0x7fffffff
	s_cmp_gt_u32 s4, 0x477fffff
	s_cbranch_scc1 .LBB39_573
; %bb.566:
	s_cmp_gt_u32 s4, 0x37ffffff
	s_cbranch_scc0 .LBB39_568
; %bb.567:
	s_bfe_u32 s4, s10, 0x10015
	s_add_i32 s4, s10, s4
	s_add_i32 s4, s4, 0x88fffff
	s_lshr_b32 s11, s4, 21
	s_mov_b64 s[8:9], 0
	s_mov_b64 s[4:5], -1
	s_branch .LBB39_569
.LBB39_568:
	s_mov_b64 s[8:9], -1
	s_mov_b64 s[4:5], 0
                                        ; implicit-def: $sgpr11
.LBB39_569:
	s_andn2_b64 vcc, exec, s[8:9]
	v_mov_b32_e32 v1, s11
	s_cbranch_vccnz .LBB39_571
; %bb.570:
	v_mov_b32_e32 v1, 0x42800000
	v_add_f32_e64 v1, |s10|, v1
	v_and_b32_e32 v1, 0xff, v1
	v_cmp_ne_u32_e64 s[4:5], 0, v1
.LBB39_571:
	s_andn2_b64 vcc, exec, s[4:5]
	v_mov_b32_e32 v3, 0
	s_cbranch_vccnz .LBB39_573
; %bb.572:
	s_lshr_b32 s4, s10, 24
	s_and_b32 s4, s4, 0x80
	v_or_b32_e32 v3, s4, v1
.LBB39_573:
	s_mov_b64 s[4:5], 0
	global_store_byte v[5:6], v3, off
.LBB39_574:
	s_and_b64 vcc, exec, s[4:5]
	s_cbranch_vccz .LBB39_586
; %bb.575:
	s_sext_i32_i16 s4, s14
	v_cvt_f32_i32_e32 v1, s4
	v_readfirstlane_b32 s8, v1
	s_and_b32 s9, s8, 0x7fffffff
	s_cmp_lt_u32 s9, 0x43f00000
	s_cbranch_scc0 .LBB39_578
; %bb.576:
	s_cmp_gt_u32 s9, 0x3c7fffff
	s_cbranch_scc0 .LBB39_579
; %bb.577:
	s_bfe_u32 s4, s8, 0x10014
	s_add_i32 s4, s8, s4
	s_add_i32 s4, s4, 0x407ffff
	s_lshr_b32 s5, s4, 20
	s_and_b32 s4, s4, 0xff00000
	s_cmp_lg_u32 s4, 0x7f00000
	s_cselect_b32 s10, s5, 0x7e
	s_mov_b64 s[4:5], 0
	s_branch .LBB39_580
.LBB39_578:
	s_mov_b64 s[4:5], -1
                                        ; implicit-def: $vgpr3
	s_branch .LBB39_583
.LBB39_579:
	s_mov_b64 s[4:5], -1
                                        ; implicit-def: $sgpr10
.LBB39_580:
	s_andn2_b64 vcc, exec, s[4:5]
	v_mov_b32_e32 v3, s10
	s_cbranch_vccnz .LBB39_582
; %bb.581:
	s_mov_b32 s4, 0x46800000
	v_add_f32_e64 v3, |v1|, s4
.LBB39_582:
	s_mov_b64 s[4:5], 0
.LBB39_583:
	s_andn2_b64 vcc, exec, s[4:5]
	s_cbranch_vccnz .LBB39_585
; %bb.584:
	s_cmp_gt_u32 s9, 0x7f800000
	s_movk_i32 s4, 0x7f
	s_cselect_b32 s4, s4, 0x7e
	v_mov_b32_e32 v3, s4
.LBB39_585:
	s_lshr_b32 s4, s8, 24
	s_and_b32 s4, s4, 0x80
	v_or_b32_e32 v1, s4, v3
	global_store_byte v[5:6], v1, off
.LBB39_586:
	s_mov_b64 s[4:5], 0
.LBB39_587:
	s_andn2_b64 vcc, exec, s[4:5]
	s_cbranch_vccnz .LBB39_599
; %bb.588:
	s_sext_i32_i16 s4, s14
	v_cvt_f32_i32_e32 v1, s4
	v_readfirstlane_b32 s8, v1
	s_and_b32 s9, s8, 0x7fffffff
	s_cmp_lt_u32 s9, 0x47800000
	s_cbranch_scc0 .LBB39_591
; %bb.589:
	s_cmp_gt_u32 s9, 0x387fffff
	s_cbranch_scc0 .LBB39_592
; %bb.590:
	s_bfe_u32 s4, s8, 0x10015
	s_add_i32 s4, s8, s4
	s_add_i32 s4, s4, 0x80fffff
	s_lshr_b32 s10, s4, 21
	s_mov_b64 s[4:5], 0
	s_branch .LBB39_593
.LBB39_591:
	s_mov_b64 s[4:5], -1
                                        ; implicit-def: $vgpr3
	s_branch .LBB39_596
.LBB39_592:
	s_mov_b64 s[4:5], -1
                                        ; implicit-def: $sgpr10
.LBB39_593:
	s_andn2_b64 vcc, exec, s[4:5]
	v_mov_b32_e32 v3, s10
	s_cbranch_vccnz .LBB39_595
; %bb.594:
	s_mov_b32 s4, 0x43000000
	v_add_f32_e64 v3, |v1|, s4
.LBB39_595:
	s_mov_b64 s[4:5], 0
.LBB39_596:
	s_andn2_b64 vcc, exec, s[4:5]
	s_cbranch_vccnz .LBB39_598
; %bb.597:
	s_cmp_gt_u32 s9, 0x7f800000
	s_movk_i32 s4, 0x7f
	s_cselect_b32 s4, s4, 0x7c
	v_mov_b32_e32 v3, s4
.LBB39_598:
	s_lshr_b32 s4, s8, 24
	s_and_b32 s4, s4, 0x80
	v_or_b32_e32 v1, s4, v3
	global_store_byte v[5:6], v1, off
.LBB39_599:
	s_mov_b64 s[4:5], 0
	s_mov_b64 s[8:9], -1
.LBB39_600:
	s_andn2_b64 vcc, exec, s[4:5]
	s_mov_b64 s[4:5], 0
	s_cbranch_vccnz .LBB39_607
; %bb.601:
	s_cmp_gt_i32 s15, 14
	s_mov_b64 s[10:11], -1
	s_cbranch_scc0 .LBB39_605
; %bb.602:
	s_cmp_eq_u32 s15, 15
	s_mov_b64 s[0:1], -1
	s_cbranch_scc0 .LBB39_604
; %bb.603:
	s_sext_i32_i16 s0, s14
	v_cvt_f32_i32_e32 v1, s0
	s_mov_b64 s[0:1], 0
	s_mov_b64 s[8:9], -1
	v_bfe_u32 v3, v1, 16, 1
	v_add_u32_e32 v1, v1, v3
	v_add_u32_e32 v1, 0x7fff, v1
	global_store_short_d16_hi v[5:6], v1, off
.LBB39_604:
	s_mov_b64 s[10:11], 0
.LBB39_605:
	s_and_b64 vcc, exec, s[10:11]
	s_cbranch_vccz .LBB39_607
; %bb.606:
	s_cmp_lg_u32 s15, 11
	s_mov_b64 s[4:5], -1
	s_cselect_b64 s[0:1], -1, 0
.LBB39_607:
	s_and_b64 vcc, exec, s[0:1]
	s_mov_b64 s[0:1], s[6:7]
	s_cbranch_vccnz .LBB39_679
; %bb.608:
	s_andn2_b64 vcc, exec, s[4:5]
	s_cbranch_vccnz .LBB39_610
.LBB39_609:
	s_and_b32 s4, 0xffff, s14
	s_cmp_lg_u32 s4, 0
	s_cselect_b64 s[4:5], -1, 0
	v_cndmask_b32_e64 v1, 0, 1, s[4:5]
	global_store_byte v[5:6], v1, off
	s_mov_b64 s[8:9], -1
.LBB39_610:
	s_branch .LBB39_552
.LBB39_611:
	s_and_b32 s8, 0xffff, s13
	s_cmp_lt_i32 s8, 5
	s_mov_b64 s[4:5], -1
	s_cbranch_scc1 .LBB39_632
; %bb.612:
	s_cmp_lt_i32 s8, 8
	s_cbranch_scc1 .LBB39_622
; %bb.613:
	s_cmp_lt_i32 s8, 9
	s_cbranch_scc1 .LBB39_619
; %bb.614:
	s_cmp_gt_i32 s8, 9
	s_cbranch_scc0 .LBB39_616
; %bb.615:
	s_sext_i32_i16 s4, s14
	v_cvt_f64_i32_e32 v[7:8], s4
	v_mov_b32_e32 v9, 0
	v_mov_b32_e32 v10, v9
	s_mov_b64 s[4:5], 0
	global_store_dwordx4 v[5:6], v[7:10], off
.LBB39_616:
	s_andn2_b64 vcc, exec, s[4:5]
	s_cbranch_vccnz .LBB39_618
; %bb.617:
	s_sext_i32_i16 s4, s14
	v_cvt_f32_i32_e32 v7, s4
	v_mov_b32_e32 v8, 0
	global_store_dwordx2 v[5:6], v[7:8], off
.LBB39_618:
	s_mov_b64 s[4:5], 0
.LBB39_619:
	s_andn2_b64 vcc, exec, s[4:5]
	s_cbranch_vccnz .LBB39_621
; %bb.620:
	v_cvt_f16_i16_e32 v1, s14
	global_store_dword v[5:6], v1, off
.LBB39_621:
	s_mov_b64 s[4:5], 0
.LBB39_622:
	s_andn2_b64 vcc, exec, s[4:5]
	s_cbranch_vccnz .LBB39_631
; %bb.623:
	s_cmp_lt_i32 s8, 6
	s_mov_b64 s[4:5], -1
	s_cbranch_scc1 .LBB39_629
; %bb.624:
	s_cmp_gt_i32 s8, 6
	s_cbranch_scc0 .LBB39_626
; %bb.625:
	s_sext_i32_i16 s4, s14
	v_cvt_f64_i32_e32 v[7:8], s4
	s_mov_b64 s[4:5], 0
	global_store_dwordx2 v[5:6], v[7:8], off
.LBB39_626:
	s_andn2_b64 vcc, exec, s[4:5]
	s_cbranch_vccnz .LBB39_628
; %bb.627:
	s_sext_i32_i16 s4, s14
	v_cvt_f32_i32_e32 v1, s4
	global_store_dword v[5:6], v1, off
.LBB39_628:
	s_mov_b64 s[4:5], 0
.LBB39_629:
	s_andn2_b64 vcc, exec, s[4:5]
	s_cbranch_vccnz .LBB39_631
; %bb.630:
	v_cvt_f16_i16_e32 v1, s14
	global_store_short v[5:6], v1, off
.LBB39_631:
	s_mov_b64 s[4:5], 0
.LBB39_632:
	s_andn2_b64 vcc, exec, s[4:5]
	s_cbranch_vccnz .LBB39_648
; %bb.633:
	s_cmp_lt_i32 s8, 2
	s_mov_b64 s[4:5], -1
	s_cbranch_scc1 .LBB39_643
; %bb.634:
	s_cmp_lt_i32 s8, 3
	s_cbranch_scc1 .LBB39_640
; %bb.635:
	s_cmp_gt_i32 s8, 3
	s_cbranch_scc0 .LBB39_637
; %bb.636:
	s_sext_i32_i16 s4, s14
	s_ashr_i32 s5, s4, 31
	v_mov_b32_e32 v7, s4
	v_mov_b32_e32 v8, s5
	global_store_dwordx2 v[5:6], v[7:8], off
	s_mov_b64 s[4:5], 0
.LBB39_637:
	s_andn2_b64 vcc, exec, s[4:5]
	s_cbranch_vccnz .LBB39_639
; %bb.638:
	s_sext_i32_i16 s4, s14
	v_mov_b32_e32 v1, s4
	global_store_dword v[5:6], v1, off
.LBB39_639:
	s_mov_b64 s[4:5], 0
.LBB39_640:
	s_andn2_b64 vcc, exec, s[4:5]
	s_cbranch_vccnz .LBB39_642
; %bb.641:
	v_mov_b32_e32 v1, s14
	global_store_short v[5:6], v1, off
.LBB39_642:
	s_mov_b64 s[4:5], 0
.LBB39_643:
	s_andn2_b64 vcc, exec, s[4:5]
	s_cbranch_vccnz .LBB39_648
; %bb.644:
	s_cmp_gt_i32 s8, 0
	s_mov_b64 s[4:5], -1
	s_cbranch_scc0 .LBB39_646
; %bb.645:
	v_mov_b32_e32 v1, s14
	global_store_byte v[5:6], v1, off
	s_mov_b64 s[4:5], 0
.LBB39_646:
	s_andn2_b64 vcc, exec, s[4:5]
	s_cbranch_vccnz .LBB39_648
; %bb.647:
	v_mov_b32_e32 v1, s14
	global_store_byte v[5:6], v1, off
.LBB39_648:
.LBB39_649:
	s_lshr_b32 s4, s12, 16
	v_mov_b32_e32 v1, s3
	s_and_b32 s15, s4, 0xff
	v_add_co_u32_e32 v3, vcc, s2, v4
	s_cmp_lt_i32 s15, 11
	v_addc_co_u32_e32 v4, vcc, 0, v1, vcc
	s_cbranch_scc1 .LBB39_677
; %bb.650:
	s_and_b32 s16, 0xffff, s15
	s_mov_b64 s[12:13], -1
	s_mov_b64 s[8:9], 0
	s_cmp_gt_i32 s16, 25
	s_mov_b64 s[10:11], 0
	s_mov_b64 s[4:5], 0
	s_cbranch_scc0 .LBB39_688
; %bb.651:
	s_cmp_gt_i32 s16, 28
	s_cbranch_scc0 .LBB39_666
; %bb.652:
	s_cmp_gt_i32 s16, 43
	s_cbranch_scc0 .LBB39_662
; %bb.653:
	s_cmp_gt_i32 s16, 45
	s_cbranch_scc0 .LBB39_656
; %bb.654:
	s_mov_b64 s[4:5], -1
	s_mov_b64 s[12:13], 0
	s_cmp_eq_u32 s16, 46
	s_cbranch_scc0 .LBB39_656
; %bb.655:
	s_sext_i32_i16 s4, s14
	v_cvt_f32_i32_e32 v1, s4
	s_mov_b64 s[4:5], 0
	s_mov_b64 s[10:11], -1
	v_bfe_u32 v5, v1, 16, 1
	v_add_u32_e32 v1, v1, v5
	v_add_u32_e32 v1, 0x7fff, v1
	v_lshrrev_b32_e32 v1, 16, v1
	global_store_dword v[3:4], v1, off
.LBB39_656:
	s_and_b64 vcc, exec, s[12:13]
	s_cbranch_vccz .LBB39_661
; %bb.657:
	s_cmp_eq_u32 s16, 44
	s_mov_b64 s[4:5], -1
	s_cbranch_scc0 .LBB39_661
; %bb.658:
	s_sext_i32_i16 s4, s14
	v_cvt_f32_i32_e32 v1, s4
	v_mov_b32_e32 v5, 0xff
	v_readfirstlane_b32 s4, v1
	s_bfe_u32 s5, s4, 0x80017
	s_cmpk_eq_i32 s5, 0xff
	s_cbranch_scc1 .LBB39_660
; %bb.659:
	s_bitcmp1_b32 s4, 22
	s_cselect_b64 s[10:11], -1, 0
	s_and_b32 s4, s4, 0x3fffff
	s_or_b32 s4, s5, s4
	s_cmp_lg_u32 s4, 0
	s_cselect_b64 s[4:5], -1, 0
	s_and_b64 s[4:5], s[10:11], s[4:5]
	v_lshrrev_b32_e32 v1, 23, v1
	v_cndmask_b32_e64 v5, 0, 1, s[4:5]
	v_add_u32_e32 v5, v1, v5
.LBB39_660:
	s_mov_b64 s[4:5], 0
	s_mov_b64 s[10:11], -1
	global_store_byte v[3:4], v5, off
.LBB39_661:
	s_mov_b64 s[12:13], 0
.LBB39_662:
	s_and_b64 vcc, exec, s[12:13]
	s_cbranch_vccz .LBB39_665
; %bb.663:
	s_cmp_eq_u32 s16, 29
	s_mov_b64 s[4:5], -1
	s_cbranch_scc0 .LBB39_665
; %bb.664:
	s_sext_i32_i16 s4, s14
	s_ashr_i32 s5, s4, 31
	v_mov_b32_e32 v5, s4
	v_mov_b32_e32 v6, s5
	global_store_dwordx2 v[3:4], v[5:6], off
	s_mov_b64 s[4:5], 0
	s_mov_b64 s[10:11], -1
.LBB39_665:
	s_mov_b64 s[12:13], 0
.LBB39_666:
	s_and_b64 vcc, exec, s[12:13]
	s_cbranch_vccz .LBB39_687
; %bb.667:
	s_cmp_lt_i32 s16, 27
	s_mov_b64 s[10:11], -1
	s_cbranch_scc1 .LBB39_673
; %bb.668:
	s_cmp_gt_i32 s16, 27
	s_cbranch_scc0 .LBB39_670
; %bb.669:
	s_sext_i32_i16 s10, s14
	v_mov_b32_e32 v1, s10
	s_mov_b64 s[10:11], 0
	global_store_dword v[3:4], v1, off
.LBB39_670:
	s_andn2_b64 vcc, exec, s[10:11]
	s_cbranch_vccnz .LBB39_672
; %bb.671:
	v_mov_b32_e32 v1, s14
	global_store_short v[3:4], v1, off
.LBB39_672:
	s_mov_b64 s[10:11], 0
.LBB39_673:
	s_andn2_b64 vcc, exec, s[10:11]
	s_cbranch_vccnz .LBB39_686
; %bb.674:
	s_sext_i32_i16 s10, s14
	v_cvt_f32_i32_e32 v1, s10
	v_mov_b32_e32 v5, 0x80
	v_readfirstlane_b32 s17, v1
	s_and_b32 s10, s17, 0x7fffffff
	s_cmp_gt_u32 s10, 0x437fffff
	s_cbranch_scc1 .LBB39_685
; %bb.675:
	s_cmp_gt_u32 s10, 0x3bffffff
	s_cbranch_scc0 .LBB39_680
; %bb.676:
	s_bfe_u32 s10, s17, 0x10014
	s_add_i32 s10, s17, s10
	s_add_i32 s10, s10, 0x487ffff
	s_lshr_b32 s18, s10, 20
	s_mov_b64 s[12:13], 0
	s_mov_b64 s[10:11], -1
	s_branch .LBB39_681
.LBB39_677:
	s_mov_b64 s[10:11], 0
	s_cbranch_execnz .LBB39_738
.LBB39_678:
	s_andn2_b64 vcc, exec, s[10:11]
	s_cbranch_vccz .LBB39_776
	s_branch .LBB39_947
.LBB39_679:
	s_or_b64 s[0:1], s[6:7], exec
	s_trap 2
	s_cbranch_execz .LBB39_609
	s_branch .LBB39_610
.LBB39_680:
	s_mov_b64 s[12:13], -1
	s_mov_b64 s[10:11], 0
                                        ; implicit-def: $sgpr18
.LBB39_681:
	s_andn2_b64 vcc, exec, s[12:13]
	v_mov_b32_e32 v1, s18
	s_cbranch_vccnz .LBB39_683
; %bb.682:
	v_mov_b32_e32 v1, 0x46000000
	v_add_f32_e64 v1, |s17|, v1
	v_and_b32_e32 v1, 0xff, v1
	v_cmp_ne_u32_e64 s[10:11], 0, v1
.LBB39_683:
	s_andn2_b64 vcc, exec, s[10:11]
	v_mov_b32_e32 v5, 0
	s_cbranch_vccnz .LBB39_685
; %bb.684:
	s_lshr_b32 s10, s17, 24
	s_and_b32 s10, s10, 0x80
	v_or_b32_e32 v5, s10, v1
.LBB39_685:
	global_store_byte v[3:4], v5, off
.LBB39_686:
	s_mov_b64 s[10:11], -1
.LBB39_687:
	s_mov_b64 s[12:13], 0
.LBB39_688:
	s_and_b64 vcc, exec, s[12:13]
	s_cbranch_vccz .LBB39_734
; %bb.689:
	s_cmp_gt_i32 s16, 22
	s_mov_b64 s[8:9], -1
	s_cbranch_scc0 .LBB39_727
; %bb.690:
	s_cmp_lt_i32 s16, 24
	s_cbranch_scc1 .LBB39_714
; %bb.691:
	s_cmp_gt_i32 s16, 24
	s_cbranch_scc0 .LBB39_701
; %bb.692:
	s_sext_i32_i16 s8, s14
	v_cvt_f32_i32_e32 v1, s8
	v_mov_b32_e32 v5, 0x80
	v_readfirstlane_b32 s12, v1
	s_and_b32 s8, s12, 0x7fffffff
	s_cmp_gt_u32 s8, 0x477fffff
	s_cbranch_scc1 .LBB39_700
; %bb.693:
	s_cmp_gt_u32 s8, 0x37ffffff
	s_cbranch_scc0 .LBB39_695
; %bb.694:
	s_bfe_u32 s8, s12, 0x10015
	s_add_i32 s8, s12, s8
	s_add_i32 s8, s8, 0x88fffff
	s_lshr_b32 s13, s8, 21
	s_mov_b64 s[10:11], 0
	s_mov_b64 s[8:9], -1
	s_branch .LBB39_696
.LBB39_695:
	s_mov_b64 s[10:11], -1
	s_mov_b64 s[8:9], 0
                                        ; implicit-def: $sgpr13
.LBB39_696:
	s_andn2_b64 vcc, exec, s[10:11]
	v_mov_b32_e32 v1, s13
	s_cbranch_vccnz .LBB39_698
; %bb.697:
	v_mov_b32_e32 v1, 0x42800000
	v_add_f32_e64 v1, |s12|, v1
	v_and_b32_e32 v1, 0xff, v1
	v_cmp_ne_u32_e64 s[8:9], 0, v1
.LBB39_698:
	s_andn2_b64 vcc, exec, s[8:9]
	v_mov_b32_e32 v5, 0
	s_cbranch_vccnz .LBB39_700
; %bb.699:
	s_lshr_b32 s8, s12, 24
	s_and_b32 s8, s8, 0x80
	v_or_b32_e32 v5, s8, v1
.LBB39_700:
	s_mov_b64 s[8:9], 0
	global_store_byte v[3:4], v5, off
.LBB39_701:
	s_and_b64 vcc, exec, s[8:9]
	s_cbranch_vccz .LBB39_713
; %bb.702:
	s_sext_i32_i16 s8, s14
	v_cvt_f32_i32_e32 v1, s8
	v_readfirstlane_b32 s10, v1
	s_and_b32 s11, s10, 0x7fffffff
	s_cmp_lt_u32 s11, 0x43f00000
	s_cbranch_scc0 .LBB39_705
; %bb.703:
	s_cmp_gt_u32 s11, 0x3c7fffff
	s_cbranch_scc0 .LBB39_706
; %bb.704:
	s_bfe_u32 s8, s10, 0x10014
	s_add_i32 s8, s10, s8
	s_add_i32 s8, s8, 0x407ffff
	s_lshr_b32 s9, s8, 20
	s_and_b32 s8, s8, 0xff00000
	s_cmp_lg_u32 s8, 0x7f00000
	s_cselect_b32 s12, s9, 0x7e
	s_mov_b64 s[8:9], 0
	s_branch .LBB39_707
.LBB39_705:
	s_mov_b64 s[8:9], -1
                                        ; implicit-def: $vgpr5
	s_branch .LBB39_710
.LBB39_706:
	s_mov_b64 s[8:9], -1
                                        ; implicit-def: $sgpr12
.LBB39_707:
	s_andn2_b64 vcc, exec, s[8:9]
	v_mov_b32_e32 v5, s12
	s_cbranch_vccnz .LBB39_709
; %bb.708:
	s_mov_b32 s8, 0x46800000
	v_add_f32_e64 v5, |v1|, s8
.LBB39_709:
	s_mov_b64 s[8:9], 0
.LBB39_710:
	s_andn2_b64 vcc, exec, s[8:9]
	s_cbranch_vccnz .LBB39_712
; %bb.711:
	s_cmp_gt_u32 s11, 0x7f800000
	s_movk_i32 s8, 0x7f
	s_cselect_b32 s8, s8, 0x7e
	v_mov_b32_e32 v5, s8
.LBB39_712:
	s_lshr_b32 s8, s10, 24
	s_and_b32 s8, s8, 0x80
	v_or_b32_e32 v1, s8, v5
	global_store_byte v[3:4], v1, off
.LBB39_713:
	s_mov_b64 s[8:9], 0
.LBB39_714:
	s_andn2_b64 vcc, exec, s[8:9]
	s_cbranch_vccnz .LBB39_726
; %bb.715:
	s_sext_i32_i16 s8, s14
	v_cvt_f32_i32_e32 v1, s8
	v_readfirstlane_b32 s10, v1
	s_and_b32 s11, s10, 0x7fffffff
	s_cmp_lt_u32 s11, 0x47800000
	s_cbranch_scc0 .LBB39_718
; %bb.716:
	s_cmp_gt_u32 s11, 0x387fffff
	s_cbranch_scc0 .LBB39_719
; %bb.717:
	s_bfe_u32 s8, s10, 0x10015
	s_add_i32 s8, s10, s8
	s_add_i32 s8, s8, 0x80fffff
	s_lshr_b32 s12, s8, 21
	s_mov_b64 s[8:9], 0
	s_branch .LBB39_720
.LBB39_718:
	s_mov_b64 s[8:9], -1
                                        ; implicit-def: $vgpr5
	s_branch .LBB39_723
.LBB39_719:
	s_mov_b64 s[8:9], -1
                                        ; implicit-def: $sgpr12
.LBB39_720:
	s_andn2_b64 vcc, exec, s[8:9]
	v_mov_b32_e32 v5, s12
	s_cbranch_vccnz .LBB39_722
; %bb.721:
	s_mov_b32 s8, 0x43000000
	v_add_f32_e64 v5, |v1|, s8
.LBB39_722:
	s_mov_b64 s[8:9], 0
.LBB39_723:
	s_andn2_b64 vcc, exec, s[8:9]
	s_cbranch_vccnz .LBB39_725
; %bb.724:
	s_cmp_gt_u32 s11, 0x7f800000
	s_movk_i32 s8, 0x7f
	s_cselect_b32 s8, s8, 0x7c
	v_mov_b32_e32 v5, s8
.LBB39_725:
	s_lshr_b32 s8, s10, 24
	s_and_b32 s8, s8, 0x80
	v_or_b32_e32 v1, s8, v5
	global_store_byte v[3:4], v1, off
.LBB39_726:
	s_mov_b64 s[8:9], 0
	s_mov_b64 s[10:11], -1
.LBB39_727:
	s_andn2_b64 vcc, exec, s[8:9]
	s_mov_b64 s[8:9], 0
	s_cbranch_vccnz .LBB39_734
; %bb.728:
	s_cmp_gt_i32 s16, 14
	s_mov_b64 s[12:13], -1
	s_cbranch_scc0 .LBB39_732
; %bb.729:
	s_cmp_eq_u32 s16, 15
	s_mov_b64 s[4:5], -1
	s_cbranch_scc0 .LBB39_731
; %bb.730:
	s_sext_i32_i16 s4, s14
	v_cvt_f32_i32_e32 v1, s4
	s_mov_b64 s[4:5], 0
	s_mov_b64 s[10:11], -1
	v_bfe_u32 v5, v1, 16, 1
	v_add_u32_e32 v1, v1, v5
	v_add_u32_e32 v1, 0x7fff, v1
	global_store_short_d16_hi v[3:4], v1, off
.LBB39_731:
	s_mov_b64 s[12:13], 0
.LBB39_732:
	s_and_b64 vcc, exec, s[12:13]
	s_cbranch_vccz .LBB39_734
; %bb.733:
	s_cmp_lg_u32 s16, 11
	s_mov_b64 s[8:9], -1
	s_cselect_b64 s[4:5], -1, 0
.LBB39_734:
	s_and_b64 vcc, exec, s[4:5]
	s_cbranch_vccnz .LBB39_836
; %bb.735:
	s_andn2_b64 vcc, exec, s[8:9]
	s_cbranch_vccnz .LBB39_737
.LBB39_736:
	s_and_b32 s4, 0xffff, s14
	s_cmp_lg_u32 s4, 0
	s_cselect_b64 s[4:5], -1, 0
	v_cndmask_b32_e64 v1, 0, 1, s[4:5]
	s_mov_b64 s[10:11], -1
	global_store_byte v[3:4], v1, off
.LBB39_737:
	s_branch .LBB39_678
.LBB39_738:
	s_and_b32 s8, 0xffff, s15
	s_cmp_lt_i32 s8, 5
	s_mov_b64 s[4:5], -1
	s_cbranch_scc1 .LBB39_759
; %bb.739:
	s_cmp_lt_i32 s8, 8
	s_cbranch_scc1 .LBB39_749
; %bb.740:
	s_cmp_lt_i32 s8, 9
	s_cbranch_scc1 .LBB39_746
; %bb.741:
	s_cmp_gt_i32 s8, 9
	s_cbranch_scc0 .LBB39_743
; %bb.742:
	s_sext_i32_i16 s4, s14
	v_cvt_f64_i32_e32 v[5:6], s4
	v_mov_b32_e32 v7, 0
	v_mov_b32_e32 v8, v7
	s_mov_b64 s[4:5], 0
	global_store_dwordx4 v[3:4], v[5:8], off
.LBB39_743:
	s_andn2_b64 vcc, exec, s[4:5]
	s_cbranch_vccnz .LBB39_745
; %bb.744:
	s_sext_i32_i16 s4, s14
	v_cvt_f32_i32_e32 v5, s4
	v_mov_b32_e32 v6, 0
	global_store_dwordx2 v[3:4], v[5:6], off
.LBB39_745:
	s_mov_b64 s[4:5], 0
.LBB39_746:
	s_andn2_b64 vcc, exec, s[4:5]
	s_cbranch_vccnz .LBB39_748
; %bb.747:
	v_cvt_f16_i16_e32 v1, s14
	global_store_dword v[3:4], v1, off
.LBB39_748:
	s_mov_b64 s[4:5], 0
.LBB39_749:
	s_andn2_b64 vcc, exec, s[4:5]
	s_cbranch_vccnz .LBB39_758
; %bb.750:
	s_cmp_lt_i32 s8, 6
	s_mov_b64 s[4:5], -1
	s_cbranch_scc1 .LBB39_756
; %bb.751:
	s_cmp_gt_i32 s8, 6
	s_cbranch_scc0 .LBB39_753
; %bb.752:
	s_sext_i32_i16 s4, s14
	v_cvt_f64_i32_e32 v[5:6], s4
	s_mov_b64 s[4:5], 0
	global_store_dwordx2 v[3:4], v[5:6], off
.LBB39_753:
	s_andn2_b64 vcc, exec, s[4:5]
	s_cbranch_vccnz .LBB39_755
; %bb.754:
	s_sext_i32_i16 s4, s14
	v_cvt_f32_i32_e32 v1, s4
	global_store_dword v[3:4], v1, off
.LBB39_755:
	s_mov_b64 s[4:5], 0
.LBB39_756:
	s_andn2_b64 vcc, exec, s[4:5]
	s_cbranch_vccnz .LBB39_758
; %bb.757:
	v_cvt_f16_i16_e32 v1, s14
	global_store_short v[3:4], v1, off
.LBB39_758:
	s_mov_b64 s[4:5], 0
.LBB39_759:
	s_andn2_b64 vcc, exec, s[4:5]
	s_cbranch_vccnz .LBB39_775
; %bb.760:
	s_cmp_lt_i32 s8, 2
	s_mov_b64 s[4:5], -1
	s_cbranch_scc1 .LBB39_770
; %bb.761:
	s_cmp_lt_i32 s8, 3
	s_cbranch_scc1 .LBB39_767
; %bb.762:
	s_cmp_gt_i32 s8, 3
	s_cbranch_scc0 .LBB39_764
; %bb.763:
	s_sext_i32_i16 s4, s14
	s_ashr_i32 s5, s4, 31
	v_mov_b32_e32 v5, s4
	v_mov_b32_e32 v6, s5
	global_store_dwordx2 v[3:4], v[5:6], off
	s_mov_b64 s[4:5], 0
.LBB39_764:
	s_andn2_b64 vcc, exec, s[4:5]
	s_cbranch_vccnz .LBB39_766
; %bb.765:
	s_sext_i32_i16 s4, s14
	v_mov_b32_e32 v1, s4
	global_store_dword v[3:4], v1, off
.LBB39_766:
	s_mov_b64 s[4:5], 0
.LBB39_767:
	s_andn2_b64 vcc, exec, s[4:5]
	s_cbranch_vccnz .LBB39_769
; %bb.768:
	v_mov_b32_e32 v1, s14
	global_store_short v[3:4], v1, off
.LBB39_769:
	s_mov_b64 s[4:5], 0
.LBB39_770:
	s_andn2_b64 vcc, exec, s[4:5]
	s_cbranch_vccnz .LBB39_775
; %bb.771:
	s_cmp_gt_i32 s8, 0
	s_mov_b64 s[4:5], -1
	s_cbranch_scc0 .LBB39_773
; %bb.772:
	v_mov_b32_e32 v1, s14
	global_store_byte v[3:4], v1, off
	s_mov_b64 s[4:5], 0
.LBB39_773:
	s_andn2_b64 vcc, exec, s[4:5]
	s_cbranch_vccnz .LBB39_775
; %bb.774:
	v_mov_b32_e32 v1, s14
	global_store_byte v[3:4], v1, off
.LBB39_775:
.LBB39_776:
	v_mov_b32_e32 v3, s3
	v_add_co_u32_e32 v1, vcc, s2, v2
	s_cmp_lt_i32 s15, 11
	v_addc_co_u32_e32 v2, vcc, 0, v3, vcc
	s_cbranch_scc1 .LBB39_804
; %bb.777:
	s_and_b32 s16, 0xffff, s15
	s_mov_b64 s[12:13], -1
	s_mov_b64 s[8:9], 0
	s_cmp_gt_i32 s16, 25
	s_mov_b64 s[10:11], 0
	s_mov_b64 s[4:5], 0
	s_cbranch_scc0 .LBB39_845
; %bb.778:
	s_cmp_gt_i32 s16, 28
	s_cbranch_scc0 .LBB39_793
; %bb.779:
	s_cmp_gt_i32 s16, 43
	s_cbranch_scc0 .LBB39_789
; %bb.780:
	s_cmp_gt_i32 s16, 45
	s_cbranch_scc0 .LBB39_783
; %bb.781:
	s_mov_b64 s[4:5], -1
	s_mov_b64 s[12:13], 0
	s_cmp_eq_u32 s16, 46
	s_cbranch_scc0 .LBB39_783
; %bb.782:
	s_sext_i32_i16 s4, s14
	v_cvt_f32_i32_e32 v3, s4
	s_mov_b64 s[4:5], 0
	s_mov_b64 s[10:11], -1
	v_bfe_u32 v4, v3, 16, 1
	v_add_u32_e32 v3, v3, v4
	v_add_u32_e32 v3, 0x7fff, v3
	v_lshrrev_b32_e32 v3, 16, v3
	global_store_dword v[1:2], v3, off
.LBB39_783:
	s_and_b64 vcc, exec, s[12:13]
	s_cbranch_vccz .LBB39_788
; %bb.784:
	s_cmp_eq_u32 s16, 44
	s_mov_b64 s[4:5], -1
	s_cbranch_scc0 .LBB39_788
; %bb.785:
	s_sext_i32_i16 s4, s14
	v_cvt_f32_i32_e32 v3, s4
	v_mov_b32_e32 v4, 0xff
	v_readfirstlane_b32 s4, v3
	s_bfe_u32 s5, s4, 0x80017
	s_cmpk_eq_i32 s5, 0xff
	s_cbranch_scc1 .LBB39_787
; %bb.786:
	s_bitcmp1_b32 s4, 22
	s_cselect_b64 s[10:11], -1, 0
	s_and_b32 s4, s4, 0x3fffff
	s_or_b32 s4, s5, s4
	s_cmp_lg_u32 s4, 0
	s_cselect_b64 s[4:5], -1, 0
	s_and_b64 s[4:5], s[10:11], s[4:5]
	v_lshrrev_b32_e32 v3, 23, v3
	v_cndmask_b32_e64 v4, 0, 1, s[4:5]
	v_add_u32_e32 v4, v3, v4
.LBB39_787:
	s_mov_b64 s[4:5], 0
	s_mov_b64 s[10:11], -1
	global_store_byte v[1:2], v4, off
.LBB39_788:
	s_mov_b64 s[12:13], 0
.LBB39_789:
	s_and_b64 vcc, exec, s[12:13]
	s_cbranch_vccz .LBB39_792
; %bb.790:
	s_cmp_eq_u32 s16, 29
	s_mov_b64 s[4:5], -1
	s_cbranch_scc0 .LBB39_792
; %bb.791:
	s_sext_i32_i16 s4, s14
	s_ashr_i32 s5, s4, 31
	v_mov_b32_e32 v3, s4
	v_mov_b32_e32 v4, s5
	global_store_dwordx2 v[1:2], v[3:4], off
	s_mov_b64 s[4:5], 0
	s_mov_b64 s[10:11], -1
.LBB39_792:
	s_mov_b64 s[12:13], 0
.LBB39_793:
	s_and_b64 vcc, exec, s[12:13]
	s_cbranch_vccz .LBB39_844
; %bb.794:
	s_cmp_lt_i32 s16, 27
	s_mov_b64 s[10:11], -1
	s_cbranch_scc1 .LBB39_800
; %bb.795:
	s_cmp_gt_i32 s16, 27
	s_cbranch_scc0 .LBB39_797
; %bb.796:
	s_sext_i32_i16 s10, s14
	v_mov_b32_e32 v3, s10
	s_mov_b64 s[10:11], 0
	global_store_dword v[1:2], v3, off
.LBB39_797:
	s_andn2_b64 vcc, exec, s[10:11]
	s_cbranch_vccnz .LBB39_799
; %bb.798:
	v_mov_b32_e32 v3, s14
	global_store_short v[1:2], v3, off
.LBB39_799:
	s_mov_b64 s[10:11], 0
.LBB39_800:
	s_andn2_b64 vcc, exec, s[10:11]
	s_cbranch_vccnz .LBB39_843
; %bb.801:
	s_sext_i32_i16 s10, s14
	v_cvt_f32_i32_e32 v3, s10
	v_mov_b32_e32 v4, 0x80
	v_readfirstlane_b32 s17, v3
	s_and_b32 s10, s17, 0x7fffffff
	s_cmp_gt_u32 s10, 0x437fffff
	s_cbranch_scc1 .LBB39_842
; %bb.802:
	s_cmp_gt_u32 s10, 0x3bffffff
	s_cbranch_scc0 .LBB39_837
; %bb.803:
	s_bfe_u32 s10, s17, 0x10014
	s_add_i32 s10, s17, s10
	s_add_i32 s10, s10, 0x487ffff
	s_lshr_b32 s18, s10, 20
	s_mov_b64 s[12:13], 0
	s_mov_b64 s[10:11], -1
	s_branch .LBB39_838
.LBB39_804:
	s_mov_b64 s[10:11], 0
	s_cbranch_execnz .LBB39_909
.LBB39_805:
	s_andn2_b64 vcc, exec, s[10:11]
	s_cbranch_vccnz .LBB39_947
.LBB39_806:
	v_mov_b32_e32 v1, s3
	v_add_co_u32_e32 v0, vcc, s2, v0
	s_cmp_lt_i32 s15, 11
	v_addc_co_u32_e32 v1, vcc, 0, v1, vcc
	s_cbranch_scc1 .LBB39_835
; %bb.807:
	s_and_b32 s12, 0xffff, s15
	s_mov_b64 s[8:9], -1
	s_mov_b64 s[4:5], 0
	s_cmp_gt_i32 s12, 25
	s_mov_b64 s[2:3], 0
	s_cbranch_scc0 .LBB39_859
; %bb.808:
	s_cmp_gt_i32 s12, 28
	s_cbranch_scc0 .LBB39_824
; %bb.809:
	s_cmp_gt_i32 s12, 43
	;; [unrolled: 3-line block ×3, first 2 shown]
	s_cbranch_scc0 .LBB39_814
; %bb.811:
	s_cmp_eq_u32 s12, 46
	s_mov_b64 s[2:3], -1
	s_cbranch_scc0 .LBB39_813
; %bb.812:
	s_sext_i32_i16 s2, s14
	v_cvt_f32_i32_e32 v2, s2
	s_mov_b64 s[2:3], 0
	v_bfe_u32 v3, v2, 16, 1
	v_add_u32_e32 v2, v2, v3
	v_add_u32_e32 v2, 0x7fff, v2
	v_lshrrev_b32_e32 v2, 16, v2
	global_store_dword v[0:1], v2, off
.LBB39_813:
	s_mov_b64 s[8:9], 0
.LBB39_814:
	s_and_b64 vcc, exec, s[8:9]
	s_cbranch_vccz .LBB39_819
; %bb.815:
	s_cmp_eq_u32 s12, 44
	s_mov_b64 s[2:3], -1
	s_cbranch_scc0 .LBB39_819
; %bb.816:
	s_sext_i32_i16 s2, s14
	v_cvt_f32_i32_e32 v2, s2
	v_mov_b32_e32 v3, 0xff
	v_readfirstlane_b32 s2, v2
	s_bfe_u32 s3, s2, 0x80017
	s_cmpk_eq_i32 s3, 0xff
	s_cbranch_scc1 .LBB39_818
; %bb.817:
	s_bitcmp1_b32 s2, 22
	s_cselect_b64 s[8:9], -1, 0
	s_and_b32 s2, s2, 0x3fffff
	s_or_b32 s2, s3, s2
	s_cmp_lg_u32 s2, 0
	s_cselect_b64 s[2:3], -1, 0
	s_and_b64 s[2:3], s[8:9], s[2:3]
	v_lshrrev_b32_e32 v2, 23, v2
	v_cndmask_b32_e64 v3, 0, 1, s[2:3]
	v_add_u32_e32 v3, v2, v3
.LBB39_818:
	s_mov_b64 s[2:3], 0
	global_store_byte v[0:1], v3, off
.LBB39_819:
	s_mov_b64 s[8:9], 0
.LBB39_820:
	s_and_b64 vcc, exec, s[8:9]
	s_cbranch_vccz .LBB39_823
; %bb.821:
	s_cmp_eq_u32 s12, 29
	s_mov_b64 s[2:3], -1
	s_cbranch_scc0 .LBB39_823
; %bb.822:
	s_sext_i32_i16 s2, s14
	s_ashr_i32 s3, s2, 31
	v_mov_b32_e32 v2, s2
	v_mov_b32_e32 v3, s3
	global_store_dwordx2 v[0:1], v[2:3], off
	s_mov_b64 s[2:3], 0
.LBB39_823:
	s_mov_b64 s[8:9], 0
.LBB39_824:
	s_and_b64 vcc, exec, s[8:9]
	s_cbranch_vccz .LBB39_858
; %bb.825:
	s_cmp_lt_i32 s12, 27
	s_mov_b64 s[8:9], -1
	s_cbranch_scc1 .LBB39_831
; %bb.826:
	s_cmp_gt_i32 s12, 27
	s_cbranch_scc0 .LBB39_828
; %bb.827:
	s_sext_i32_i16 s8, s14
	v_mov_b32_e32 v2, s8
	global_store_dword v[0:1], v2, off
	s_mov_b64 s[8:9], 0
.LBB39_828:
	s_andn2_b64 vcc, exec, s[8:9]
	s_cbranch_vccnz .LBB39_830
; %bb.829:
	v_mov_b32_e32 v2, s14
	global_store_short v[0:1], v2, off
.LBB39_830:
	s_mov_b64 s[8:9], 0
.LBB39_831:
	s_andn2_b64 vcc, exec, s[8:9]
	s_cbranch_vccnz .LBB39_858
; %bb.832:
	s_sext_i32_i16 s8, s14
	v_cvt_f32_i32_e32 v2, s8
	v_mov_b32_e32 v3, 0x80
	v_readfirstlane_b32 s13, v2
	s_and_b32 s8, s13, 0x7fffffff
	s_cmp_gt_u32 s8, 0x437fffff
	s_cbranch_scc1 .LBB39_857
; %bb.833:
	s_cmp_gt_u32 s8, 0x3bffffff
	s_cbranch_scc0 .LBB39_852
; %bb.834:
	s_bfe_u32 s8, s13, 0x10014
	s_add_i32 s8, s13, s8
	s_add_i32 s8, s8, 0x487ffff
	s_lshr_b32 s16, s8, 20
	s_mov_b64 s[10:11], 0
	s_mov_b64 s[8:9], -1
	s_branch .LBB39_853
.LBB39_835:
	s_mov_b64 s[4:5], 0
	s_mov_b64 s[2:3], -1
	s_branch .LBB39_948
.LBB39_836:
	s_trap 2
	s_or_b64 s[0:1], s[0:1], exec
	s_cbranch_execz .LBB39_736
	s_branch .LBB39_737
.LBB39_837:
	s_mov_b64 s[12:13], -1
	s_mov_b64 s[10:11], 0
                                        ; implicit-def: $sgpr18
.LBB39_838:
	s_andn2_b64 vcc, exec, s[12:13]
	v_mov_b32_e32 v3, s18
	s_cbranch_vccnz .LBB39_840
; %bb.839:
	v_mov_b32_e32 v3, 0x46000000
	v_add_f32_e64 v3, |s17|, v3
	v_and_b32_e32 v3, 0xff, v3
	v_cmp_ne_u32_e64 s[10:11], 0, v3
.LBB39_840:
	s_andn2_b64 vcc, exec, s[10:11]
	v_mov_b32_e32 v4, 0
	s_cbranch_vccnz .LBB39_842
; %bb.841:
	s_lshr_b32 s10, s17, 24
	s_and_b32 s10, s10, 0x80
	v_or_b32_e32 v4, s10, v3
.LBB39_842:
	global_store_byte v[1:2], v4, off
.LBB39_843:
	s_mov_b64 s[10:11], -1
.LBB39_844:
	s_mov_b64 s[12:13], 0
.LBB39_845:
	s_and_b64 vcc, exec, s[12:13]
	s_cbranch_vccz .LBB39_905
; %bb.846:
	s_cmp_gt_i32 s16, 22
	s_mov_b64 s[8:9], -1
	s_cbranch_scc0 .LBB39_898
; %bb.847:
	s_cmp_lt_i32 s16, 24
	s_cbranch_scc1 .LBB39_885
; %bb.848:
	s_cmp_gt_i32 s16, 24
	s_cbranch_scc0 .LBB39_872
; %bb.849:
	s_sext_i32_i16 s8, s14
	v_cvt_f32_i32_e32 v3, s8
	v_mov_b32_e32 v4, 0x80
	v_readfirstlane_b32 s12, v3
	s_and_b32 s8, s12, 0x7fffffff
	s_cmp_gt_u32 s8, 0x477fffff
	s_cbranch_scc1 .LBB39_871
; %bb.850:
	s_cmp_gt_u32 s8, 0x37ffffff
	s_cbranch_scc0 .LBB39_866
; %bb.851:
	s_bfe_u32 s8, s12, 0x10015
	s_add_i32 s8, s12, s8
	s_add_i32 s8, s8, 0x88fffff
	s_lshr_b32 s13, s8, 21
	s_mov_b64 s[10:11], 0
	s_mov_b64 s[8:9], -1
	s_branch .LBB39_867
.LBB39_852:
	s_mov_b64 s[10:11], -1
	s_mov_b64 s[8:9], 0
                                        ; implicit-def: $sgpr16
.LBB39_853:
	s_andn2_b64 vcc, exec, s[10:11]
	v_mov_b32_e32 v2, s16
	s_cbranch_vccnz .LBB39_855
; %bb.854:
	v_mov_b32_e32 v2, 0x46000000
	v_add_f32_e64 v2, |s13|, v2
	v_and_b32_e32 v2, 0xff, v2
	v_cmp_ne_u32_e64 s[8:9], 0, v2
.LBB39_855:
	s_andn2_b64 vcc, exec, s[8:9]
	v_mov_b32_e32 v3, 0
	s_cbranch_vccnz .LBB39_857
; %bb.856:
	s_lshr_b32 s8, s13, 24
	s_and_b32 s8, s8, 0x80
	v_or_b32_e32 v3, s8, v2
.LBB39_857:
	global_store_byte v[0:1], v3, off
.LBB39_858:
	s_mov_b64 s[8:9], 0
.LBB39_859:
	s_and_b64 vcc, exec, s[8:9]
	s_cbranch_vccz .LBB39_1032
; %bb.860:
	s_cmp_gt_i32 s12, 22
	s_mov_b64 s[4:5], -1
	s_cbranch_scc0 .LBB39_1025
; %bb.861:
	s_cmp_lt_i32 s12, 24
	s_cbranch_scc1 .LBB39_1012
; %bb.862:
	s_cmp_gt_i32 s12, 24
	s_cbranch_scc0 .LBB39_999
; %bb.863:
	s_sext_i32_i16 s4, s14
	v_cvt_f32_i32_e32 v2, s4
	v_mov_b32_e32 v3, 0x80
	v_readfirstlane_b32 s10, v2
	s_and_b32 s4, s10, 0x7fffffff
	s_cmp_gt_u32 s4, 0x477fffff
	s_cbranch_scc1 .LBB39_998
; %bb.864:
	s_cmp_gt_u32 s4, 0x37ffffff
	s_cbranch_scc0 .LBB39_993
; %bb.865:
	s_bfe_u32 s4, s10, 0x10015
	s_add_i32 s4, s10, s4
	s_add_i32 s4, s4, 0x88fffff
	s_lshr_b32 s11, s4, 21
	s_mov_b64 s[8:9], 0
	s_mov_b64 s[4:5], -1
	s_branch .LBB39_994
.LBB39_866:
	s_mov_b64 s[10:11], -1
	s_mov_b64 s[8:9], 0
                                        ; implicit-def: $sgpr13
.LBB39_867:
	s_andn2_b64 vcc, exec, s[10:11]
	v_mov_b32_e32 v3, s13
	s_cbranch_vccnz .LBB39_869
; %bb.868:
	v_mov_b32_e32 v3, 0x42800000
	v_add_f32_e64 v3, |s12|, v3
	v_and_b32_e32 v3, 0xff, v3
	v_cmp_ne_u32_e64 s[8:9], 0, v3
.LBB39_869:
	s_andn2_b64 vcc, exec, s[8:9]
	v_mov_b32_e32 v4, 0
	s_cbranch_vccnz .LBB39_871
; %bb.870:
	s_lshr_b32 s8, s12, 24
	s_and_b32 s8, s8, 0x80
	v_or_b32_e32 v4, s8, v3
.LBB39_871:
	s_mov_b64 s[8:9], 0
	global_store_byte v[1:2], v4, off
.LBB39_872:
	s_and_b64 vcc, exec, s[8:9]
	s_cbranch_vccz .LBB39_884
; %bb.873:
	s_sext_i32_i16 s8, s14
	v_cvt_f32_i32_e32 v3, s8
	v_readfirstlane_b32 s10, v3
	s_and_b32 s11, s10, 0x7fffffff
	s_cmp_lt_u32 s11, 0x43f00000
	s_cbranch_scc0 .LBB39_876
; %bb.874:
	s_cmp_gt_u32 s11, 0x3c7fffff
	s_cbranch_scc0 .LBB39_877
; %bb.875:
	s_bfe_u32 s8, s10, 0x10014
	s_add_i32 s8, s10, s8
	s_add_i32 s8, s8, 0x407ffff
	s_lshr_b32 s9, s8, 20
	s_and_b32 s8, s8, 0xff00000
	s_cmp_lg_u32 s8, 0x7f00000
	s_cselect_b32 s12, s9, 0x7e
	s_mov_b64 s[8:9], 0
	s_branch .LBB39_878
.LBB39_876:
	s_mov_b64 s[8:9], -1
                                        ; implicit-def: $vgpr4
	s_branch .LBB39_881
.LBB39_877:
	s_mov_b64 s[8:9], -1
                                        ; implicit-def: $sgpr12
.LBB39_878:
	s_andn2_b64 vcc, exec, s[8:9]
	v_mov_b32_e32 v4, s12
	s_cbranch_vccnz .LBB39_880
; %bb.879:
	s_mov_b32 s8, 0x46800000
	v_add_f32_e64 v4, |v3|, s8
.LBB39_880:
	s_mov_b64 s[8:9], 0
.LBB39_881:
	s_andn2_b64 vcc, exec, s[8:9]
	s_cbranch_vccnz .LBB39_883
; %bb.882:
	s_cmp_gt_u32 s11, 0x7f800000
	s_movk_i32 s8, 0x7f
	s_cselect_b32 s8, s8, 0x7e
	v_mov_b32_e32 v4, s8
.LBB39_883:
	s_lshr_b32 s8, s10, 24
	s_and_b32 s8, s8, 0x80
	v_or_b32_e32 v3, s8, v4
	global_store_byte v[1:2], v3, off
.LBB39_884:
	s_mov_b64 s[8:9], 0
.LBB39_885:
	s_andn2_b64 vcc, exec, s[8:9]
	s_cbranch_vccnz .LBB39_897
; %bb.886:
	s_sext_i32_i16 s8, s14
	v_cvt_f32_i32_e32 v3, s8
	v_readfirstlane_b32 s10, v3
	s_and_b32 s11, s10, 0x7fffffff
	s_cmp_lt_u32 s11, 0x47800000
	s_cbranch_scc0 .LBB39_889
; %bb.887:
	s_cmp_gt_u32 s11, 0x387fffff
	s_cbranch_scc0 .LBB39_890
; %bb.888:
	s_bfe_u32 s8, s10, 0x10015
	s_add_i32 s8, s10, s8
	s_add_i32 s8, s8, 0x80fffff
	s_lshr_b32 s12, s8, 21
	s_mov_b64 s[8:9], 0
	s_branch .LBB39_891
.LBB39_889:
	s_mov_b64 s[8:9], -1
                                        ; implicit-def: $vgpr4
	s_branch .LBB39_894
.LBB39_890:
	s_mov_b64 s[8:9], -1
                                        ; implicit-def: $sgpr12
.LBB39_891:
	s_andn2_b64 vcc, exec, s[8:9]
	v_mov_b32_e32 v4, s12
	s_cbranch_vccnz .LBB39_893
; %bb.892:
	s_mov_b32 s8, 0x43000000
	v_add_f32_e64 v4, |v3|, s8
.LBB39_893:
	s_mov_b64 s[8:9], 0
.LBB39_894:
	s_andn2_b64 vcc, exec, s[8:9]
	s_cbranch_vccnz .LBB39_896
; %bb.895:
	s_cmp_gt_u32 s11, 0x7f800000
	s_movk_i32 s8, 0x7f
	s_cselect_b32 s8, s8, 0x7c
	v_mov_b32_e32 v4, s8
.LBB39_896:
	s_lshr_b32 s8, s10, 24
	s_and_b32 s8, s8, 0x80
	v_or_b32_e32 v3, s8, v4
	global_store_byte v[1:2], v3, off
.LBB39_897:
	s_mov_b64 s[8:9], 0
	s_mov_b64 s[10:11], -1
.LBB39_898:
	s_andn2_b64 vcc, exec, s[8:9]
	s_mov_b64 s[8:9], 0
	s_cbranch_vccnz .LBB39_905
; %bb.899:
	s_cmp_gt_i32 s16, 14
	s_mov_b64 s[12:13], -1
	s_cbranch_scc0 .LBB39_903
; %bb.900:
	s_cmp_eq_u32 s16, 15
	s_mov_b64 s[4:5], -1
	s_cbranch_scc0 .LBB39_902
; %bb.901:
	s_sext_i32_i16 s4, s14
	v_cvt_f32_i32_e32 v3, s4
	s_mov_b64 s[4:5], 0
	s_mov_b64 s[10:11], -1
	v_bfe_u32 v4, v3, 16, 1
	v_add_u32_e32 v3, v3, v4
	v_add_u32_e32 v3, 0x7fff, v3
	global_store_short_d16_hi v[1:2], v3, off
.LBB39_902:
	s_mov_b64 s[12:13], 0
.LBB39_903:
	s_and_b64 vcc, exec, s[12:13]
	s_cbranch_vccz .LBB39_905
; %bb.904:
	s_cmp_lg_u32 s16, 11
	s_mov_b64 s[8:9], -1
	s_cselect_b64 s[4:5], -1, 0
.LBB39_905:
	s_and_b64 vcc, exec, s[4:5]
	s_cbranch_vccnz .LBB39_992
; %bb.906:
	s_andn2_b64 vcc, exec, s[8:9]
	s_cbranch_vccnz .LBB39_908
.LBB39_907:
	s_and_b32 s4, 0xffff, s14
	s_cmp_lg_u32 s4, 0
	s_cselect_b64 s[4:5], -1, 0
	v_cndmask_b32_e64 v3, 0, 1, s[4:5]
	s_mov_b64 s[10:11], -1
	global_store_byte v[1:2], v3, off
.LBB39_908:
	s_branch .LBB39_805
.LBB39_909:
	s_and_b32 s8, 0xffff, s15
	s_cmp_lt_i32 s8, 5
	s_mov_b64 s[4:5], -1
	s_cbranch_scc1 .LBB39_930
; %bb.910:
	s_cmp_lt_i32 s8, 8
	s_cbranch_scc1 .LBB39_920
; %bb.911:
	s_cmp_lt_i32 s8, 9
	s_cbranch_scc1 .LBB39_917
; %bb.912:
	s_cmp_gt_i32 s8, 9
	s_cbranch_scc0 .LBB39_914
; %bb.913:
	s_sext_i32_i16 s4, s14
	v_cvt_f64_i32_e32 v[3:4], s4
	v_mov_b32_e32 v5, 0
	v_mov_b32_e32 v6, v5
	s_mov_b64 s[4:5], 0
	global_store_dwordx4 v[1:2], v[3:6], off
.LBB39_914:
	s_andn2_b64 vcc, exec, s[4:5]
	s_cbranch_vccnz .LBB39_916
; %bb.915:
	s_sext_i32_i16 s4, s14
	v_cvt_f32_i32_e32 v3, s4
	v_mov_b32_e32 v4, 0
	global_store_dwordx2 v[1:2], v[3:4], off
.LBB39_916:
	s_mov_b64 s[4:5], 0
.LBB39_917:
	s_andn2_b64 vcc, exec, s[4:5]
	s_cbranch_vccnz .LBB39_919
; %bb.918:
	v_cvt_f16_i16_e32 v3, s14
	global_store_dword v[1:2], v3, off
.LBB39_919:
	s_mov_b64 s[4:5], 0
.LBB39_920:
	s_andn2_b64 vcc, exec, s[4:5]
	s_cbranch_vccnz .LBB39_929
; %bb.921:
	s_cmp_lt_i32 s8, 6
	s_mov_b64 s[4:5], -1
	s_cbranch_scc1 .LBB39_927
; %bb.922:
	s_cmp_gt_i32 s8, 6
	s_cbranch_scc0 .LBB39_924
; %bb.923:
	s_sext_i32_i16 s4, s14
	v_cvt_f64_i32_e32 v[3:4], s4
	s_mov_b64 s[4:5], 0
	global_store_dwordx2 v[1:2], v[3:4], off
.LBB39_924:
	s_andn2_b64 vcc, exec, s[4:5]
	s_cbranch_vccnz .LBB39_926
; %bb.925:
	s_sext_i32_i16 s4, s14
	v_cvt_f32_i32_e32 v3, s4
	global_store_dword v[1:2], v3, off
.LBB39_926:
	s_mov_b64 s[4:5], 0
.LBB39_927:
	s_andn2_b64 vcc, exec, s[4:5]
	s_cbranch_vccnz .LBB39_929
; %bb.928:
	v_cvt_f16_i16_e32 v3, s14
	global_store_short v[1:2], v3, off
.LBB39_929:
	s_mov_b64 s[4:5], 0
.LBB39_930:
	s_andn2_b64 vcc, exec, s[4:5]
	s_cbranch_vccnz .LBB39_946
; %bb.931:
	s_cmp_lt_i32 s8, 2
	s_mov_b64 s[4:5], -1
	s_cbranch_scc1 .LBB39_941
; %bb.932:
	s_cmp_lt_i32 s8, 3
	s_cbranch_scc1 .LBB39_938
; %bb.933:
	s_cmp_gt_i32 s8, 3
	s_cbranch_scc0 .LBB39_935
; %bb.934:
	s_sext_i32_i16 s4, s14
	s_ashr_i32 s5, s4, 31
	v_mov_b32_e32 v3, s4
	v_mov_b32_e32 v4, s5
	global_store_dwordx2 v[1:2], v[3:4], off
	s_mov_b64 s[4:5], 0
.LBB39_935:
	s_andn2_b64 vcc, exec, s[4:5]
	s_cbranch_vccnz .LBB39_937
; %bb.936:
	s_sext_i32_i16 s4, s14
	v_mov_b32_e32 v3, s4
	global_store_dword v[1:2], v3, off
.LBB39_937:
	s_mov_b64 s[4:5], 0
.LBB39_938:
	s_andn2_b64 vcc, exec, s[4:5]
	s_cbranch_vccnz .LBB39_940
; %bb.939:
	v_mov_b32_e32 v3, s14
	global_store_short v[1:2], v3, off
.LBB39_940:
	s_mov_b64 s[4:5], 0
.LBB39_941:
	s_andn2_b64 vcc, exec, s[4:5]
	s_cbranch_vccnz .LBB39_946
; %bb.942:
	s_cmp_gt_i32 s8, 0
	s_mov_b64 s[4:5], -1
	s_cbranch_scc0 .LBB39_944
; %bb.943:
	v_mov_b32_e32 v3, s14
	global_store_byte v[1:2], v3, off
	s_mov_b64 s[4:5], 0
.LBB39_944:
	s_andn2_b64 vcc, exec, s[4:5]
	s_cbranch_vccnz .LBB39_946
; %bb.945:
	v_mov_b32_e32 v3, s14
	global_store_byte v[1:2], v3, off
.LBB39_946:
	s_branch .LBB39_806
.LBB39_947:
	s_mov_b64 s[2:3], 0
	s_mov_b64 s[4:5], 0
                                        ; implicit-def: $sgpr15
                                        ; implicit-def: $vgpr0_vgpr1
.LBB39_948:
	s_and_b64 s[30:31], s[4:5], exec
	s_andn2_b64 s[4:5], s[6:7], exec
	s_and_b64 s[0:1], s[0:1], exec
	s_and_b64 s[2:3], s[2:3], exec
	s_or_b64 s[6:7], s[4:5], s[0:1]
.LBB39_949:
	s_or_b64 exec, exec, s[24:25]
	s_and_saveexec_b64 s[0:1], s[6:7]
	s_cbranch_execz .LBB39_952
; %bb.950:
	; divergent unreachable
	s_or_b64 exec, exec, s[0:1]
	s_and_saveexec_b64 s[0:1], s[30:31]
	s_xor_b64 s[0:1], exec, s[0:1]
	s_cbranch_execnz .LBB39_953
.LBB39_951:
	s_or_b64 exec, exec, s[0:1]
	s_and_saveexec_b64 s[0:1], s[2:3]
	s_cbranch_execnz .LBB39_954
	s_branch .LBB39_991
.LBB39_952:
	s_or_b64 exec, exec, s[0:1]
	s_and_saveexec_b64 s[0:1], s[30:31]
	s_xor_b64 s[0:1], exec, s[0:1]
	s_cbranch_execz .LBB39_951
.LBB39_953:
	s_and_b32 s4, 0xffff, s14
	s_cmp_lg_u32 s4, 0
	s_cselect_b64 s[4:5], -1, 0
	v_cndmask_b32_e64 v2, 0, 1, s[4:5]
	global_store_byte v[0:1], v2, off
	s_or_b64 exec, exec, s[0:1]
	s_and_saveexec_b64 s[0:1], s[2:3]
	s_cbranch_execz .LBB39_991
.LBB39_954:
	s_sext_i32_i16 s2, s15
	s_cmp_lt_i32 s2, 5
	s_mov_b64 s[0:1], -1
	s_cbranch_scc1 .LBB39_975
; %bb.955:
	s_cmp_lt_i32 s2, 8
	s_cbranch_scc1 .LBB39_965
; %bb.956:
	s_cmp_lt_i32 s2, 9
	s_cbranch_scc1 .LBB39_962
; %bb.957:
	s_cmp_gt_i32 s2, 9
	s_cbranch_scc0 .LBB39_959
; %bb.958:
	s_sext_i32_i16 s0, s14
	v_cvt_f64_i32_e32 v[2:3], s0
	v_mov_b32_e32 v4, 0
	v_mov_b32_e32 v5, v4
	s_mov_b64 s[0:1], 0
	global_store_dwordx4 v[0:1], v[2:5], off
.LBB39_959:
	s_andn2_b64 vcc, exec, s[0:1]
	s_cbranch_vccnz .LBB39_961
; %bb.960:
	s_sext_i32_i16 s0, s14
	v_cvt_f32_i32_e32 v2, s0
	v_mov_b32_e32 v3, 0
	global_store_dwordx2 v[0:1], v[2:3], off
.LBB39_961:
	s_mov_b64 s[0:1], 0
.LBB39_962:
	s_andn2_b64 vcc, exec, s[0:1]
	s_cbranch_vccnz .LBB39_964
; %bb.963:
	v_cvt_f16_i16_e32 v2, s14
	global_store_dword v[0:1], v2, off
.LBB39_964:
	s_mov_b64 s[0:1], 0
.LBB39_965:
	s_andn2_b64 vcc, exec, s[0:1]
	s_cbranch_vccnz .LBB39_974
; %bb.966:
	s_sext_i32_i16 s2, s15
	s_cmp_lt_i32 s2, 6
	s_mov_b64 s[0:1], -1
	s_cbranch_scc1 .LBB39_972
; %bb.967:
	s_cmp_gt_i32 s2, 6
	s_cbranch_scc0 .LBB39_969
; %bb.968:
	s_sext_i32_i16 s0, s14
	v_cvt_f64_i32_e32 v[2:3], s0
	s_mov_b64 s[0:1], 0
	global_store_dwordx2 v[0:1], v[2:3], off
.LBB39_969:
	s_andn2_b64 vcc, exec, s[0:1]
	s_cbranch_vccnz .LBB39_971
; %bb.970:
	s_sext_i32_i16 s0, s14
	v_cvt_f32_i32_e32 v2, s0
	global_store_dword v[0:1], v2, off
.LBB39_971:
	s_mov_b64 s[0:1], 0
.LBB39_972:
	s_andn2_b64 vcc, exec, s[0:1]
	s_cbranch_vccnz .LBB39_974
; %bb.973:
	v_cvt_f16_i16_e32 v2, s14
	global_store_short v[0:1], v2, off
.LBB39_974:
	s_mov_b64 s[0:1], 0
.LBB39_975:
	s_andn2_b64 vcc, exec, s[0:1]
	s_cbranch_vccnz .LBB39_991
; %bb.976:
	s_sext_i32_i16 s2, s15
	s_cmp_lt_i32 s2, 2
	s_mov_b64 s[0:1], -1
	s_cbranch_scc1 .LBB39_986
; %bb.977:
	s_cmp_lt_i32 s2, 3
	s_cbranch_scc1 .LBB39_983
; %bb.978:
	s_cmp_gt_i32 s2, 3
	s_cbranch_scc0 .LBB39_980
; %bb.979:
	s_sext_i32_i16 s0, s14
	s_ashr_i32 s1, s0, 31
	v_mov_b32_e32 v2, s0
	v_mov_b32_e32 v3, s1
	global_store_dwordx2 v[0:1], v[2:3], off
	s_mov_b64 s[0:1], 0
.LBB39_980:
	s_andn2_b64 vcc, exec, s[0:1]
	s_cbranch_vccnz .LBB39_982
; %bb.981:
	s_sext_i32_i16 s0, s14
	v_mov_b32_e32 v2, s0
	global_store_dword v[0:1], v2, off
.LBB39_982:
	s_mov_b64 s[0:1], 0
.LBB39_983:
	s_andn2_b64 vcc, exec, s[0:1]
	s_cbranch_vccnz .LBB39_985
; %bb.984:
	v_mov_b32_e32 v2, s14
	global_store_short v[0:1], v2, off
.LBB39_985:
	s_mov_b64 s[0:1], 0
.LBB39_986:
	s_andn2_b64 vcc, exec, s[0:1]
	s_cbranch_vccnz .LBB39_991
; %bb.987:
	s_sext_i32_i16 s0, s15
	s_cmp_gt_i32 s0, 0
	s_mov_b64 s[0:1], -1
	s_cbranch_scc0 .LBB39_989
; %bb.988:
	v_mov_b32_e32 v2, s14
	global_store_byte v[0:1], v2, off
	s_mov_b64 s[0:1], 0
.LBB39_989:
	s_andn2_b64 vcc, exec, s[0:1]
	s_cbranch_vccnz .LBB39_991
; %bb.990:
	v_mov_b32_e32 v2, s14
	global_store_byte v[0:1], v2, off
	s_endpgm
.LBB39_991:
	s_endpgm
.LBB39_992:
	s_trap 2
	s_or_b64 s[0:1], s[0:1], exec
	s_cbranch_execz .LBB39_907
	s_branch .LBB39_908
.LBB39_993:
	s_mov_b64 s[8:9], -1
	s_mov_b64 s[4:5], 0
                                        ; implicit-def: $sgpr11
.LBB39_994:
	s_andn2_b64 vcc, exec, s[8:9]
	v_mov_b32_e32 v2, s11
	s_cbranch_vccnz .LBB39_996
; %bb.995:
	v_mov_b32_e32 v2, 0x42800000
	v_add_f32_e64 v2, |s10|, v2
	v_and_b32_e32 v2, 0xff, v2
	v_cmp_ne_u32_e64 s[4:5], 0, v2
.LBB39_996:
	s_andn2_b64 vcc, exec, s[4:5]
	v_mov_b32_e32 v3, 0
	s_cbranch_vccnz .LBB39_998
; %bb.997:
	s_lshr_b32 s4, s10, 24
	s_and_b32 s4, s4, 0x80
	v_or_b32_e32 v3, s4, v2
.LBB39_998:
	s_mov_b64 s[4:5], 0
	global_store_byte v[0:1], v3, off
.LBB39_999:
	s_and_b64 vcc, exec, s[4:5]
	s_cbranch_vccz .LBB39_1011
; %bb.1000:
	s_sext_i32_i16 s4, s14
	v_cvt_f32_i32_e32 v2, s4
	v_readfirstlane_b32 s8, v2
	s_and_b32 s9, s8, 0x7fffffff
	s_cmp_lt_u32 s9, 0x43f00000
	s_cbranch_scc0 .LBB39_1003
; %bb.1001:
	s_cmp_gt_u32 s9, 0x3c7fffff
	s_cbranch_scc0 .LBB39_1004
; %bb.1002:
	s_bfe_u32 s4, s8, 0x10014
	s_add_i32 s4, s8, s4
	s_add_i32 s4, s4, 0x407ffff
	s_lshr_b32 s5, s4, 20
	s_and_b32 s4, s4, 0xff00000
	s_cmp_lg_u32 s4, 0x7f00000
	s_cselect_b32 s10, s5, 0x7e
	s_mov_b64 s[4:5], 0
	s_branch .LBB39_1005
.LBB39_1003:
	s_mov_b64 s[4:5], -1
                                        ; implicit-def: $vgpr3
	s_branch .LBB39_1008
.LBB39_1004:
	s_mov_b64 s[4:5], -1
                                        ; implicit-def: $sgpr10
.LBB39_1005:
	s_andn2_b64 vcc, exec, s[4:5]
	v_mov_b32_e32 v3, s10
	s_cbranch_vccnz .LBB39_1007
; %bb.1006:
	s_mov_b32 s4, 0x46800000
	v_add_f32_e64 v3, |v2|, s4
.LBB39_1007:
	s_mov_b64 s[4:5], 0
.LBB39_1008:
	s_andn2_b64 vcc, exec, s[4:5]
	s_cbranch_vccnz .LBB39_1010
; %bb.1009:
	s_cmp_gt_u32 s9, 0x7f800000
	s_movk_i32 s4, 0x7f
	s_cselect_b32 s4, s4, 0x7e
	v_mov_b32_e32 v3, s4
.LBB39_1010:
	s_lshr_b32 s4, s8, 24
	s_and_b32 s4, s4, 0x80
	v_or_b32_e32 v2, s4, v3
	global_store_byte v[0:1], v2, off
.LBB39_1011:
	s_mov_b64 s[4:5], 0
.LBB39_1012:
	s_andn2_b64 vcc, exec, s[4:5]
	s_cbranch_vccnz .LBB39_1024
; %bb.1013:
	s_sext_i32_i16 s4, s14
	v_cvt_f32_i32_e32 v2, s4
	v_readfirstlane_b32 s8, v2
	s_and_b32 s9, s8, 0x7fffffff
	s_cmp_lt_u32 s9, 0x47800000
	s_cbranch_scc0 .LBB39_1016
; %bb.1014:
	s_cmp_gt_u32 s9, 0x387fffff
	s_cbranch_scc0 .LBB39_1017
; %bb.1015:
	s_bfe_u32 s4, s8, 0x10015
	s_add_i32 s4, s8, s4
	s_add_i32 s4, s4, 0x80fffff
	s_lshr_b32 s10, s4, 21
	s_mov_b64 s[4:5], 0
	s_branch .LBB39_1018
.LBB39_1016:
	s_mov_b64 s[4:5], -1
                                        ; implicit-def: $vgpr3
	s_branch .LBB39_1021
.LBB39_1017:
	s_mov_b64 s[4:5], -1
                                        ; implicit-def: $sgpr10
.LBB39_1018:
	s_andn2_b64 vcc, exec, s[4:5]
	v_mov_b32_e32 v3, s10
	s_cbranch_vccnz .LBB39_1020
; %bb.1019:
	s_mov_b32 s4, 0x43000000
	v_add_f32_e64 v3, |v2|, s4
.LBB39_1020:
	s_mov_b64 s[4:5], 0
.LBB39_1021:
	s_andn2_b64 vcc, exec, s[4:5]
	s_cbranch_vccnz .LBB39_1023
; %bb.1022:
	s_cmp_gt_u32 s9, 0x7f800000
	s_movk_i32 s4, 0x7f
	s_cselect_b32 s4, s4, 0x7c
	v_mov_b32_e32 v3, s4
.LBB39_1023:
	s_lshr_b32 s4, s8, 24
	s_and_b32 s4, s4, 0x80
	v_or_b32_e32 v2, s4, v3
	global_store_byte v[0:1], v2, off
.LBB39_1024:
	s_mov_b64 s[4:5], 0
.LBB39_1025:
	s_andn2_b64 vcc, exec, s[4:5]
	s_mov_b64 s[4:5], 0
	s_cbranch_vccnz .LBB39_1032
; %bb.1026:
	s_cmp_gt_i32 s12, 14
	s_mov_b64 s[8:9], -1
	s_cbranch_scc0 .LBB39_1030
; %bb.1027:
	s_cmp_eq_u32 s12, 15
	s_mov_b64 s[2:3], -1
	s_cbranch_scc0 .LBB39_1029
; %bb.1028:
	s_sext_i32_i16 s2, s14
	v_cvt_f32_i32_e32 v2, s2
	s_mov_b64 s[2:3], 0
	v_bfe_u32 v3, v2, 16, 1
	v_add_u32_e32 v2, v2, v3
	v_add_u32_e32 v2, 0x7fff, v2
	global_store_short_d16_hi v[0:1], v2, off
.LBB39_1029:
	s_mov_b64 s[8:9], 0
.LBB39_1030:
	s_and_b64 vcc, exec, s[8:9]
	s_cbranch_vccz .LBB39_1032
; %bb.1031:
	s_cmp_lg_u32 s12, 11
	s_mov_b64 s[4:5], -1
	s_cselect_b64 s[2:3], -1, 0
.LBB39_1032:
	s_and_b64 vcc, exec, s[2:3]
	s_cbranch_vccnz .LBB39_1034
.LBB39_1033:
	s_mov_b64 s[2:3], 0
	s_branch .LBB39_948
.LBB39_1034:
	s_mov_b64 s[4:5], 0
	s_or_b64 s[0:1], s[0:1], exec
	s_trap 2
	s_branch .LBB39_1033
	.section	.rodata,"a",@progbits
	.p2align	6, 0x0
	.amdhsa_kernel _ZN2at6native32elementwise_kernel_manual_unrollILi128ELi4EZNS0_15gpu_kernel_implINS0_11FillFunctorIsEEEEvRNS_18TensorIteratorBaseERKT_EUlibE0_EEviT1_
		.amdhsa_group_segment_fixed_size 0
		.amdhsa_private_segment_fixed_size 0
		.amdhsa_kernarg_size 288
		.amdhsa_user_sgpr_count 6
		.amdhsa_user_sgpr_private_segment_buffer 1
		.amdhsa_user_sgpr_dispatch_ptr 0
		.amdhsa_user_sgpr_queue_ptr 0
		.amdhsa_user_sgpr_kernarg_segment_ptr 1
		.amdhsa_user_sgpr_dispatch_id 0
		.amdhsa_user_sgpr_flat_scratch_init 0
		.amdhsa_user_sgpr_private_segment_size 0
		.amdhsa_uses_dynamic_stack 0
		.amdhsa_system_sgpr_private_segment_wavefront_offset 0
		.amdhsa_system_sgpr_workgroup_id_x 1
		.amdhsa_system_sgpr_workgroup_id_y 0
		.amdhsa_system_sgpr_workgroup_id_z 0
		.amdhsa_system_sgpr_workgroup_info 0
		.amdhsa_system_vgpr_workitem_id 0
		.amdhsa_next_free_vgpr 19
		.amdhsa_next_free_sgpr 96
		.amdhsa_reserve_vcc 1
		.amdhsa_reserve_flat_scratch 0
		.amdhsa_float_round_mode_32 0
		.amdhsa_float_round_mode_16_64 0
		.amdhsa_float_denorm_mode_32 3
		.amdhsa_float_denorm_mode_16_64 3
		.amdhsa_dx10_clamp 1
		.amdhsa_ieee_mode 1
		.amdhsa_fp16_overflow 0
		.amdhsa_exception_fp_ieee_invalid_op 0
		.amdhsa_exception_fp_denorm_src 0
		.amdhsa_exception_fp_ieee_div_zero 0
		.amdhsa_exception_fp_ieee_overflow 0
		.amdhsa_exception_fp_ieee_underflow 0
		.amdhsa_exception_fp_ieee_inexact 0
		.amdhsa_exception_int_div_zero 0
	.end_amdhsa_kernel
	.section	.text._ZN2at6native32elementwise_kernel_manual_unrollILi128ELi4EZNS0_15gpu_kernel_implINS0_11FillFunctorIsEEEEvRNS_18TensorIteratorBaseERKT_EUlibE0_EEviT1_,"axG",@progbits,_ZN2at6native32elementwise_kernel_manual_unrollILi128ELi4EZNS0_15gpu_kernel_implINS0_11FillFunctorIsEEEEvRNS_18TensorIteratorBaseERKT_EUlibE0_EEviT1_,comdat
.Lfunc_end39:
	.size	_ZN2at6native32elementwise_kernel_manual_unrollILi128ELi4EZNS0_15gpu_kernel_implINS0_11FillFunctorIsEEEEvRNS_18TensorIteratorBaseERKT_EUlibE0_EEviT1_, .Lfunc_end39-_ZN2at6native32elementwise_kernel_manual_unrollILi128ELi4EZNS0_15gpu_kernel_implINS0_11FillFunctorIsEEEEvRNS_18TensorIteratorBaseERKT_EUlibE0_EEviT1_
                                        ; -- End function
	.set _ZN2at6native32elementwise_kernel_manual_unrollILi128ELi4EZNS0_15gpu_kernel_implINS0_11FillFunctorIsEEEEvRNS_18TensorIteratorBaseERKT_EUlibE0_EEviT1_.num_vgpr, 19
	.set _ZN2at6native32elementwise_kernel_manual_unrollILi128ELi4EZNS0_15gpu_kernel_implINS0_11FillFunctorIsEEEEvRNS_18TensorIteratorBaseERKT_EUlibE0_EEviT1_.num_agpr, 0
	.set _ZN2at6native32elementwise_kernel_manual_unrollILi128ELi4EZNS0_15gpu_kernel_implINS0_11FillFunctorIsEEEEvRNS_18TensorIteratorBaseERKT_EUlibE0_EEviT1_.numbered_sgpr, 96
	.set _ZN2at6native32elementwise_kernel_manual_unrollILi128ELi4EZNS0_15gpu_kernel_implINS0_11FillFunctorIsEEEEvRNS_18TensorIteratorBaseERKT_EUlibE0_EEviT1_.num_named_barrier, 0
	.set _ZN2at6native32elementwise_kernel_manual_unrollILi128ELi4EZNS0_15gpu_kernel_implINS0_11FillFunctorIsEEEEvRNS_18TensorIteratorBaseERKT_EUlibE0_EEviT1_.private_seg_size, 0
	.set _ZN2at6native32elementwise_kernel_manual_unrollILi128ELi4EZNS0_15gpu_kernel_implINS0_11FillFunctorIsEEEEvRNS_18TensorIteratorBaseERKT_EUlibE0_EEviT1_.uses_vcc, 1
	.set _ZN2at6native32elementwise_kernel_manual_unrollILi128ELi4EZNS0_15gpu_kernel_implINS0_11FillFunctorIsEEEEvRNS_18TensorIteratorBaseERKT_EUlibE0_EEviT1_.uses_flat_scratch, 0
	.set _ZN2at6native32elementwise_kernel_manual_unrollILi128ELi4EZNS0_15gpu_kernel_implINS0_11FillFunctorIsEEEEvRNS_18TensorIteratorBaseERKT_EUlibE0_EEviT1_.has_dyn_sized_stack, 0
	.set _ZN2at6native32elementwise_kernel_manual_unrollILi128ELi4EZNS0_15gpu_kernel_implINS0_11FillFunctorIsEEEEvRNS_18TensorIteratorBaseERKT_EUlibE0_EEviT1_.has_recursion, 0
	.set _ZN2at6native32elementwise_kernel_manual_unrollILi128ELi4EZNS0_15gpu_kernel_implINS0_11FillFunctorIsEEEEvRNS_18TensorIteratorBaseERKT_EUlibE0_EEviT1_.has_indirect_call, 0
	.section	.AMDGPU.csdata,"",@progbits
; Kernel info:
; codeLenInByte = 17264
; TotalNumSgprs: 100
; NumVgprs: 19
; ScratchSize: 0
; MemoryBound: 0
; FloatMode: 240
; IeeeMode: 1
; LDSByteSize: 0 bytes/workgroup (compile time only)
; SGPRBlocks: 12
; VGPRBlocks: 4
; NumSGPRsForWavesPerEU: 100
; NumVGPRsForWavesPerEU: 19
; Occupancy: 8
; WaveLimiterHint : 1
; COMPUTE_PGM_RSRC2:SCRATCH_EN: 0
; COMPUTE_PGM_RSRC2:USER_SGPR: 6
; COMPUTE_PGM_RSRC2:TRAP_HANDLER: 0
; COMPUTE_PGM_RSRC2:TGID_X_EN: 1
; COMPUTE_PGM_RSRC2:TGID_Y_EN: 0
; COMPUTE_PGM_RSRC2:TGID_Z_EN: 0
; COMPUTE_PGM_RSRC2:TIDIG_COMP_CNT: 0
	.section	.text._ZN2at6native29vectorized_elementwise_kernelILi16ENS0_11FillFunctorIdEESt5arrayIPcLm1EEEEviT0_T1_,"axG",@progbits,_ZN2at6native29vectorized_elementwise_kernelILi16ENS0_11FillFunctorIdEESt5arrayIPcLm1EEEEviT0_T1_,comdat
	.protected	_ZN2at6native29vectorized_elementwise_kernelILi16ENS0_11FillFunctorIdEESt5arrayIPcLm1EEEEviT0_T1_ ; -- Begin function _ZN2at6native29vectorized_elementwise_kernelILi16ENS0_11FillFunctorIdEESt5arrayIPcLm1EEEEviT0_T1_
	.globl	_ZN2at6native29vectorized_elementwise_kernelILi16ENS0_11FillFunctorIdEESt5arrayIPcLm1EEEEviT0_T1_
	.p2align	8
	.type	_ZN2at6native29vectorized_elementwise_kernelILi16ENS0_11FillFunctorIdEESt5arrayIPcLm1EEEEviT0_T1_,@function
_ZN2at6native29vectorized_elementwise_kernelILi16ENS0_11FillFunctorIdEESt5arrayIPcLm1EEEEviT0_T1_: ; @_ZN2at6native29vectorized_elementwise_kernelILi16ENS0_11FillFunctorIdEESt5arrayIPcLm1EEEEviT0_T1_
; %bb.0:
	s_load_dword s7, s[4:5], 0x0
	s_load_dwordx4 s[0:3], s[4:5], 0x8
	s_lshl_b32 s4, s6, 10
	s_waitcnt lgkmcnt(0)
	s_sub_i32 s8, s7, s4
	s_cmpk_gt_i32 s8, 0x3ff
	s_mov_b64 s[6:7], -1
	s_cbranch_scc0 .LBB40_2
; %bb.1:
	s_ashr_i32 s5, s4, 31
	s_lshl_b64 s[6:7], s[4:5], 3
	s_mov_b32 s12, s0
	s_add_u32 s6, s2, s6
	s_mov_b32 s13, s1
	s_mov_b32 s14, s0
	;; [unrolled: 1-line block ×3, first 2 shown]
	v_mov_b32_e32 v1, s12
	s_addc_u32 s7, s3, s7
	v_lshlrev_b32_e32 v5, 5, v0
	v_mov_b32_e32 v2, s13
	v_mov_b32_e32 v3, s14
	;; [unrolled: 1-line block ×3, first 2 shown]
	global_store_dwordx4 v5, v[1:4], s[6:7]
	global_store_dwordx4 v5, v[1:4], s[6:7] offset:16
	s_mov_b64 s[6:7], 0
.LBB40_2:
	s_andn2_b64 vcc, exec, s[6:7]
	s_cbranch_vccnz .LBB40_8
; %bb.3:
	v_or_b32_e32 v9, 0x100, v0
	v_mov_b32_e32 v1, s1
	v_mov_b32_e32 v10, s0
	v_cmp_gt_i32_e64 s[0:1], s8, v9
	v_or_b32_e32 v2, 0x200, v0
	v_cndmask_b32_e64 v6, 0, v1, s[0:1]
	v_cndmask_b32_e64 v5, 0, v10, s[0:1]
	v_cmp_gt_i32_e64 s[0:1], s8, v2
	v_or_b32_e32 v2, 0x300, v0
	v_cmp_gt_i32_e32 vcc, s8, v0
	v_cndmask_b32_e64 v4, 0, v1, s[0:1]
	v_cndmask_b32_e64 v3, 0, v10, s[0:1]
	v_cmp_gt_i32_e64 s[0:1], s8, v2
	v_cndmask_b32_e32 v8, 0, v1, vcc
	v_cndmask_b32_e32 v7, 0, v10, vcc
	v_cndmask_b32_e64 v2, 0, v1, s[0:1]
	v_cndmask_b32_e64 v1, 0, v10, s[0:1]
	s_and_saveexec_b64 s[0:1], vcc
	s_cbranch_execnz .LBB40_9
; %bb.4:
	s_or_b64 exec, exec, s[0:1]
	v_cmp_gt_i32_e32 vcc, s8, v0
	s_and_saveexec_b64 s[0:1], vcc
	s_cbranch_execnz .LBB40_10
.LBB40_5:
	s_or_b64 exec, exec, s[0:1]
	v_cmp_gt_i32_e32 vcc, s8, v0
	s_and_saveexec_b64 s[0:1], vcc
	s_cbranch_execnz .LBB40_11
.LBB40_6:
	s_or_b64 exec, exec, s[0:1]
	v_cmp_gt_i32_e32 vcc, s8, v0
	s_and_saveexec_b64 s[0:1], vcc
	s_cbranch_execz .LBB40_8
.LBB40_7:
	v_add_u32_e32 v3, s4, v0
	v_mov_b32_e32 v4, 0
	v_lshlrev_b64 v[3:4], 3, v[3:4]
	v_mov_b32_e32 v0, s3
	v_add_co_u32_e32 v3, vcc, s2, v3
	v_addc_co_u32_e32 v4, vcc, v0, v4, vcc
	global_store_dwordx2 v[3:4], v[1:2], off
.LBB40_8:
	s_endpgm
.LBB40_9:
	v_or_b32_e32 v10, s4, v0
	v_mov_b32_e32 v11, 0
	v_lshlrev_b64 v[10:11], 3, v[10:11]
	v_mov_b32_e32 v0, s3
	v_add_co_u32_e32 v10, vcc, s2, v10
	v_addc_co_u32_e32 v11, vcc, v0, v11, vcc
	v_mov_b32_e32 v0, v9
	global_store_dwordx2 v[10:11], v[7:8], off
	s_or_b64 exec, exec, s[0:1]
	v_cmp_gt_i32_e32 vcc, s8, v0
	s_and_saveexec_b64 s[0:1], vcc
	s_cbranch_execz .LBB40_5
.LBB40_10:
	v_add_u32_e32 v7, s4, v0
	v_mov_b32_e32 v8, 0
	v_lshlrev_b64 v[7:8], 3, v[7:8]
	v_mov_b32_e32 v9, s3
	v_add_co_u32_e32 v7, vcc, s2, v7
	v_addc_co_u32_e32 v8, vcc, v9, v8, vcc
	v_add_u32_e32 v0, 0x100, v0
	global_store_dwordx2 v[7:8], v[5:6], off
	s_or_b64 exec, exec, s[0:1]
	v_cmp_gt_i32_e32 vcc, s8, v0
	s_and_saveexec_b64 s[0:1], vcc
	s_cbranch_execz .LBB40_6
.LBB40_11:
	v_add_u32_e32 v5, s4, v0
	v_mov_b32_e32 v6, 0
	v_lshlrev_b64 v[5:6], 3, v[5:6]
	v_mov_b32_e32 v7, s3
	v_add_co_u32_e32 v5, vcc, s2, v5
	v_addc_co_u32_e32 v6, vcc, v7, v6, vcc
	v_add_u32_e32 v0, 0x100, v0
	global_store_dwordx2 v[5:6], v[3:4], off
	s_or_b64 exec, exec, s[0:1]
	v_cmp_gt_i32_e32 vcc, s8, v0
	s_and_saveexec_b64 s[0:1], vcc
	s_cbranch_execnz .LBB40_7
	s_branch .LBB40_8
	.section	.rodata,"a",@progbits
	.p2align	6, 0x0
	.amdhsa_kernel _ZN2at6native29vectorized_elementwise_kernelILi16ENS0_11FillFunctorIdEESt5arrayIPcLm1EEEEviT0_T1_
		.amdhsa_group_segment_fixed_size 0
		.amdhsa_private_segment_fixed_size 0
		.amdhsa_kernarg_size 24
		.amdhsa_user_sgpr_count 6
		.amdhsa_user_sgpr_private_segment_buffer 1
		.amdhsa_user_sgpr_dispatch_ptr 0
		.amdhsa_user_sgpr_queue_ptr 0
		.amdhsa_user_sgpr_kernarg_segment_ptr 1
		.amdhsa_user_sgpr_dispatch_id 0
		.amdhsa_user_sgpr_flat_scratch_init 0
		.amdhsa_user_sgpr_private_segment_size 0
		.amdhsa_uses_dynamic_stack 0
		.amdhsa_system_sgpr_private_segment_wavefront_offset 0
		.amdhsa_system_sgpr_workgroup_id_x 1
		.amdhsa_system_sgpr_workgroup_id_y 0
		.amdhsa_system_sgpr_workgroup_id_z 0
		.amdhsa_system_sgpr_workgroup_info 0
		.amdhsa_system_vgpr_workitem_id 0
		.amdhsa_next_free_vgpr 12
		.amdhsa_next_free_sgpr 16
		.amdhsa_reserve_vcc 1
		.amdhsa_reserve_flat_scratch 0
		.amdhsa_float_round_mode_32 0
		.amdhsa_float_round_mode_16_64 0
		.amdhsa_float_denorm_mode_32 3
		.amdhsa_float_denorm_mode_16_64 3
		.amdhsa_dx10_clamp 1
		.amdhsa_ieee_mode 1
		.amdhsa_fp16_overflow 0
		.amdhsa_exception_fp_ieee_invalid_op 0
		.amdhsa_exception_fp_denorm_src 0
		.amdhsa_exception_fp_ieee_div_zero 0
		.amdhsa_exception_fp_ieee_overflow 0
		.amdhsa_exception_fp_ieee_underflow 0
		.amdhsa_exception_fp_ieee_inexact 0
		.amdhsa_exception_int_div_zero 0
	.end_amdhsa_kernel
	.section	.text._ZN2at6native29vectorized_elementwise_kernelILi16ENS0_11FillFunctorIdEESt5arrayIPcLm1EEEEviT0_T1_,"axG",@progbits,_ZN2at6native29vectorized_elementwise_kernelILi16ENS0_11FillFunctorIdEESt5arrayIPcLm1EEEEviT0_T1_,comdat
.Lfunc_end40:
	.size	_ZN2at6native29vectorized_elementwise_kernelILi16ENS0_11FillFunctorIdEESt5arrayIPcLm1EEEEviT0_T1_, .Lfunc_end40-_ZN2at6native29vectorized_elementwise_kernelILi16ENS0_11FillFunctorIdEESt5arrayIPcLm1EEEEviT0_T1_
                                        ; -- End function
	.set _ZN2at6native29vectorized_elementwise_kernelILi16ENS0_11FillFunctorIdEESt5arrayIPcLm1EEEEviT0_T1_.num_vgpr, 12
	.set _ZN2at6native29vectorized_elementwise_kernelILi16ENS0_11FillFunctorIdEESt5arrayIPcLm1EEEEviT0_T1_.num_agpr, 0
	.set _ZN2at6native29vectorized_elementwise_kernelILi16ENS0_11FillFunctorIdEESt5arrayIPcLm1EEEEviT0_T1_.numbered_sgpr, 16
	.set _ZN2at6native29vectorized_elementwise_kernelILi16ENS0_11FillFunctorIdEESt5arrayIPcLm1EEEEviT0_T1_.num_named_barrier, 0
	.set _ZN2at6native29vectorized_elementwise_kernelILi16ENS0_11FillFunctorIdEESt5arrayIPcLm1EEEEviT0_T1_.private_seg_size, 0
	.set _ZN2at6native29vectorized_elementwise_kernelILi16ENS0_11FillFunctorIdEESt5arrayIPcLm1EEEEviT0_T1_.uses_vcc, 1
	.set _ZN2at6native29vectorized_elementwise_kernelILi16ENS0_11FillFunctorIdEESt5arrayIPcLm1EEEEviT0_T1_.uses_flat_scratch, 0
	.set _ZN2at6native29vectorized_elementwise_kernelILi16ENS0_11FillFunctorIdEESt5arrayIPcLm1EEEEviT0_T1_.has_dyn_sized_stack, 0
	.set _ZN2at6native29vectorized_elementwise_kernelILi16ENS0_11FillFunctorIdEESt5arrayIPcLm1EEEEviT0_T1_.has_recursion, 0
	.set _ZN2at6native29vectorized_elementwise_kernelILi16ENS0_11FillFunctorIdEESt5arrayIPcLm1EEEEviT0_T1_.has_indirect_call, 0
	.section	.AMDGPU.csdata,"",@progbits
; Kernel info:
; codeLenInByte = 512
; TotalNumSgprs: 20
; NumVgprs: 12
; ScratchSize: 0
; MemoryBound: 0
; FloatMode: 240
; IeeeMode: 1
; LDSByteSize: 0 bytes/workgroup (compile time only)
; SGPRBlocks: 2
; VGPRBlocks: 2
; NumSGPRsForWavesPerEU: 20
; NumVGPRsForWavesPerEU: 12
; Occupancy: 10
; WaveLimiterHint : 0
; COMPUTE_PGM_RSRC2:SCRATCH_EN: 0
; COMPUTE_PGM_RSRC2:USER_SGPR: 6
; COMPUTE_PGM_RSRC2:TRAP_HANDLER: 0
; COMPUTE_PGM_RSRC2:TGID_X_EN: 1
; COMPUTE_PGM_RSRC2:TGID_Y_EN: 0
; COMPUTE_PGM_RSRC2:TGID_Z_EN: 0
; COMPUTE_PGM_RSRC2:TIDIG_COMP_CNT: 0
	.section	.text._ZN2at6native29vectorized_elementwise_kernelILi8ENS0_11FillFunctorIdEESt5arrayIPcLm1EEEEviT0_T1_,"axG",@progbits,_ZN2at6native29vectorized_elementwise_kernelILi8ENS0_11FillFunctorIdEESt5arrayIPcLm1EEEEviT0_T1_,comdat
	.protected	_ZN2at6native29vectorized_elementwise_kernelILi8ENS0_11FillFunctorIdEESt5arrayIPcLm1EEEEviT0_T1_ ; -- Begin function _ZN2at6native29vectorized_elementwise_kernelILi8ENS0_11FillFunctorIdEESt5arrayIPcLm1EEEEviT0_T1_
	.globl	_ZN2at6native29vectorized_elementwise_kernelILi8ENS0_11FillFunctorIdEESt5arrayIPcLm1EEEEviT0_T1_
	.p2align	8
	.type	_ZN2at6native29vectorized_elementwise_kernelILi8ENS0_11FillFunctorIdEESt5arrayIPcLm1EEEEviT0_T1_,@function
_ZN2at6native29vectorized_elementwise_kernelILi8ENS0_11FillFunctorIdEESt5arrayIPcLm1EEEEviT0_T1_: ; @_ZN2at6native29vectorized_elementwise_kernelILi8ENS0_11FillFunctorIdEESt5arrayIPcLm1EEEEviT0_T1_
; %bb.0:
	s_load_dword s7, s[4:5], 0x0
	s_load_dwordx4 s[0:3], s[4:5], 0x8
	s_lshl_b32 s4, s6, 10
	s_waitcnt lgkmcnt(0)
	s_sub_i32 s8, s7, s4
	s_cmpk_gt_i32 s8, 0x3ff
	s_mov_b64 s[6:7], -1
	s_cbranch_scc0 .LBB41_2
; %bb.1:
	s_ashr_i32 s5, s4, 31
	s_lshl_b64 s[6:7], s[4:5], 3
	s_mov_b32 s12, s0
	s_add_u32 s6, s2, s6
	s_mov_b32 s13, s1
	s_mov_b32 s14, s0
	;; [unrolled: 1-line block ×3, first 2 shown]
	v_mov_b32_e32 v1, s12
	s_addc_u32 s7, s3, s7
	v_lshlrev_b32_e32 v5, 5, v0
	v_mov_b32_e32 v2, s13
	v_mov_b32_e32 v3, s14
	;; [unrolled: 1-line block ×3, first 2 shown]
	global_store_dwordx4 v5, v[1:4], s[6:7]
	global_store_dwordx4 v5, v[1:4], s[6:7] offset:16
	s_mov_b64 s[6:7], 0
.LBB41_2:
	s_andn2_b64 vcc, exec, s[6:7]
	s_cbranch_vccnz .LBB41_8
; %bb.3:
	v_or_b32_e32 v9, 0x100, v0
	v_mov_b32_e32 v1, s1
	v_mov_b32_e32 v10, s0
	v_cmp_gt_i32_e64 s[0:1], s8, v9
	v_or_b32_e32 v2, 0x200, v0
	v_cndmask_b32_e64 v6, 0, v1, s[0:1]
	v_cndmask_b32_e64 v5, 0, v10, s[0:1]
	v_cmp_gt_i32_e64 s[0:1], s8, v2
	v_or_b32_e32 v2, 0x300, v0
	v_cmp_gt_i32_e32 vcc, s8, v0
	v_cndmask_b32_e64 v4, 0, v1, s[0:1]
	v_cndmask_b32_e64 v3, 0, v10, s[0:1]
	v_cmp_gt_i32_e64 s[0:1], s8, v2
	v_cndmask_b32_e32 v8, 0, v1, vcc
	v_cndmask_b32_e32 v7, 0, v10, vcc
	v_cndmask_b32_e64 v2, 0, v1, s[0:1]
	v_cndmask_b32_e64 v1, 0, v10, s[0:1]
	s_and_saveexec_b64 s[0:1], vcc
	s_cbranch_execnz .LBB41_9
; %bb.4:
	s_or_b64 exec, exec, s[0:1]
	v_cmp_gt_i32_e32 vcc, s8, v0
	s_and_saveexec_b64 s[0:1], vcc
	s_cbranch_execnz .LBB41_10
.LBB41_5:
	s_or_b64 exec, exec, s[0:1]
	v_cmp_gt_i32_e32 vcc, s8, v0
	s_and_saveexec_b64 s[0:1], vcc
	s_cbranch_execnz .LBB41_11
.LBB41_6:
	s_or_b64 exec, exec, s[0:1]
	v_cmp_gt_i32_e32 vcc, s8, v0
	s_and_saveexec_b64 s[0:1], vcc
	s_cbranch_execz .LBB41_8
.LBB41_7:
	v_add_u32_e32 v3, s4, v0
	v_mov_b32_e32 v4, 0
	v_lshlrev_b64 v[3:4], 3, v[3:4]
	v_mov_b32_e32 v0, s3
	v_add_co_u32_e32 v3, vcc, s2, v3
	v_addc_co_u32_e32 v4, vcc, v0, v4, vcc
	global_store_dwordx2 v[3:4], v[1:2], off
.LBB41_8:
	s_endpgm
.LBB41_9:
	v_or_b32_e32 v10, s4, v0
	v_mov_b32_e32 v11, 0
	v_lshlrev_b64 v[10:11], 3, v[10:11]
	v_mov_b32_e32 v0, s3
	v_add_co_u32_e32 v10, vcc, s2, v10
	v_addc_co_u32_e32 v11, vcc, v0, v11, vcc
	v_mov_b32_e32 v0, v9
	global_store_dwordx2 v[10:11], v[7:8], off
	s_or_b64 exec, exec, s[0:1]
	v_cmp_gt_i32_e32 vcc, s8, v0
	s_and_saveexec_b64 s[0:1], vcc
	s_cbranch_execz .LBB41_5
.LBB41_10:
	v_add_u32_e32 v7, s4, v0
	v_mov_b32_e32 v8, 0
	v_lshlrev_b64 v[7:8], 3, v[7:8]
	v_mov_b32_e32 v9, s3
	v_add_co_u32_e32 v7, vcc, s2, v7
	v_addc_co_u32_e32 v8, vcc, v9, v8, vcc
	v_add_u32_e32 v0, 0x100, v0
	global_store_dwordx2 v[7:8], v[5:6], off
	s_or_b64 exec, exec, s[0:1]
	v_cmp_gt_i32_e32 vcc, s8, v0
	s_and_saveexec_b64 s[0:1], vcc
	s_cbranch_execz .LBB41_6
.LBB41_11:
	v_add_u32_e32 v5, s4, v0
	v_mov_b32_e32 v6, 0
	v_lshlrev_b64 v[5:6], 3, v[5:6]
	v_mov_b32_e32 v7, s3
	v_add_co_u32_e32 v5, vcc, s2, v5
	v_addc_co_u32_e32 v6, vcc, v7, v6, vcc
	v_add_u32_e32 v0, 0x100, v0
	global_store_dwordx2 v[5:6], v[3:4], off
	s_or_b64 exec, exec, s[0:1]
	v_cmp_gt_i32_e32 vcc, s8, v0
	s_and_saveexec_b64 s[0:1], vcc
	s_cbranch_execnz .LBB41_7
	s_branch .LBB41_8
	.section	.rodata,"a",@progbits
	.p2align	6, 0x0
	.amdhsa_kernel _ZN2at6native29vectorized_elementwise_kernelILi8ENS0_11FillFunctorIdEESt5arrayIPcLm1EEEEviT0_T1_
		.amdhsa_group_segment_fixed_size 0
		.amdhsa_private_segment_fixed_size 0
		.amdhsa_kernarg_size 24
		.amdhsa_user_sgpr_count 6
		.amdhsa_user_sgpr_private_segment_buffer 1
		.amdhsa_user_sgpr_dispatch_ptr 0
		.amdhsa_user_sgpr_queue_ptr 0
		.amdhsa_user_sgpr_kernarg_segment_ptr 1
		.amdhsa_user_sgpr_dispatch_id 0
		.amdhsa_user_sgpr_flat_scratch_init 0
		.amdhsa_user_sgpr_private_segment_size 0
		.amdhsa_uses_dynamic_stack 0
		.amdhsa_system_sgpr_private_segment_wavefront_offset 0
		.amdhsa_system_sgpr_workgroup_id_x 1
		.amdhsa_system_sgpr_workgroup_id_y 0
		.amdhsa_system_sgpr_workgroup_id_z 0
		.amdhsa_system_sgpr_workgroup_info 0
		.amdhsa_system_vgpr_workitem_id 0
		.amdhsa_next_free_vgpr 12
		.amdhsa_next_free_sgpr 16
		.amdhsa_reserve_vcc 1
		.amdhsa_reserve_flat_scratch 0
		.amdhsa_float_round_mode_32 0
		.amdhsa_float_round_mode_16_64 0
		.amdhsa_float_denorm_mode_32 3
		.amdhsa_float_denorm_mode_16_64 3
		.amdhsa_dx10_clamp 1
		.amdhsa_ieee_mode 1
		.amdhsa_fp16_overflow 0
		.amdhsa_exception_fp_ieee_invalid_op 0
		.amdhsa_exception_fp_denorm_src 0
		.amdhsa_exception_fp_ieee_div_zero 0
		.amdhsa_exception_fp_ieee_overflow 0
		.amdhsa_exception_fp_ieee_underflow 0
		.amdhsa_exception_fp_ieee_inexact 0
		.amdhsa_exception_int_div_zero 0
	.end_amdhsa_kernel
	.section	.text._ZN2at6native29vectorized_elementwise_kernelILi8ENS0_11FillFunctorIdEESt5arrayIPcLm1EEEEviT0_T1_,"axG",@progbits,_ZN2at6native29vectorized_elementwise_kernelILi8ENS0_11FillFunctorIdEESt5arrayIPcLm1EEEEviT0_T1_,comdat
.Lfunc_end41:
	.size	_ZN2at6native29vectorized_elementwise_kernelILi8ENS0_11FillFunctorIdEESt5arrayIPcLm1EEEEviT0_T1_, .Lfunc_end41-_ZN2at6native29vectorized_elementwise_kernelILi8ENS0_11FillFunctorIdEESt5arrayIPcLm1EEEEviT0_T1_
                                        ; -- End function
	.set _ZN2at6native29vectorized_elementwise_kernelILi8ENS0_11FillFunctorIdEESt5arrayIPcLm1EEEEviT0_T1_.num_vgpr, 12
	.set _ZN2at6native29vectorized_elementwise_kernelILi8ENS0_11FillFunctorIdEESt5arrayIPcLm1EEEEviT0_T1_.num_agpr, 0
	.set _ZN2at6native29vectorized_elementwise_kernelILi8ENS0_11FillFunctorIdEESt5arrayIPcLm1EEEEviT0_T1_.numbered_sgpr, 16
	.set _ZN2at6native29vectorized_elementwise_kernelILi8ENS0_11FillFunctorIdEESt5arrayIPcLm1EEEEviT0_T1_.num_named_barrier, 0
	.set _ZN2at6native29vectorized_elementwise_kernelILi8ENS0_11FillFunctorIdEESt5arrayIPcLm1EEEEviT0_T1_.private_seg_size, 0
	.set _ZN2at6native29vectorized_elementwise_kernelILi8ENS0_11FillFunctorIdEESt5arrayIPcLm1EEEEviT0_T1_.uses_vcc, 1
	.set _ZN2at6native29vectorized_elementwise_kernelILi8ENS0_11FillFunctorIdEESt5arrayIPcLm1EEEEviT0_T1_.uses_flat_scratch, 0
	.set _ZN2at6native29vectorized_elementwise_kernelILi8ENS0_11FillFunctorIdEESt5arrayIPcLm1EEEEviT0_T1_.has_dyn_sized_stack, 0
	.set _ZN2at6native29vectorized_elementwise_kernelILi8ENS0_11FillFunctorIdEESt5arrayIPcLm1EEEEviT0_T1_.has_recursion, 0
	.set _ZN2at6native29vectorized_elementwise_kernelILi8ENS0_11FillFunctorIdEESt5arrayIPcLm1EEEEviT0_T1_.has_indirect_call, 0
	.section	.AMDGPU.csdata,"",@progbits
; Kernel info:
; codeLenInByte = 512
; TotalNumSgprs: 20
; NumVgprs: 12
; ScratchSize: 0
; MemoryBound: 0
; FloatMode: 240
; IeeeMode: 1
; LDSByteSize: 0 bytes/workgroup (compile time only)
; SGPRBlocks: 2
; VGPRBlocks: 2
; NumSGPRsForWavesPerEU: 20
; NumVGPRsForWavesPerEU: 12
; Occupancy: 10
; WaveLimiterHint : 0
; COMPUTE_PGM_RSRC2:SCRATCH_EN: 0
; COMPUTE_PGM_RSRC2:USER_SGPR: 6
; COMPUTE_PGM_RSRC2:TRAP_HANDLER: 0
; COMPUTE_PGM_RSRC2:TGID_X_EN: 1
; COMPUTE_PGM_RSRC2:TGID_Y_EN: 0
; COMPUTE_PGM_RSRC2:TGID_Z_EN: 0
; COMPUTE_PGM_RSRC2:TIDIG_COMP_CNT: 0
	.section	.text._ZN2at6native29vectorized_elementwise_kernelILi4ENS0_11FillFunctorIdEESt5arrayIPcLm1EEEEviT0_T1_,"axG",@progbits,_ZN2at6native29vectorized_elementwise_kernelILi4ENS0_11FillFunctorIdEESt5arrayIPcLm1EEEEviT0_T1_,comdat
	.protected	_ZN2at6native29vectorized_elementwise_kernelILi4ENS0_11FillFunctorIdEESt5arrayIPcLm1EEEEviT0_T1_ ; -- Begin function _ZN2at6native29vectorized_elementwise_kernelILi4ENS0_11FillFunctorIdEESt5arrayIPcLm1EEEEviT0_T1_
	.globl	_ZN2at6native29vectorized_elementwise_kernelILi4ENS0_11FillFunctorIdEESt5arrayIPcLm1EEEEviT0_T1_
	.p2align	8
	.type	_ZN2at6native29vectorized_elementwise_kernelILi4ENS0_11FillFunctorIdEESt5arrayIPcLm1EEEEviT0_T1_,@function
_ZN2at6native29vectorized_elementwise_kernelILi4ENS0_11FillFunctorIdEESt5arrayIPcLm1EEEEviT0_T1_: ; @_ZN2at6native29vectorized_elementwise_kernelILi4ENS0_11FillFunctorIdEESt5arrayIPcLm1EEEEviT0_T1_
; %bb.0:
	s_load_dword s7, s[4:5], 0x0
	s_load_dwordx4 s[0:3], s[4:5], 0x8
	s_lshl_b32 s4, s6, 10
	s_waitcnt lgkmcnt(0)
	s_sub_i32 s8, s7, s4
	s_cmpk_gt_i32 s8, 0x3ff
	s_mov_b64 s[6:7], -1
	s_cbranch_scc0 .LBB42_2
; %bb.1:
	s_ashr_i32 s5, s4, 31
	s_lshl_b64 s[6:7], s[4:5], 3
	s_mov_b32 s12, s0
	s_add_u32 s6, s2, s6
	s_mov_b32 s13, s1
	s_mov_b32 s14, s0
	;; [unrolled: 1-line block ×3, first 2 shown]
	v_mov_b32_e32 v1, s12
	s_addc_u32 s7, s3, s7
	v_lshlrev_b32_e32 v5, 5, v0
	v_mov_b32_e32 v2, s13
	v_mov_b32_e32 v3, s14
	;; [unrolled: 1-line block ×3, first 2 shown]
	global_store_dwordx4 v5, v[1:4], s[6:7]
	global_store_dwordx4 v5, v[1:4], s[6:7] offset:16
	s_mov_b64 s[6:7], 0
.LBB42_2:
	s_andn2_b64 vcc, exec, s[6:7]
	s_cbranch_vccnz .LBB42_8
; %bb.3:
	v_or_b32_e32 v9, 0x100, v0
	v_mov_b32_e32 v1, s1
	v_mov_b32_e32 v10, s0
	v_cmp_gt_i32_e64 s[0:1], s8, v9
	v_or_b32_e32 v2, 0x200, v0
	v_cndmask_b32_e64 v6, 0, v1, s[0:1]
	v_cndmask_b32_e64 v5, 0, v10, s[0:1]
	v_cmp_gt_i32_e64 s[0:1], s8, v2
	v_or_b32_e32 v2, 0x300, v0
	v_cmp_gt_i32_e32 vcc, s8, v0
	v_cndmask_b32_e64 v4, 0, v1, s[0:1]
	v_cndmask_b32_e64 v3, 0, v10, s[0:1]
	v_cmp_gt_i32_e64 s[0:1], s8, v2
	v_cndmask_b32_e32 v8, 0, v1, vcc
	v_cndmask_b32_e32 v7, 0, v10, vcc
	v_cndmask_b32_e64 v2, 0, v1, s[0:1]
	v_cndmask_b32_e64 v1, 0, v10, s[0:1]
	s_and_saveexec_b64 s[0:1], vcc
	s_cbranch_execnz .LBB42_9
; %bb.4:
	s_or_b64 exec, exec, s[0:1]
	v_cmp_gt_i32_e32 vcc, s8, v0
	s_and_saveexec_b64 s[0:1], vcc
	s_cbranch_execnz .LBB42_10
.LBB42_5:
	s_or_b64 exec, exec, s[0:1]
	v_cmp_gt_i32_e32 vcc, s8, v0
	s_and_saveexec_b64 s[0:1], vcc
	s_cbranch_execnz .LBB42_11
.LBB42_6:
	s_or_b64 exec, exec, s[0:1]
	v_cmp_gt_i32_e32 vcc, s8, v0
	s_and_saveexec_b64 s[0:1], vcc
	s_cbranch_execz .LBB42_8
.LBB42_7:
	v_add_u32_e32 v3, s4, v0
	v_mov_b32_e32 v4, 0
	v_lshlrev_b64 v[3:4], 3, v[3:4]
	v_mov_b32_e32 v0, s3
	v_add_co_u32_e32 v3, vcc, s2, v3
	v_addc_co_u32_e32 v4, vcc, v0, v4, vcc
	global_store_dwordx2 v[3:4], v[1:2], off
.LBB42_8:
	s_endpgm
.LBB42_9:
	v_or_b32_e32 v10, s4, v0
	v_mov_b32_e32 v11, 0
	v_lshlrev_b64 v[10:11], 3, v[10:11]
	v_mov_b32_e32 v0, s3
	v_add_co_u32_e32 v10, vcc, s2, v10
	v_addc_co_u32_e32 v11, vcc, v0, v11, vcc
	v_mov_b32_e32 v0, v9
	global_store_dwordx2 v[10:11], v[7:8], off
	s_or_b64 exec, exec, s[0:1]
	v_cmp_gt_i32_e32 vcc, s8, v0
	s_and_saveexec_b64 s[0:1], vcc
	s_cbranch_execz .LBB42_5
.LBB42_10:
	v_add_u32_e32 v7, s4, v0
	v_mov_b32_e32 v8, 0
	v_lshlrev_b64 v[7:8], 3, v[7:8]
	v_mov_b32_e32 v9, s3
	v_add_co_u32_e32 v7, vcc, s2, v7
	v_addc_co_u32_e32 v8, vcc, v9, v8, vcc
	v_add_u32_e32 v0, 0x100, v0
	global_store_dwordx2 v[7:8], v[5:6], off
	s_or_b64 exec, exec, s[0:1]
	v_cmp_gt_i32_e32 vcc, s8, v0
	s_and_saveexec_b64 s[0:1], vcc
	s_cbranch_execz .LBB42_6
.LBB42_11:
	v_add_u32_e32 v5, s4, v0
	v_mov_b32_e32 v6, 0
	v_lshlrev_b64 v[5:6], 3, v[5:6]
	v_mov_b32_e32 v7, s3
	v_add_co_u32_e32 v5, vcc, s2, v5
	v_addc_co_u32_e32 v6, vcc, v7, v6, vcc
	v_add_u32_e32 v0, 0x100, v0
	global_store_dwordx2 v[5:6], v[3:4], off
	s_or_b64 exec, exec, s[0:1]
	v_cmp_gt_i32_e32 vcc, s8, v0
	s_and_saveexec_b64 s[0:1], vcc
	s_cbranch_execnz .LBB42_7
	s_branch .LBB42_8
	.section	.rodata,"a",@progbits
	.p2align	6, 0x0
	.amdhsa_kernel _ZN2at6native29vectorized_elementwise_kernelILi4ENS0_11FillFunctorIdEESt5arrayIPcLm1EEEEviT0_T1_
		.amdhsa_group_segment_fixed_size 0
		.amdhsa_private_segment_fixed_size 0
		.amdhsa_kernarg_size 24
		.amdhsa_user_sgpr_count 6
		.amdhsa_user_sgpr_private_segment_buffer 1
		.amdhsa_user_sgpr_dispatch_ptr 0
		.amdhsa_user_sgpr_queue_ptr 0
		.amdhsa_user_sgpr_kernarg_segment_ptr 1
		.amdhsa_user_sgpr_dispatch_id 0
		.amdhsa_user_sgpr_flat_scratch_init 0
		.amdhsa_user_sgpr_private_segment_size 0
		.amdhsa_uses_dynamic_stack 0
		.amdhsa_system_sgpr_private_segment_wavefront_offset 0
		.amdhsa_system_sgpr_workgroup_id_x 1
		.amdhsa_system_sgpr_workgroup_id_y 0
		.amdhsa_system_sgpr_workgroup_id_z 0
		.amdhsa_system_sgpr_workgroup_info 0
		.amdhsa_system_vgpr_workitem_id 0
		.amdhsa_next_free_vgpr 12
		.amdhsa_next_free_sgpr 16
		.amdhsa_reserve_vcc 1
		.amdhsa_reserve_flat_scratch 0
		.amdhsa_float_round_mode_32 0
		.amdhsa_float_round_mode_16_64 0
		.amdhsa_float_denorm_mode_32 3
		.amdhsa_float_denorm_mode_16_64 3
		.amdhsa_dx10_clamp 1
		.amdhsa_ieee_mode 1
		.amdhsa_fp16_overflow 0
		.amdhsa_exception_fp_ieee_invalid_op 0
		.amdhsa_exception_fp_denorm_src 0
		.amdhsa_exception_fp_ieee_div_zero 0
		.amdhsa_exception_fp_ieee_overflow 0
		.amdhsa_exception_fp_ieee_underflow 0
		.amdhsa_exception_fp_ieee_inexact 0
		.amdhsa_exception_int_div_zero 0
	.end_amdhsa_kernel
	.section	.text._ZN2at6native29vectorized_elementwise_kernelILi4ENS0_11FillFunctorIdEESt5arrayIPcLm1EEEEviT0_T1_,"axG",@progbits,_ZN2at6native29vectorized_elementwise_kernelILi4ENS0_11FillFunctorIdEESt5arrayIPcLm1EEEEviT0_T1_,comdat
.Lfunc_end42:
	.size	_ZN2at6native29vectorized_elementwise_kernelILi4ENS0_11FillFunctorIdEESt5arrayIPcLm1EEEEviT0_T1_, .Lfunc_end42-_ZN2at6native29vectorized_elementwise_kernelILi4ENS0_11FillFunctorIdEESt5arrayIPcLm1EEEEviT0_T1_
                                        ; -- End function
	.set _ZN2at6native29vectorized_elementwise_kernelILi4ENS0_11FillFunctorIdEESt5arrayIPcLm1EEEEviT0_T1_.num_vgpr, 12
	.set _ZN2at6native29vectorized_elementwise_kernelILi4ENS0_11FillFunctorIdEESt5arrayIPcLm1EEEEviT0_T1_.num_agpr, 0
	.set _ZN2at6native29vectorized_elementwise_kernelILi4ENS0_11FillFunctorIdEESt5arrayIPcLm1EEEEviT0_T1_.numbered_sgpr, 16
	.set _ZN2at6native29vectorized_elementwise_kernelILi4ENS0_11FillFunctorIdEESt5arrayIPcLm1EEEEviT0_T1_.num_named_barrier, 0
	.set _ZN2at6native29vectorized_elementwise_kernelILi4ENS0_11FillFunctorIdEESt5arrayIPcLm1EEEEviT0_T1_.private_seg_size, 0
	.set _ZN2at6native29vectorized_elementwise_kernelILi4ENS0_11FillFunctorIdEESt5arrayIPcLm1EEEEviT0_T1_.uses_vcc, 1
	.set _ZN2at6native29vectorized_elementwise_kernelILi4ENS0_11FillFunctorIdEESt5arrayIPcLm1EEEEviT0_T1_.uses_flat_scratch, 0
	.set _ZN2at6native29vectorized_elementwise_kernelILi4ENS0_11FillFunctorIdEESt5arrayIPcLm1EEEEviT0_T1_.has_dyn_sized_stack, 0
	.set _ZN2at6native29vectorized_elementwise_kernelILi4ENS0_11FillFunctorIdEESt5arrayIPcLm1EEEEviT0_T1_.has_recursion, 0
	.set _ZN2at6native29vectorized_elementwise_kernelILi4ENS0_11FillFunctorIdEESt5arrayIPcLm1EEEEviT0_T1_.has_indirect_call, 0
	.section	.AMDGPU.csdata,"",@progbits
; Kernel info:
; codeLenInByte = 512
; TotalNumSgprs: 20
; NumVgprs: 12
; ScratchSize: 0
; MemoryBound: 0
; FloatMode: 240
; IeeeMode: 1
; LDSByteSize: 0 bytes/workgroup (compile time only)
; SGPRBlocks: 2
; VGPRBlocks: 2
; NumSGPRsForWavesPerEU: 20
; NumVGPRsForWavesPerEU: 12
; Occupancy: 10
; WaveLimiterHint : 0
; COMPUTE_PGM_RSRC2:SCRATCH_EN: 0
; COMPUTE_PGM_RSRC2:USER_SGPR: 6
; COMPUTE_PGM_RSRC2:TRAP_HANDLER: 0
; COMPUTE_PGM_RSRC2:TGID_X_EN: 1
; COMPUTE_PGM_RSRC2:TGID_Y_EN: 0
; COMPUTE_PGM_RSRC2:TGID_Z_EN: 0
; COMPUTE_PGM_RSRC2:TIDIG_COMP_CNT: 0
	.section	.text._ZN2at6native29vectorized_elementwise_kernelILi2ENS0_11FillFunctorIdEESt5arrayIPcLm1EEEEviT0_T1_,"axG",@progbits,_ZN2at6native29vectorized_elementwise_kernelILi2ENS0_11FillFunctorIdEESt5arrayIPcLm1EEEEviT0_T1_,comdat
	.protected	_ZN2at6native29vectorized_elementwise_kernelILi2ENS0_11FillFunctorIdEESt5arrayIPcLm1EEEEviT0_T1_ ; -- Begin function _ZN2at6native29vectorized_elementwise_kernelILi2ENS0_11FillFunctorIdEESt5arrayIPcLm1EEEEviT0_T1_
	.globl	_ZN2at6native29vectorized_elementwise_kernelILi2ENS0_11FillFunctorIdEESt5arrayIPcLm1EEEEviT0_T1_
	.p2align	8
	.type	_ZN2at6native29vectorized_elementwise_kernelILi2ENS0_11FillFunctorIdEESt5arrayIPcLm1EEEEviT0_T1_,@function
_ZN2at6native29vectorized_elementwise_kernelILi2ENS0_11FillFunctorIdEESt5arrayIPcLm1EEEEviT0_T1_: ; @_ZN2at6native29vectorized_elementwise_kernelILi2ENS0_11FillFunctorIdEESt5arrayIPcLm1EEEEviT0_T1_
; %bb.0:
	s_load_dword s7, s[4:5], 0x0
	s_load_dwordx4 s[0:3], s[4:5], 0x8
	s_lshl_b32 s4, s6, 10
	s_waitcnt lgkmcnt(0)
	s_sub_i32 s8, s7, s4
	s_cmpk_gt_i32 s8, 0x3ff
	s_mov_b64 s[6:7], -1
	s_cbranch_scc0 .LBB43_2
; %bb.1:
	s_ashr_i32 s5, s4, 31
	s_lshl_b64 s[6:7], s[4:5], 3
	s_add_u32 s6, s2, s6
	s_addc_u32 s7, s3, s7
	v_lshlrev_b32_e32 v5, 4, v0
	v_mov_b32_e32 v1, s7
	v_add_co_u32_e32 v6, vcc, s6, v5
	s_mov_b32 s12, s0
	v_addc_co_u32_e32 v7, vcc, 0, v1, vcc
	s_mov_b32 s13, s1
	s_mov_b32 s14, s0
	;; [unrolled: 1-line block ×3, first 2 shown]
	v_mov_b32_e32 v1, s12
	v_mov_b32_e32 v2, s13
	;; [unrolled: 1-line block ×4, first 2 shown]
	global_store_dwordx4 v5, v[1:4], s[6:7]
	v_add_co_u32_e32 v5, vcc, 0x1000, v6
	v_addc_co_u32_e32 v6, vcc, 0, v7, vcc
	global_store_dwordx4 v[5:6], v[1:4], off
	s_mov_b64 s[6:7], 0
.LBB43_2:
	s_andn2_b64 vcc, exec, s[6:7]
	s_cbranch_vccnz .LBB43_8
; %bb.3:
	v_or_b32_e32 v9, 0x100, v0
	v_mov_b32_e32 v1, s1
	v_mov_b32_e32 v10, s0
	v_cmp_gt_i32_e64 s[0:1], s8, v9
	v_or_b32_e32 v2, 0x200, v0
	v_cndmask_b32_e64 v6, 0, v1, s[0:1]
	v_cndmask_b32_e64 v5, 0, v10, s[0:1]
	v_cmp_gt_i32_e64 s[0:1], s8, v2
	v_or_b32_e32 v2, 0x300, v0
	v_cmp_gt_i32_e32 vcc, s8, v0
	v_cndmask_b32_e64 v4, 0, v1, s[0:1]
	v_cndmask_b32_e64 v3, 0, v10, s[0:1]
	v_cmp_gt_i32_e64 s[0:1], s8, v2
	v_cndmask_b32_e32 v8, 0, v1, vcc
	v_cndmask_b32_e32 v7, 0, v10, vcc
	v_cndmask_b32_e64 v2, 0, v1, s[0:1]
	v_cndmask_b32_e64 v1, 0, v10, s[0:1]
	s_and_saveexec_b64 s[0:1], vcc
	s_cbranch_execnz .LBB43_9
; %bb.4:
	s_or_b64 exec, exec, s[0:1]
	v_cmp_gt_i32_e32 vcc, s8, v0
	s_and_saveexec_b64 s[0:1], vcc
	s_cbranch_execnz .LBB43_10
.LBB43_5:
	s_or_b64 exec, exec, s[0:1]
	v_cmp_gt_i32_e32 vcc, s8, v0
	s_and_saveexec_b64 s[0:1], vcc
	s_cbranch_execnz .LBB43_11
.LBB43_6:
	s_or_b64 exec, exec, s[0:1]
	v_cmp_gt_i32_e32 vcc, s8, v0
	s_and_saveexec_b64 s[0:1], vcc
	s_cbranch_execz .LBB43_8
.LBB43_7:
	v_add_u32_e32 v3, s4, v0
	v_mov_b32_e32 v4, 0
	v_lshlrev_b64 v[3:4], 3, v[3:4]
	v_mov_b32_e32 v0, s3
	v_add_co_u32_e32 v3, vcc, s2, v3
	v_addc_co_u32_e32 v4, vcc, v0, v4, vcc
	global_store_dwordx2 v[3:4], v[1:2], off
.LBB43_8:
	s_endpgm
.LBB43_9:
	v_or_b32_e32 v10, s4, v0
	v_mov_b32_e32 v11, 0
	v_lshlrev_b64 v[10:11], 3, v[10:11]
	v_mov_b32_e32 v0, s3
	v_add_co_u32_e32 v10, vcc, s2, v10
	v_addc_co_u32_e32 v11, vcc, v0, v11, vcc
	v_mov_b32_e32 v0, v9
	global_store_dwordx2 v[10:11], v[7:8], off
	s_or_b64 exec, exec, s[0:1]
	v_cmp_gt_i32_e32 vcc, s8, v0
	s_and_saveexec_b64 s[0:1], vcc
	s_cbranch_execz .LBB43_5
.LBB43_10:
	v_add_u32_e32 v7, s4, v0
	v_mov_b32_e32 v8, 0
	v_lshlrev_b64 v[7:8], 3, v[7:8]
	v_mov_b32_e32 v9, s3
	v_add_co_u32_e32 v7, vcc, s2, v7
	v_addc_co_u32_e32 v8, vcc, v9, v8, vcc
	v_add_u32_e32 v0, 0x100, v0
	global_store_dwordx2 v[7:8], v[5:6], off
	s_or_b64 exec, exec, s[0:1]
	v_cmp_gt_i32_e32 vcc, s8, v0
	s_and_saveexec_b64 s[0:1], vcc
	s_cbranch_execz .LBB43_6
.LBB43_11:
	v_add_u32_e32 v5, s4, v0
	v_mov_b32_e32 v6, 0
	v_lshlrev_b64 v[5:6], 3, v[5:6]
	v_mov_b32_e32 v7, s3
	v_add_co_u32_e32 v5, vcc, s2, v5
	v_addc_co_u32_e32 v6, vcc, v7, v6, vcc
	v_add_u32_e32 v0, 0x100, v0
	global_store_dwordx2 v[5:6], v[3:4], off
	s_or_b64 exec, exec, s[0:1]
	v_cmp_gt_i32_e32 vcc, s8, v0
	s_and_saveexec_b64 s[0:1], vcc
	s_cbranch_execnz .LBB43_7
	s_branch .LBB43_8
	.section	.rodata,"a",@progbits
	.p2align	6, 0x0
	.amdhsa_kernel _ZN2at6native29vectorized_elementwise_kernelILi2ENS0_11FillFunctorIdEESt5arrayIPcLm1EEEEviT0_T1_
		.amdhsa_group_segment_fixed_size 0
		.amdhsa_private_segment_fixed_size 0
		.amdhsa_kernarg_size 24
		.amdhsa_user_sgpr_count 6
		.amdhsa_user_sgpr_private_segment_buffer 1
		.amdhsa_user_sgpr_dispatch_ptr 0
		.amdhsa_user_sgpr_queue_ptr 0
		.amdhsa_user_sgpr_kernarg_segment_ptr 1
		.amdhsa_user_sgpr_dispatch_id 0
		.amdhsa_user_sgpr_flat_scratch_init 0
		.amdhsa_user_sgpr_private_segment_size 0
		.amdhsa_uses_dynamic_stack 0
		.amdhsa_system_sgpr_private_segment_wavefront_offset 0
		.amdhsa_system_sgpr_workgroup_id_x 1
		.amdhsa_system_sgpr_workgroup_id_y 0
		.amdhsa_system_sgpr_workgroup_id_z 0
		.amdhsa_system_sgpr_workgroup_info 0
		.amdhsa_system_vgpr_workitem_id 0
		.amdhsa_next_free_vgpr 12
		.amdhsa_next_free_sgpr 16
		.amdhsa_reserve_vcc 1
		.amdhsa_reserve_flat_scratch 0
		.amdhsa_float_round_mode_32 0
		.amdhsa_float_round_mode_16_64 0
		.amdhsa_float_denorm_mode_32 3
		.amdhsa_float_denorm_mode_16_64 3
		.amdhsa_dx10_clamp 1
		.amdhsa_ieee_mode 1
		.amdhsa_fp16_overflow 0
		.amdhsa_exception_fp_ieee_invalid_op 0
		.amdhsa_exception_fp_denorm_src 0
		.amdhsa_exception_fp_ieee_div_zero 0
		.amdhsa_exception_fp_ieee_overflow 0
		.amdhsa_exception_fp_ieee_underflow 0
		.amdhsa_exception_fp_ieee_inexact 0
		.amdhsa_exception_int_div_zero 0
	.end_amdhsa_kernel
	.section	.text._ZN2at6native29vectorized_elementwise_kernelILi2ENS0_11FillFunctorIdEESt5arrayIPcLm1EEEEviT0_T1_,"axG",@progbits,_ZN2at6native29vectorized_elementwise_kernelILi2ENS0_11FillFunctorIdEESt5arrayIPcLm1EEEEviT0_T1_,comdat
.Lfunc_end43:
	.size	_ZN2at6native29vectorized_elementwise_kernelILi2ENS0_11FillFunctorIdEESt5arrayIPcLm1EEEEviT0_T1_, .Lfunc_end43-_ZN2at6native29vectorized_elementwise_kernelILi2ENS0_11FillFunctorIdEESt5arrayIPcLm1EEEEviT0_T1_
                                        ; -- End function
	.set _ZN2at6native29vectorized_elementwise_kernelILi2ENS0_11FillFunctorIdEESt5arrayIPcLm1EEEEviT0_T1_.num_vgpr, 12
	.set _ZN2at6native29vectorized_elementwise_kernelILi2ENS0_11FillFunctorIdEESt5arrayIPcLm1EEEEviT0_T1_.num_agpr, 0
	.set _ZN2at6native29vectorized_elementwise_kernelILi2ENS0_11FillFunctorIdEESt5arrayIPcLm1EEEEviT0_T1_.numbered_sgpr, 16
	.set _ZN2at6native29vectorized_elementwise_kernelILi2ENS0_11FillFunctorIdEESt5arrayIPcLm1EEEEviT0_T1_.num_named_barrier, 0
	.set _ZN2at6native29vectorized_elementwise_kernelILi2ENS0_11FillFunctorIdEESt5arrayIPcLm1EEEEviT0_T1_.private_seg_size, 0
	.set _ZN2at6native29vectorized_elementwise_kernelILi2ENS0_11FillFunctorIdEESt5arrayIPcLm1EEEEviT0_T1_.uses_vcc, 1
	.set _ZN2at6native29vectorized_elementwise_kernelILi2ENS0_11FillFunctorIdEESt5arrayIPcLm1EEEEviT0_T1_.uses_flat_scratch, 0
	.set _ZN2at6native29vectorized_elementwise_kernelILi2ENS0_11FillFunctorIdEESt5arrayIPcLm1EEEEviT0_T1_.has_dyn_sized_stack, 0
	.set _ZN2at6native29vectorized_elementwise_kernelILi2ENS0_11FillFunctorIdEESt5arrayIPcLm1EEEEviT0_T1_.has_recursion, 0
	.set _ZN2at6native29vectorized_elementwise_kernelILi2ENS0_11FillFunctorIdEESt5arrayIPcLm1EEEEviT0_T1_.has_indirect_call, 0
	.section	.AMDGPU.csdata,"",@progbits
; Kernel info:
; codeLenInByte = 536
; TotalNumSgprs: 20
; NumVgprs: 12
; ScratchSize: 0
; MemoryBound: 0
; FloatMode: 240
; IeeeMode: 1
; LDSByteSize: 0 bytes/workgroup (compile time only)
; SGPRBlocks: 2
; VGPRBlocks: 2
; NumSGPRsForWavesPerEU: 20
; NumVGPRsForWavesPerEU: 12
; Occupancy: 10
; WaveLimiterHint : 1
; COMPUTE_PGM_RSRC2:SCRATCH_EN: 0
; COMPUTE_PGM_RSRC2:USER_SGPR: 6
; COMPUTE_PGM_RSRC2:TRAP_HANDLER: 0
; COMPUTE_PGM_RSRC2:TGID_X_EN: 1
; COMPUTE_PGM_RSRC2:TGID_Y_EN: 0
; COMPUTE_PGM_RSRC2:TGID_Z_EN: 0
; COMPUTE_PGM_RSRC2:TIDIG_COMP_CNT: 0
	.section	.text._ZN2at6native27unrolled_elementwise_kernelINS0_11FillFunctorIdEESt5arrayIPcLm1EELi4E23TrivialOffsetCalculatorILi0EjES7_ILi1EjENS0_6memory15LoadWithoutCastENSA_16StoreWithoutCastEEEviT_T0_T2_T3_T4_T5_,"axG",@progbits,_ZN2at6native27unrolled_elementwise_kernelINS0_11FillFunctorIdEESt5arrayIPcLm1EELi4E23TrivialOffsetCalculatorILi0EjES7_ILi1EjENS0_6memory15LoadWithoutCastENSA_16StoreWithoutCastEEEviT_T0_T2_T3_T4_T5_,comdat
	.protected	_ZN2at6native27unrolled_elementwise_kernelINS0_11FillFunctorIdEESt5arrayIPcLm1EELi4E23TrivialOffsetCalculatorILi0EjES7_ILi1EjENS0_6memory15LoadWithoutCastENSA_16StoreWithoutCastEEEviT_T0_T2_T3_T4_T5_ ; -- Begin function _ZN2at6native27unrolled_elementwise_kernelINS0_11FillFunctorIdEESt5arrayIPcLm1EELi4E23TrivialOffsetCalculatorILi0EjES7_ILi1EjENS0_6memory15LoadWithoutCastENSA_16StoreWithoutCastEEEviT_T0_T2_T3_T4_T5_
	.globl	_ZN2at6native27unrolled_elementwise_kernelINS0_11FillFunctorIdEESt5arrayIPcLm1EELi4E23TrivialOffsetCalculatorILi0EjES7_ILi1EjENS0_6memory15LoadWithoutCastENSA_16StoreWithoutCastEEEviT_T0_T2_T3_T4_T5_
	.p2align	8
	.type	_ZN2at6native27unrolled_elementwise_kernelINS0_11FillFunctorIdEESt5arrayIPcLm1EELi4E23TrivialOffsetCalculatorILi0EjES7_ILi1EjENS0_6memory15LoadWithoutCastENSA_16StoreWithoutCastEEEviT_T0_T2_T3_T4_T5_,@function
_ZN2at6native27unrolled_elementwise_kernelINS0_11FillFunctorIdEESt5arrayIPcLm1EELi4E23TrivialOffsetCalculatorILi0EjES7_ILi1EjENS0_6memory15LoadWithoutCastENSA_16StoreWithoutCastEEEviT_T0_T2_T3_T4_T5_: ; @_ZN2at6native27unrolled_elementwise_kernelINS0_11FillFunctorIdEESt5arrayIPcLm1EELi4E23TrivialOffsetCalculatorILi0EjES7_ILi1EjENS0_6memory15LoadWithoutCastENSA_16StoreWithoutCastEEEviT_T0_T2_T3_T4_T5_
; %bb.0:
	s_load_dword s7, s[4:5], 0x0
	s_load_dwordx4 s[0:3], s[4:5], 0x8
	s_lshl_b32 s4, s6, 10
	v_or_b32_e32 v9, 0x100, v0
	v_or_b32_e32 v2, 0x200, v0
	s_waitcnt lgkmcnt(0)
	s_sub_i32 s5, s7, s4
	v_mov_b32_e32 v1, s1
	v_mov_b32_e32 v10, s0
	v_cmp_gt_i32_e64 s[0:1], s5, v9
	v_cndmask_b32_e64 v6, 0, v1, s[0:1]
	v_cndmask_b32_e64 v5, 0, v10, s[0:1]
	v_cmp_gt_i32_e64 s[0:1], s5, v2
	v_or_b32_e32 v2, 0x300, v0
	v_cmp_gt_i32_e32 vcc, s5, v0
	v_cndmask_b32_e64 v4, 0, v1, s[0:1]
	v_cndmask_b32_e64 v3, 0, v10, s[0:1]
	v_cmp_gt_i32_e64 s[0:1], s5, v2
	v_cndmask_b32_e32 v8, 0, v1, vcc
	v_cndmask_b32_e32 v7, 0, v10, vcc
	v_cndmask_b32_e64 v2, 0, v1, s[0:1]
	v_cndmask_b32_e64 v1, 0, v10, s[0:1]
	s_and_saveexec_b64 s[0:1], vcc
	s_cbranch_execnz .LBB44_5
; %bb.1:
	s_or_b64 exec, exec, s[0:1]
	v_cmp_gt_i32_e32 vcc, s5, v0
	s_and_saveexec_b64 s[0:1], vcc
	s_cbranch_execnz .LBB44_6
.LBB44_2:
	s_or_b64 exec, exec, s[0:1]
	v_cmp_gt_i32_e32 vcc, s5, v0
	s_and_saveexec_b64 s[0:1], vcc
	s_cbranch_execnz .LBB44_7
.LBB44_3:
	s_or_b64 exec, exec, s[0:1]
	v_cmp_gt_i32_e32 vcc, s5, v0
	s_and_saveexec_b64 s[0:1], vcc
	s_cbranch_execnz .LBB44_8
.LBB44_4:
	s_endpgm
.LBB44_5:
	v_or_b32_e32 v10, s4, v0
	v_mov_b32_e32 v11, 0
	v_lshlrev_b64 v[10:11], 3, v[10:11]
	v_mov_b32_e32 v0, s3
	v_add_co_u32_e32 v10, vcc, s2, v10
	v_addc_co_u32_e32 v11, vcc, v0, v11, vcc
	v_mov_b32_e32 v0, v9
	global_store_dwordx2 v[10:11], v[7:8], off
	s_or_b64 exec, exec, s[0:1]
	v_cmp_gt_i32_e32 vcc, s5, v0
	s_and_saveexec_b64 s[0:1], vcc
	s_cbranch_execz .LBB44_2
.LBB44_6:
	v_add_u32_e32 v7, s4, v0
	v_mov_b32_e32 v8, 0
	v_lshlrev_b64 v[7:8], 3, v[7:8]
	v_add_u32_e32 v9, 0x100, v0
	v_mov_b32_e32 v0, s3
	v_add_co_u32_e32 v7, vcc, s2, v7
	v_addc_co_u32_e32 v8, vcc, v0, v8, vcc
	v_mov_b32_e32 v0, v9
	global_store_dwordx2 v[7:8], v[5:6], off
	s_or_b64 exec, exec, s[0:1]
	v_cmp_gt_i32_e32 vcc, s5, v0
	s_and_saveexec_b64 s[0:1], vcc
	s_cbranch_execz .LBB44_3
.LBB44_7:
	v_add_u32_e32 v5, s4, v0
	v_mov_b32_e32 v6, 0
	v_lshlrev_b64 v[5:6], 3, v[5:6]
	v_add_u32_e32 v7, 0x100, v0
	v_mov_b32_e32 v0, s3
	v_add_co_u32_e32 v5, vcc, s2, v5
	v_addc_co_u32_e32 v6, vcc, v0, v6, vcc
	v_mov_b32_e32 v0, v7
	global_store_dwordx2 v[5:6], v[3:4], off
	s_or_b64 exec, exec, s[0:1]
	v_cmp_gt_i32_e32 vcc, s5, v0
	s_and_saveexec_b64 s[0:1], vcc
	s_cbranch_execz .LBB44_4
.LBB44_8:
	v_add_u32_e32 v3, s4, v0
	v_mov_b32_e32 v4, 0
	v_lshlrev_b64 v[3:4], 3, v[3:4]
	v_mov_b32_e32 v0, s3
	v_add_co_u32_e32 v3, vcc, s2, v3
	v_addc_co_u32_e32 v4, vcc, v0, v4, vcc
	global_store_dwordx2 v[3:4], v[1:2], off
	s_endpgm
	.section	.rodata,"a",@progbits
	.p2align	6, 0x0
	.amdhsa_kernel _ZN2at6native27unrolled_elementwise_kernelINS0_11FillFunctorIdEESt5arrayIPcLm1EELi4E23TrivialOffsetCalculatorILi0EjES7_ILi1EjENS0_6memory15LoadWithoutCastENSA_16StoreWithoutCastEEEviT_T0_T2_T3_T4_T5_
		.amdhsa_group_segment_fixed_size 0
		.amdhsa_private_segment_fixed_size 0
		.amdhsa_kernarg_size 28
		.amdhsa_user_sgpr_count 6
		.amdhsa_user_sgpr_private_segment_buffer 1
		.amdhsa_user_sgpr_dispatch_ptr 0
		.amdhsa_user_sgpr_queue_ptr 0
		.amdhsa_user_sgpr_kernarg_segment_ptr 1
		.amdhsa_user_sgpr_dispatch_id 0
		.amdhsa_user_sgpr_flat_scratch_init 0
		.amdhsa_user_sgpr_private_segment_size 0
		.amdhsa_uses_dynamic_stack 0
		.amdhsa_system_sgpr_private_segment_wavefront_offset 0
		.amdhsa_system_sgpr_workgroup_id_x 1
		.amdhsa_system_sgpr_workgroup_id_y 0
		.amdhsa_system_sgpr_workgroup_id_z 0
		.amdhsa_system_sgpr_workgroup_info 0
		.amdhsa_system_vgpr_workitem_id 0
		.amdhsa_next_free_vgpr 12
		.amdhsa_next_free_sgpr 8
		.amdhsa_reserve_vcc 1
		.amdhsa_reserve_flat_scratch 0
		.amdhsa_float_round_mode_32 0
		.amdhsa_float_round_mode_16_64 0
		.amdhsa_float_denorm_mode_32 3
		.amdhsa_float_denorm_mode_16_64 3
		.amdhsa_dx10_clamp 1
		.amdhsa_ieee_mode 1
		.amdhsa_fp16_overflow 0
		.amdhsa_exception_fp_ieee_invalid_op 0
		.amdhsa_exception_fp_denorm_src 0
		.amdhsa_exception_fp_ieee_div_zero 0
		.amdhsa_exception_fp_ieee_overflow 0
		.amdhsa_exception_fp_ieee_underflow 0
		.amdhsa_exception_fp_ieee_inexact 0
		.amdhsa_exception_int_div_zero 0
	.end_amdhsa_kernel
	.section	.text._ZN2at6native27unrolled_elementwise_kernelINS0_11FillFunctorIdEESt5arrayIPcLm1EELi4E23TrivialOffsetCalculatorILi0EjES7_ILi1EjENS0_6memory15LoadWithoutCastENSA_16StoreWithoutCastEEEviT_T0_T2_T3_T4_T5_,"axG",@progbits,_ZN2at6native27unrolled_elementwise_kernelINS0_11FillFunctorIdEESt5arrayIPcLm1EELi4E23TrivialOffsetCalculatorILi0EjES7_ILi1EjENS0_6memory15LoadWithoutCastENSA_16StoreWithoutCastEEEviT_T0_T2_T3_T4_T5_,comdat
.Lfunc_end44:
	.size	_ZN2at6native27unrolled_elementwise_kernelINS0_11FillFunctorIdEESt5arrayIPcLm1EELi4E23TrivialOffsetCalculatorILi0EjES7_ILi1EjENS0_6memory15LoadWithoutCastENSA_16StoreWithoutCastEEEviT_T0_T2_T3_T4_T5_, .Lfunc_end44-_ZN2at6native27unrolled_elementwise_kernelINS0_11FillFunctorIdEESt5arrayIPcLm1EELi4E23TrivialOffsetCalculatorILi0EjES7_ILi1EjENS0_6memory15LoadWithoutCastENSA_16StoreWithoutCastEEEviT_T0_T2_T3_T4_T5_
                                        ; -- End function
	.set _ZN2at6native27unrolled_elementwise_kernelINS0_11FillFunctorIdEESt5arrayIPcLm1EELi4E23TrivialOffsetCalculatorILi0EjES7_ILi1EjENS0_6memory15LoadWithoutCastENSA_16StoreWithoutCastEEEviT_T0_T2_T3_T4_T5_.num_vgpr, 12
	.set _ZN2at6native27unrolled_elementwise_kernelINS0_11FillFunctorIdEESt5arrayIPcLm1EELi4E23TrivialOffsetCalculatorILi0EjES7_ILi1EjENS0_6memory15LoadWithoutCastENSA_16StoreWithoutCastEEEviT_T0_T2_T3_T4_T5_.num_agpr, 0
	.set _ZN2at6native27unrolled_elementwise_kernelINS0_11FillFunctorIdEESt5arrayIPcLm1EELi4E23TrivialOffsetCalculatorILi0EjES7_ILi1EjENS0_6memory15LoadWithoutCastENSA_16StoreWithoutCastEEEviT_T0_T2_T3_T4_T5_.numbered_sgpr, 8
	.set _ZN2at6native27unrolled_elementwise_kernelINS0_11FillFunctorIdEESt5arrayIPcLm1EELi4E23TrivialOffsetCalculatorILi0EjES7_ILi1EjENS0_6memory15LoadWithoutCastENSA_16StoreWithoutCastEEEviT_T0_T2_T3_T4_T5_.num_named_barrier, 0
	.set _ZN2at6native27unrolled_elementwise_kernelINS0_11FillFunctorIdEESt5arrayIPcLm1EELi4E23TrivialOffsetCalculatorILi0EjES7_ILi1EjENS0_6memory15LoadWithoutCastENSA_16StoreWithoutCastEEEviT_T0_T2_T3_T4_T5_.private_seg_size, 0
	.set _ZN2at6native27unrolled_elementwise_kernelINS0_11FillFunctorIdEESt5arrayIPcLm1EELi4E23TrivialOffsetCalculatorILi0EjES7_ILi1EjENS0_6memory15LoadWithoutCastENSA_16StoreWithoutCastEEEviT_T0_T2_T3_T4_T5_.uses_vcc, 1
	.set _ZN2at6native27unrolled_elementwise_kernelINS0_11FillFunctorIdEESt5arrayIPcLm1EELi4E23TrivialOffsetCalculatorILi0EjES7_ILi1EjENS0_6memory15LoadWithoutCastENSA_16StoreWithoutCastEEEviT_T0_T2_T3_T4_T5_.uses_flat_scratch, 0
	.set _ZN2at6native27unrolled_elementwise_kernelINS0_11FillFunctorIdEESt5arrayIPcLm1EELi4E23TrivialOffsetCalculatorILi0EjES7_ILi1EjENS0_6memory15LoadWithoutCastENSA_16StoreWithoutCastEEEviT_T0_T2_T3_T4_T5_.has_dyn_sized_stack, 0
	.set _ZN2at6native27unrolled_elementwise_kernelINS0_11FillFunctorIdEESt5arrayIPcLm1EELi4E23TrivialOffsetCalculatorILi0EjES7_ILi1EjENS0_6memory15LoadWithoutCastENSA_16StoreWithoutCastEEEviT_T0_T2_T3_T4_T5_.has_recursion, 0
	.set _ZN2at6native27unrolled_elementwise_kernelINS0_11FillFunctorIdEESt5arrayIPcLm1EELi4E23TrivialOffsetCalculatorILi0EjES7_ILi1EjENS0_6memory15LoadWithoutCastENSA_16StoreWithoutCastEEEviT_T0_T2_T3_T4_T5_.has_indirect_call, 0
	.section	.AMDGPU.csdata,"",@progbits
; Kernel info:
; codeLenInByte = 428
; TotalNumSgprs: 12
; NumVgprs: 12
; ScratchSize: 0
; MemoryBound: 0
; FloatMode: 240
; IeeeMode: 1
; LDSByteSize: 0 bytes/workgroup (compile time only)
; SGPRBlocks: 1
; VGPRBlocks: 2
; NumSGPRsForWavesPerEU: 12
; NumVGPRsForWavesPerEU: 12
; Occupancy: 10
; WaveLimiterHint : 0
; COMPUTE_PGM_RSRC2:SCRATCH_EN: 0
; COMPUTE_PGM_RSRC2:USER_SGPR: 6
; COMPUTE_PGM_RSRC2:TRAP_HANDLER: 0
; COMPUTE_PGM_RSRC2:TGID_X_EN: 1
; COMPUTE_PGM_RSRC2:TGID_Y_EN: 0
; COMPUTE_PGM_RSRC2:TGID_Z_EN: 0
; COMPUTE_PGM_RSRC2:TIDIG_COMP_CNT: 0
	.section	.text._ZN2at6native32elementwise_kernel_manual_unrollILi128ELi4EZNS0_22gpu_kernel_impl_nocastINS0_11FillFunctorIdEEEEvRNS_18TensorIteratorBaseERKT_EUlibE_EEviT1_,"axG",@progbits,_ZN2at6native32elementwise_kernel_manual_unrollILi128ELi4EZNS0_22gpu_kernel_impl_nocastINS0_11FillFunctorIdEEEEvRNS_18TensorIteratorBaseERKT_EUlibE_EEviT1_,comdat
	.protected	_ZN2at6native32elementwise_kernel_manual_unrollILi128ELi4EZNS0_22gpu_kernel_impl_nocastINS0_11FillFunctorIdEEEEvRNS_18TensorIteratorBaseERKT_EUlibE_EEviT1_ ; -- Begin function _ZN2at6native32elementwise_kernel_manual_unrollILi128ELi4EZNS0_22gpu_kernel_impl_nocastINS0_11FillFunctorIdEEEEvRNS_18TensorIteratorBaseERKT_EUlibE_EEviT1_
	.globl	_ZN2at6native32elementwise_kernel_manual_unrollILi128ELi4EZNS0_22gpu_kernel_impl_nocastINS0_11FillFunctorIdEEEEvRNS_18TensorIteratorBaseERKT_EUlibE_EEviT1_
	.p2align	8
	.type	_ZN2at6native32elementwise_kernel_manual_unrollILi128ELi4EZNS0_22gpu_kernel_impl_nocastINS0_11FillFunctorIdEEEEvRNS_18TensorIteratorBaseERKT_EUlibE_EEviT1_,@function
_ZN2at6native32elementwise_kernel_manual_unrollILi128ELi4EZNS0_22gpu_kernel_impl_nocastINS0_11FillFunctorIdEEEEvRNS_18TensorIteratorBaseERKT_EUlibE_EEviT1_: ; @_ZN2at6native32elementwise_kernel_manual_unrollILi128ELi4EZNS0_22gpu_kernel_impl_nocastINS0_11FillFunctorIdEEEEvRNS_18TensorIteratorBaseERKT_EUlibE_EEviT1_
; %bb.0:
	s_load_dword s49, s[4:5], 0x0
	s_load_dword s33, s[4:5], 0x8
	s_add_u32 s24, s4, 8
	s_addc_u32 s25, s5, 0
	v_lshl_or_b32 v3, s6, 9, v0
	v_or_b32_e32 v5, 0x180, v3
	s_waitcnt lgkmcnt(0)
	s_add_i32 s48, s33, -1
	s_cmp_gt_u32 s48, 1
	v_cmp_le_i32_e32 vcc, s49, v5
	s_cselect_b64 s[26:27], -1, 0
	s_and_saveexec_b64 s[0:1], vcc
	s_xor_b64 s[28:29], exec, s[0:1]
	s_cbranch_execz .LBB45_7
; %bb.1:
	s_load_dwordx4 s[12:15], s[24:25], 0x4
	s_load_dwordx2 s[34:35], s[24:25], 0x14
	s_load_dwordx2 s[30:31], s[24:25], 0xc4
	s_load_dwordx4 s[8:11], s[24:25], 0x108
	s_cmp_lg_u32 s33, 0
	s_cselect_b64 s[40:41], -1, 0
	s_add_u32 s38, s24, 0xc4
	s_addc_u32 s39, s25, 0
	s_min_u32 s50, s48, 15
	s_cmp_gt_u32 s33, 1
	s_cselect_b64 s[36:37], -1, 0
	v_cmp_gt_i32_e32 vcc, s49, v3
	s_and_saveexec_b64 s[42:43], vcc
	s_cbranch_execz .LBB45_14
; %bb.2:
	s_andn2_b64 vcc, exec, s[26:27]
	s_cbranch_vccnz .LBB45_21
; %bb.3:
	s_andn2_b64 vcc, exec, s[40:41]
	s_cbranch_vccnz .LBB45_73
; %bb.4:
	s_add_i32 s52, s50, 1
	s_cmp_eq_u32 s48, 2
	s_cbranch_scc1 .LBB45_75
; %bb.5:
	s_and_b32 s51, s52, 28
	s_mov_b32 s53, 0
	v_mov_b32_e32 v0, 0
	s_mov_b64 s[44:45], s[24:25]
	s_mov_b64 s[46:47], s[38:39]
	v_mov_b32_e32 v1, v3
.LBB45_6:                               ; =>This Inner Loop Header: Depth=1
	s_load_dwordx8 s[0:7], s[44:45], 0x4
	s_load_dwordx4 s[16:19], s[44:45], 0x24
	s_load_dwordx4 s[20:23], s[46:47], 0x0
	s_add_u32 s44, s44, 48
	s_addc_u32 s45, s45, 0
	s_waitcnt lgkmcnt(0)
	v_mul_hi_u32 v2, s1, v1
	s_add_i32 s53, s53, 4
	s_add_u32 s46, s46, 16
	s_addc_u32 s47, s47, 0
	v_add_u32_e32 v2, v1, v2
	v_lshrrev_b32_e32 v2, s2, v2
	v_mul_lo_u32 v4, v2, s0
	v_mul_hi_u32 v5, s4, v2
	s_cmp_lg_u32 s51, s53
	v_sub_u32_e32 v1, v1, v4
	v_add_u32_e32 v4, v2, v5
	v_lshrrev_b32_e32 v4, s5, v4
	v_mul_lo_u32 v5, v1, s20
	v_mul_hi_u32 v1, s7, v4
	v_mul_lo_u32 v7, v4, s3
	v_add_u32_e32 v1, v4, v1
	v_lshrrev_b32_e32 v6, s16, v1
	v_mul_hi_u32 v1, s18, v6
	v_sub_u32_e32 v2, v2, v7
	v_mul_lo_u32 v7, v6, s6
	v_mul_lo_u32 v2, v2, s21
	v_add_u32_e32 v1, v6, v1
	v_lshrrev_b32_e32 v1, s19, v1
	v_mul_lo_u32 v8, v1, s17
	v_sub_u32_e32 v4, v4, v7
	v_mul_lo_u32 v4, v4, s22
	v_add3_u32 v0, v5, v0, v2
	v_sub_u32_e32 v6, v6, v8
	v_mul_lo_u32 v6, v6, s23
	v_add3_u32 v0, v4, v0, v6
	s_cbranch_scc1 .LBB45_6
	s_branch .LBB45_76
.LBB45_7:
	s_andn2_saveexec_b64 s[0:1], s[28:29]
	s_cbranch_execz .LBB45_101
.LBB45_8:
	v_cndmask_b32_e64 v0, 0, 1, s[26:27]
	v_cmp_ne_u32_e64 s[0:1], 1, v0
	s_andn2_b64 vcc, exec, s[26:27]
	s_cbranch_vccnz .LBB45_20
; %bb.9:
	s_cmp_lg_u32 s33, 0
	s_mov_b32 s22, 0
	s_cbranch_scc0 .LBB45_23
; %bb.10:
	s_min_u32 s23, s48, 15
	s_add_i32 s23, s23, 1
	s_cmp_eq_u32 s48, 2
	s_cbranch_scc1 .LBB45_24
; %bb.11:
	s_and_b32 s22, s23, 28
	s_add_u32 s2, s24, 0xc4
	s_addc_u32 s3, s25, 0
	s_mov_b32 s26, 0
	v_mov_b32_e32 v0, 0
	s_mov_b64 s[20:21], s[24:25]
	v_mov_b32_e32 v1, v3
.LBB45_12:                              ; =>This Inner Loop Header: Depth=1
	s_waitcnt lgkmcnt(0)
	s_load_dwordx8 s[4:11], s[20:21], 0x4
	s_load_dwordx4 s[12:15], s[20:21], 0x24
	s_load_dwordx4 s[16:19], s[2:3], 0x0
	s_add_u32 s20, s20, 48
	s_addc_u32 s21, s21, 0
	s_waitcnt lgkmcnt(0)
	v_mul_hi_u32 v2, s5, v1
	s_add_i32 s26, s26, 4
	s_add_u32 s2, s2, 16
	s_addc_u32 s3, s3, 0
	v_add_u32_e32 v2, v1, v2
	v_lshrrev_b32_e32 v2, s6, v2
	v_mul_lo_u32 v4, v2, s4
	v_mul_hi_u32 v6, s8, v2
	s_cmp_lg_u32 s22, s26
	v_sub_u32_e32 v1, v1, v4
	v_add_u32_e32 v4, v2, v6
	v_lshrrev_b32_e32 v4, s9, v4
	v_mul_lo_u32 v6, v1, s16
	v_mul_hi_u32 v1, s11, v4
	v_mul_lo_u32 v8, v4, s7
	v_add_u32_e32 v1, v4, v1
	v_lshrrev_b32_e32 v7, s12, v1
	v_mul_hi_u32 v1, s14, v7
	v_sub_u32_e32 v2, v2, v8
	v_mul_lo_u32 v8, v7, s10
	v_mul_lo_u32 v2, v2, s17
	v_add_u32_e32 v1, v7, v1
	v_lshrrev_b32_e32 v1, s15, v1
	v_mul_lo_u32 v9, v1, s13
	v_sub_u32_e32 v4, v4, v8
	v_mul_lo_u32 v4, v4, s18
	v_add3_u32 v0, v6, v0, v2
	v_sub_u32_e32 v7, v7, v9
	v_mul_lo_u32 v7, v7, s19
	v_add3_u32 v0, v4, v0, v7
	s_cbranch_scc1 .LBB45_12
; %bb.13:
	s_and_b32 s6, s23, 3
	s_cmp_eq_u32 s6, 0
	s_cbranch_scc0 .LBB45_25
	s_branch .LBB45_27
.LBB45_14:
	s_or_b64 exec, exec, s[42:43]
	v_cmp_gt_i32_e32 vcc, s49, v3
	s_and_saveexec_b64 s[42:43], vcc
	s_cbranch_execz .LBB45_83
.LBB45_15:
	s_andn2_b64 vcc, exec, s[26:27]
	s_cbranch_vccnz .LBB45_22
; %bb.16:
	s_andn2_b64 vcc, exec, s[40:41]
	s_cbranch_vccnz .LBB45_74
; %bb.17:
	s_add_i32 s52, s50, 1
	s_cmp_eq_u32 s48, 2
	s_cbranch_scc1 .LBB45_91
; %bb.18:
	s_and_b32 s51, s52, 28
	s_mov_b32 s53, 0
	v_mov_b32_e32 v0, 0
	s_mov_b64 s[44:45], s[24:25]
	s_mov_b64 s[46:47], s[38:39]
	v_mov_b32_e32 v1, v3
.LBB45_19:                              ; =>This Inner Loop Header: Depth=1
	s_load_dwordx8 s[0:7], s[44:45], 0x4
	s_load_dwordx4 s[16:19], s[44:45], 0x24
	s_load_dwordx4 s[20:23], s[46:47], 0x0
	s_add_u32 s44, s44, 48
	s_addc_u32 s45, s45, 0
	s_waitcnt lgkmcnt(0)
	v_mul_hi_u32 v2, s1, v1
	s_add_i32 s53, s53, 4
	s_add_u32 s46, s46, 16
	s_addc_u32 s47, s47, 0
	v_add_u32_e32 v2, v1, v2
	v_lshrrev_b32_e32 v2, s2, v2
	v_mul_lo_u32 v4, v2, s0
	v_mul_hi_u32 v5, s4, v2
	s_cmp_eq_u32 s51, s53
	v_sub_u32_e32 v1, v1, v4
	v_add_u32_e32 v4, v2, v5
	v_lshrrev_b32_e32 v4, s5, v4
	v_mul_lo_u32 v5, v1, s20
	v_mul_hi_u32 v1, s7, v4
	v_mul_lo_u32 v7, v4, s3
	v_add_u32_e32 v1, v4, v1
	v_lshrrev_b32_e32 v6, s16, v1
	v_mul_hi_u32 v1, s18, v6
	v_sub_u32_e32 v2, v2, v7
	v_mul_lo_u32 v7, v6, s6
	v_mul_lo_u32 v2, v2, s21
	v_add_u32_e32 v1, v6, v1
	v_lshrrev_b32_e32 v1, s19, v1
	v_mul_lo_u32 v8, v1, s17
	v_sub_u32_e32 v4, v4, v7
	v_mul_lo_u32 v4, v4, s22
	v_add3_u32 v0, v5, v0, v2
	v_sub_u32_e32 v6, v6, v8
	v_mul_lo_u32 v6, v6, s23
	v_add3_u32 v0, v4, v0, v6
	s_cbranch_scc0 .LBB45_19
	s_branch .LBB45_92
.LBB45_20:
                                        ; implicit-def: $vgpr0
	s_branch .LBB45_28
.LBB45_21:
                                        ; implicit-def: $vgpr0
	s_branch .LBB45_80
.LBB45_22:
                                        ; implicit-def: $vgpr0
	s_branch .LBB45_96
.LBB45_23:
	v_mov_b32_e32 v0, 0
	s_branch .LBB45_27
.LBB45_24:
	v_mov_b32_e32 v0, 0
	v_mov_b32_e32 v1, v3
	s_and_b32 s6, s23, 3
	s_cmp_eq_u32 s6, 0
	s_cbranch_scc1 .LBB45_27
.LBB45_25:
	s_lshl_b32 s2, s22, 2
	s_add_u32 s2, s24, s2
	s_addc_u32 s3, s25, 0
	s_add_u32 s2, s2, 0xc4
	s_addc_u32 s3, s3, 0
	s_mul_i32 s4, s22, 12
	s_add_u32 s4, s24, s4
	s_addc_u32 s5, s25, 0
.LBB45_26:                              ; =>This Inner Loop Header: Depth=1
	s_waitcnt lgkmcnt(0)
	s_load_dwordx2 s[8:9], s[4:5], 0x4
	s_load_dword s7, s[4:5], 0xc
	s_add_u32 s4, s4, 12
	s_addc_u32 s5, s5, 0
	s_waitcnt lgkmcnt(0)
	v_mul_hi_u32 v2, s9, v1
	s_load_dword s9, s[2:3], 0x0
	s_add_u32 s2, s2, 4
	s_addc_u32 s3, s3, 0
	v_add_u32_e32 v2, v1, v2
	v_lshrrev_b32_e32 v2, s7, v2
	v_mul_lo_u32 v4, v2, s8
	s_add_i32 s6, s6, -1
	s_cmp_lg_u32 s6, 0
	v_sub_u32_e32 v1, v1, v4
	s_waitcnt lgkmcnt(0)
	v_mad_u64_u32 v[0:1], s[8:9], v1, s9, v[0:1]
	v_mov_b32_e32 v1, v2
	s_cbranch_scc1 .LBB45_26
.LBB45_27:
	s_cbranch_execnz .LBB45_30
.LBB45_28:
	s_load_dwordx4 s[4:7], s[24:25], 0x4
	s_load_dword s2, s[24:25], 0xc4
	s_cmp_lt_u32 s33, 2
	s_waitcnt lgkmcnt(0)
	v_mul_hi_u32 v0, s5, v3
	v_add_u32_e32 v0, v3, v0
	v_lshrrev_b32_e32 v1, s6, v0
	v_mul_lo_u32 v0, v1, s4
	v_sub_u32_e32 v0, v3, v0
	v_mul_lo_u32 v0, v0, s2
	s_cbranch_scc1 .LBB45_30
; %bb.29:
	s_load_dwordx4 s[4:7], s[24:25], 0x10
	s_load_dword s2, s[24:25], 0xc8
	s_waitcnt lgkmcnt(0)
	v_mul_hi_u32 v2, s5, v1
	v_add_u32_e32 v2, v1, v2
	v_lshrrev_b32_e32 v2, s6, v2
	v_mul_lo_u32 v2, v2, s4
	v_sub_u32_e32 v1, v1, v2
	v_mad_u64_u32 v[0:1], s[2:3], v1, s2, v[0:1]
.LBB45_30:
	s_and_b64 vcc, exec, s[0:1]
	v_add_u32_e32 v4, 0x80, v3
	s_cbranch_vccnz .LBB45_36
; %bb.31:
	s_cmp_lg_u32 s33, 0
	s_mov_b32 s22, 0
	s_cbranch_scc0 .LBB45_37
; %bb.32:
	s_min_u32 s23, s48, 15
	s_add_i32 s23, s23, 1
	s_cmp_eq_u32 s48, 2
	s_cbranch_scc1 .LBB45_38
; %bb.33:
	s_and_b32 s22, s23, 28
	s_add_u32 s2, s24, 0xc4
	s_addc_u32 s3, s25, 0
	s_mov_b32 s26, 0
	v_mov_b32_e32 v1, 0
	s_mov_b64 s[20:21], s[24:25]
	v_mov_b32_e32 v2, v4
.LBB45_34:                              ; =>This Inner Loop Header: Depth=1
	s_waitcnt lgkmcnt(0)
	s_load_dwordx8 s[4:11], s[20:21], 0x4
	s_load_dwordx4 s[12:15], s[20:21], 0x24
	s_load_dwordx4 s[16:19], s[2:3], 0x0
	s_add_u32 s20, s20, 48
	s_addc_u32 s21, s21, 0
	s_waitcnt lgkmcnt(0)
	v_mul_hi_u32 v6, s5, v2
	s_add_i32 s26, s26, 4
	s_add_u32 s2, s2, 16
	s_addc_u32 s3, s3, 0
	v_add_u32_e32 v6, v2, v6
	v_lshrrev_b32_e32 v6, s6, v6
	v_mul_lo_u32 v7, v6, s4
	v_mul_hi_u32 v8, s8, v6
	s_cmp_lg_u32 s22, s26
	v_sub_u32_e32 v2, v2, v7
	v_add_u32_e32 v7, v6, v8
	v_lshrrev_b32_e32 v7, s9, v7
	v_mul_lo_u32 v8, v2, s16
	v_mul_hi_u32 v2, s11, v7
	v_mul_lo_u32 v10, v7, s7
	v_add_u32_e32 v2, v7, v2
	v_lshrrev_b32_e32 v9, s12, v2
	v_mul_hi_u32 v2, s14, v9
	v_sub_u32_e32 v6, v6, v10
	v_mul_lo_u32 v10, v9, s10
	v_mul_lo_u32 v6, v6, s17
	v_add_u32_e32 v2, v9, v2
	v_lshrrev_b32_e32 v2, s15, v2
	v_mul_lo_u32 v11, v2, s13
	v_sub_u32_e32 v7, v7, v10
	v_mul_lo_u32 v7, v7, s18
	v_add3_u32 v1, v8, v1, v6
	v_sub_u32_e32 v9, v9, v11
	v_mul_lo_u32 v9, v9, s19
	v_add3_u32 v1, v7, v1, v9
	s_cbranch_scc1 .LBB45_34
; %bb.35:
	s_and_b32 s6, s23, 3
	s_cmp_eq_u32 s6, 0
	s_cbranch_scc0 .LBB45_39
	s_branch .LBB45_41
.LBB45_36:
                                        ; implicit-def: $vgpr1
	s_branch .LBB45_42
.LBB45_37:
	v_mov_b32_e32 v1, 0
	s_branch .LBB45_41
.LBB45_38:
	v_mov_b32_e32 v1, 0
	v_mov_b32_e32 v2, v4
	s_and_b32 s6, s23, 3
	s_cmp_eq_u32 s6, 0
	s_cbranch_scc1 .LBB45_41
.LBB45_39:
	s_lshl_b32 s2, s22, 2
	s_add_u32 s2, s24, s2
	s_addc_u32 s3, s25, 0
	s_add_u32 s2, s2, 0xc4
	s_addc_u32 s3, s3, 0
	s_mul_i32 s4, s22, 12
	s_add_u32 s4, s24, s4
	s_addc_u32 s5, s25, 0
.LBB45_40:                              ; =>This Inner Loop Header: Depth=1
	s_waitcnt lgkmcnt(0)
	s_load_dwordx2 s[8:9], s[4:5], 0x4
	s_load_dword s7, s[4:5], 0xc
	s_add_u32 s4, s4, 12
	s_addc_u32 s5, s5, 0
	s_waitcnt lgkmcnt(0)
	v_mul_hi_u32 v6, s9, v2
	s_load_dword s9, s[2:3], 0x0
	s_add_u32 s2, s2, 4
	s_addc_u32 s3, s3, 0
	v_add_u32_e32 v6, v2, v6
	v_lshrrev_b32_e32 v6, s7, v6
	v_mul_lo_u32 v7, v6, s8
	s_add_i32 s6, s6, -1
	s_cmp_lg_u32 s6, 0
	v_sub_u32_e32 v2, v2, v7
	s_waitcnt lgkmcnt(0)
	v_mad_u64_u32 v[1:2], s[8:9], v2, s9, v[1:2]
	v_mov_b32_e32 v2, v6
	s_cbranch_scc1 .LBB45_40
.LBB45_41:
	s_cbranch_execnz .LBB45_44
.LBB45_42:
	s_load_dwordx4 s[4:7], s[24:25], 0x4
	s_load_dword s2, s[24:25], 0xc4
	s_cmp_lt_u32 s33, 2
	s_waitcnt lgkmcnt(0)
	v_mul_hi_u32 v1, s5, v4
	v_add_u32_e32 v1, v4, v1
	v_lshrrev_b32_e32 v2, s6, v1
	v_mul_lo_u32 v1, v2, s4
	v_sub_u32_e32 v1, v4, v1
	v_mul_lo_u32 v1, v1, s2
	s_cbranch_scc1 .LBB45_44
; %bb.43:
	s_load_dwordx4 s[4:7], s[24:25], 0x10
	s_load_dword s2, s[24:25], 0xc8
	s_waitcnt lgkmcnt(0)
	v_mul_hi_u32 v4, s5, v2
	v_add_u32_e32 v4, v2, v4
	v_lshrrev_b32_e32 v4, s6, v4
	v_mul_lo_u32 v4, v4, s4
	v_sub_u32_e32 v2, v2, v4
	v_mad_u64_u32 v[1:2], s[2:3], v2, s2, v[1:2]
.LBB45_44:
	s_and_b64 vcc, exec, s[0:1]
	v_add_u32_e32 v4, 0x100, v3
	s_cbranch_vccnz .LBB45_50
; %bb.45:
	s_cmp_lg_u32 s33, 0
	s_mov_b32 s22, 0
	s_cbranch_scc0 .LBB45_51
; %bb.46:
	s_min_u32 s23, s48, 15
	s_add_i32 s23, s23, 1
	s_cmp_eq_u32 s48, 2
	s_cbranch_scc1 .LBB45_52
; %bb.47:
	s_and_b32 s22, s23, 28
	s_add_u32 s2, s24, 0xc4
	s_addc_u32 s3, s25, 0
	s_mov_b32 s26, 0
	v_mov_b32_e32 v2, 0
	s_mov_b64 s[20:21], s[24:25]
	v_mov_b32_e32 v3, v4
.LBB45_48:                              ; =>This Inner Loop Header: Depth=1
	s_waitcnt lgkmcnt(0)
	s_load_dwordx8 s[4:11], s[20:21], 0x4
	s_load_dwordx4 s[12:15], s[20:21], 0x24
	s_load_dwordx4 s[16:19], s[2:3], 0x0
	s_add_u32 s20, s20, 48
	s_addc_u32 s21, s21, 0
	s_waitcnt lgkmcnt(0)
	v_mul_hi_u32 v6, s5, v3
	s_add_i32 s26, s26, 4
	s_add_u32 s2, s2, 16
	s_addc_u32 s3, s3, 0
	v_add_u32_e32 v6, v3, v6
	v_lshrrev_b32_e32 v6, s6, v6
	v_mul_lo_u32 v7, v6, s4
	v_mul_hi_u32 v8, s8, v6
	s_cmp_lg_u32 s22, s26
	v_sub_u32_e32 v3, v3, v7
	v_add_u32_e32 v7, v6, v8
	v_lshrrev_b32_e32 v7, s9, v7
	v_mul_lo_u32 v8, v3, s16
	v_mul_hi_u32 v3, s11, v7
	v_mul_lo_u32 v10, v7, s7
	v_add_u32_e32 v3, v7, v3
	v_lshrrev_b32_e32 v9, s12, v3
	v_mul_hi_u32 v3, s14, v9
	v_sub_u32_e32 v6, v6, v10
	v_mul_lo_u32 v10, v9, s10
	v_mul_lo_u32 v6, v6, s17
	v_add_u32_e32 v3, v9, v3
	v_lshrrev_b32_e32 v3, s15, v3
	v_mul_lo_u32 v11, v3, s13
	v_sub_u32_e32 v7, v7, v10
	v_mul_lo_u32 v7, v7, s18
	v_add3_u32 v2, v8, v2, v6
	v_sub_u32_e32 v9, v9, v11
	v_mul_lo_u32 v9, v9, s19
	v_add3_u32 v2, v7, v2, v9
	s_cbranch_scc1 .LBB45_48
; %bb.49:
	s_and_b32 s6, s23, 3
	s_cmp_eq_u32 s6, 0
	s_cbranch_scc0 .LBB45_53
	s_branch .LBB45_55
.LBB45_50:
                                        ; implicit-def: $vgpr2
	s_branch .LBB45_56
.LBB45_51:
	v_mov_b32_e32 v2, 0
	s_branch .LBB45_55
.LBB45_52:
	v_mov_b32_e32 v2, 0
	v_mov_b32_e32 v3, v4
	s_and_b32 s6, s23, 3
	s_cmp_eq_u32 s6, 0
	s_cbranch_scc1 .LBB45_55
.LBB45_53:
	s_lshl_b32 s2, s22, 2
	s_add_u32 s2, s24, s2
	s_addc_u32 s3, s25, 0
	s_add_u32 s2, s2, 0xc4
	s_addc_u32 s3, s3, 0
	s_mul_i32 s4, s22, 12
	s_add_u32 s4, s24, s4
	s_addc_u32 s5, s25, 0
.LBB45_54:                              ; =>This Inner Loop Header: Depth=1
	s_waitcnt lgkmcnt(0)
	s_load_dwordx2 s[8:9], s[4:5], 0x4
	s_load_dword s7, s[4:5], 0xc
	s_add_u32 s4, s4, 12
	s_addc_u32 s5, s5, 0
	s_waitcnt lgkmcnt(0)
	v_mul_hi_u32 v6, s9, v3
	s_load_dword s9, s[2:3], 0x0
	s_add_u32 s2, s2, 4
	s_addc_u32 s3, s3, 0
	v_add_u32_e32 v6, v3, v6
	v_lshrrev_b32_e32 v6, s7, v6
	v_mul_lo_u32 v7, v6, s8
	s_add_i32 s6, s6, -1
	s_cmp_lg_u32 s6, 0
	v_sub_u32_e32 v3, v3, v7
	s_waitcnt lgkmcnt(0)
	v_mad_u64_u32 v[2:3], s[8:9], v3, s9, v[2:3]
	v_mov_b32_e32 v3, v6
	s_cbranch_scc1 .LBB45_54
.LBB45_55:
	s_cbranch_execnz .LBB45_58
.LBB45_56:
	s_load_dwordx4 s[4:7], s[24:25], 0x4
	s_load_dword s2, s[24:25], 0xc4
	s_cmp_lt_u32 s33, 2
	s_waitcnt lgkmcnt(0)
	v_mul_hi_u32 v2, s5, v4
	v_add_u32_e32 v2, v4, v2
	v_lshrrev_b32_e32 v3, s6, v2
	v_mul_lo_u32 v2, v3, s4
	v_sub_u32_e32 v2, v4, v2
	v_mul_lo_u32 v2, v2, s2
	s_cbranch_scc1 .LBB45_58
; %bb.57:
	s_load_dwordx4 s[4:7], s[24:25], 0x10
	s_load_dword s2, s[24:25], 0xc8
	s_waitcnt lgkmcnt(0)
	v_mul_hi_u32 v4, s5, v3
	v_add_u32_e32 v4, v3, v4
	v_lshrrev_b32_e32 v4, s6, v4
	v_mul_lo_u32 v4, v4, s4
	v_sub_u32_e32 v3, v3, v4
	v_mad_u64_u32 v[2:3], s[2:3], v3, s2, v[2:3]
.LBB45_58:
	s_and_b64 vcc, exec, s[0:1]
	s_cbranch_vccnz .LBB45_64
; %bb.59:
	s_cmp_lg_u32 s33, 0
	s_mov_b32 s20, 0
	s_cbranch_scc0 .LBB45_65
; %bb.60:
	s_min_u32 s21, s48, 15
	s_add_i32 s21, s21, 1
	s_cmp_eq_u32 s48, 2
	s_cbranch_scc1 .LBB45_66
; %bb.61:
	s_and_b32 s20, s21, 28
	s_add_u32 s16, s24, 0xc4
	s_addc_u32 s17, s25, 0
	s_mov_b32 s22, 0
	v_mov_b32_e32 v3, 0
	s_mov_b64 s[18:19], s[24:25]
	v_mov_b32_e32 v4, v5
.LBB45_62:                              ; =>This Inner Loop Header: Depth=1
	s_load_dwordx8 s[0:7], s[18:19], 0x4
	s_waitcnt lgkmcnt(0)
	s_load_dwordx4 s[8:11], s[18:19], 0x24
	s_load_dwordx4 s[12:15], s[16:17], 0x0
	s_add_u32 s18, s18, 48
	s_addc_u32 s19, s19, 0
	v_mul_hi_u32 v6, s1, v4
	s_add_i32 s22, s22, 4
	s_add_u32 s16, s16, 16
	s_addc_u32 s17, s17, 0
	v_add_u32_e32 v6, v4, v6
	v_lshrrev_b32_e32 v6, s2, v6
	v_mul_lo_u32 v7, v6, s0
	v_mul_hi_u32 v8, s4, v6
	s_cmp_lg_u32 s20, s22
	v_sub_u32_e32 v4, v4, v7
	v_add_u32_e32 v7, v6, v8
	v_lshrrev_b32_e32 v7, s5, v7
	s_waitcnt lgkmcnt(0)
	v_mul_lo_u32 v8, v4, s12
	v_mul_hi_u32 v4, s7, v7
	v_mul_lo_u32 v10, v7, s3
	v_add_u32_e32 v4, v7, v4
	v_lshrrev_b32_e32 v9, s8, v4
	v_mul_hi_u32 v4, s10, v9
	v_sub_u32_e32 v6, v6, v10
	v_mul_lo_u32 v10, v9, s6
	v_mul_lo_u32 v6, v6, s13
	v_add_u32_e32 v4, v9, v4
	v_lshrrev_b32_e32 v4, s11, v4
	v_mul_lo_u32 v11, v4, s9
	v_sub_u32_e32 v7, v7, v10
	v_mul_lo_u32 v7, v7, s14
	v_add3_u32 v3, v8, v3, v6
	v_sub_u32_e32 v9, v9, v11
	v_mul_lo_u32 v9, v9, s15
	v_add3_u32 v3, v7, v3, v9
	s_cbranch_scc1 .LBB45_62
; %bb.63:
	s_and_b32 s4, s21, 3
	s_cmp_eq_u32 s4, 0
	s_cbranch_scc0 .LBB45_67
	s_branch .LBB45_69
.LBB45_64:
                                        ; implicit-def: $vgpr3
	s_branch .LBB45_70
.LBB45_65:
	v_mov_b32_e32 v3, 0
	s_branch .LBB45_69
.LBB45_66:
	v_mov_b32_e32 v3, 0
	v_mov_b32_e32 v4, v5
	s_and_b32 s4, s21, 3
	s_cmp_eq_u32 s4, 0
	s_cbranch_scc1 .LBB45_69
.LBB45_67:
	s_lshl_b32 s0, s20, 2
	s_add_u32 s0, s24, s0
	s_addc_u32 s1, s25, 0
	s_add_u32 s0, s0, 0xc4
	s_addc_u32 s1, s1, 0
	s_mul_i32 s2, s20, 12
	s_add_u32 s2, s24, s2
	s_addc_u32 s3, s25, 0
.LBB45_68:                              ; =>This Inner Loop Header: Depth=1
	s_load_dwordx2 s[6:7], s[2:3], 0x4
	s_load_dword s5, s[2:3], 0xc
	s_add_u32 s2, s2, 12
	s_addc_u32 s3, s3, 0
	s_waitcnt lgkmcnt(0)
	v_mul_hi_u32 v6, s7, v4
	s_load_dword s7, s[0:1], 0x0
	s_add_u32 s0, s0, 4
	s_addc_u32 s1, s1, 0
	v_add_u32_e32 v6, v4, v6
	v_lshrrev_b32_e32 v6, s5, v6
	v_mul_lo_u32 v7, v6, s6
	s_add_i32 s4, s4, -1
	s_cmp_lg_u32 s4, 0
	v_sub_u32_e32 v4, v4, v7
	s_waitcnt lgkmcnt(0)
	v_mad_u64_u32 v[3:4], s[6:7], v4, s7, v[3:4]
	v_mov_b32_e32 v4, v6
	s_cbranch_scc1 .LBB45_68
.LBB45_69:
	s_cbranch_execnz .LBB45_72
.LBB45_70:
	s_load_dwordx4 s[0:3], s[24:25], 0x4
	s_waitcnt lgkmcnt(0)
	s_load_dword s3, s[24:25], 0xc4
	s_cmp_lt_u32 s33, 2
	v_mul_hi_u32 v3, s1, v5
	v_add_u32_e32 v3, v5, v3
	v_lshrrev_b32_e32 v4, s2, v3
	v_mul_lo_u32 v3, v4, s0
	v_sub_u32_e32 v3, v5, v3
	s_waitcnt lgkmcnt(0)
	v_mul_lo_u32 v3, v3, s3
	s_cbranch_scc1 .LBB45_72
; %bb.71:
	s_load_dwordx4 s[0:3], s[24:25], 0x10
	s_waitcnt lgkmcnt(0)
	s_load_dword s3, s[24:25], 0xc8
	v_mul_hi_u32 v5, s1, v4
	v_add_u32_e32 v5, v4, v5
	v_lshrrev_b32_e32 v5, s2, v5
	v_mul_lo_u32 v5, v5, s0
	v_sub_u32_e32 v4, v4, v5
	s_waitcnt lgkmcnt(0)
	v_mad_u64_u32 v[3:4], s[0:1], v4, s3, v[3:4]
.LBB45_72:
	s_load_dwordx4 s[0:3], s[24:25], 0x108
	s_waitcnt lgkmcnt(0)
	v_mov_b32_e32 v5, s3
	v_mov_b32_e32 v4, s2
	s_nop 0
	global_store_dwordx2 v0, v[4:5], s[0:1]
	global_store_dwordx2 v1, v[4:5], s[0:1]
	;; [unrolled: 1-line block ×4, first 2 shown]
	s_endpgm
.LBB45_73:
	v_mov_b32_e32 v0, 0
	s_branch .LBB45_79
.LBB45_74:
	v_mov_b32_e32 v0, 0
	s_branch .LBB45_95
.LBB45_75:
	v_mov_b32_e32 v0, 0
	s_mov_b32 s51, 0
	v_mov_b32_e32 v1, v3
.LBB45_76:
	s_and_b32 s4, s52, 3
	s_cmp_eq_u32 s4, 0
	s_cbranch_scc1 .LBB45_79
; %bb.77:
	s_lshl_b32 s0, s51, 2
	s_add_u32 s0, s24, s0
	s_addc_u32 s1, s25, 0
	s_add_u32 s0, s0, 0xc4
	s_addc_u32 s1, s1, 0
	s_mul_i32 s2, s51, 12
	s_add_u32 s2, s24, s2
	s_addc_u32 s3, s25, 0
.LBB45_78:                              ; =>This Inner Loop Header: Depth=1
	s_load_dwordx2 s[6:7], s[2:3], 0x4
	s_load_dword s5, s[2:3], 0xc
	s_add_u32 s2, s2, 12
	s_addc_u32 s3, s3, 0
	s_waitcnt lgkmcnt(0)
	v_mul_hi_u32 v2, s7, v1
	s_load_dword s7, s[0:1], 0x0
	s_add_u32 s0, s0, 4
	s_addc_u32 s1, s1, 0
	v_add_u32_e32 v2, v1, v2
	v_lshrrev_b32_e32 v2, s5, v2
	v_mul_lo_u32 v4, v2, s6
	s_add_i32 s4, s4, -1
	s_cmp_lg_u32 s4, 0
	v_sub_u32_e32 v1, v1, v4
	s_waitcnt lgkmcnt(0)
	v_mad_u64_u32 v[0:1], s[6:7], v1, s7, v[0:1]
	v_mov_b32_e32 v1, v2
	s_cbranch_scc1 .LBB45_78
.LBB45_79:
	s_cbranch_execnz .LBB45_82
.LBB45_80:
	s_waitcnt lgkmcnt(0)
	v_mul_hi_u32 v0, s13, v3
	s_andn2_b64 vcc, exec, s[36:37]
	v_add_u32_e32 v0, v3, v0
	v_lshrrev_b32_e32 v1, s14, v0
	v_mul_lo_u32 v0, v1, s12
	v_sub_u32_e32 v0, v3, v0
	v_mul_lo_u32 v0, v0, s30
	s_cbranch_vccnz .LBB45_82
; %bb.81:
	v_mul_hi_u32 v2, s34, v1
	v_add_u32_e32 v2, v1, v2
	v_lshrrev_b32_e32 v2, s35, v2
	v_mul_lo_u32 v2, v2, s15
	v_sub_u32_e32 v1, v1, v2
	v_mad_u64_u32 v[0:1], s[0:1], v1, s31, v[0:1]
.LBB45_82:
	s_waitcnt lgkmcnt(0)
	v_mov_b32_e32 v1, s10
	v_mov_b32_e32 v2, s11
	v_add_u32_e32 v3, 0x80, v3
	global_store_dwordx2 v0, v[1:2], s[8:9]
	s_or_b64 exec, exec, s[42:43]
	v_cmp_gt_i32_e32 vcc, s49, v3
	s_and_saveexec_b64 s[42:43], vcc
	s_cbranch_execnz .LBB45_15
.LBB45_83:
	s_or_b64 exec, exec, s[42:43]
	v_cmp_gt_i32_e32 vcc, s49, v3
	s_and_saveexec_b64 s[42:43], vcc
	s_cbranch_execz .LBB45_99
.LBB45_84:
	s_andn2_b64 vcc, exec, s[26:27]
	s_cbranch_vccnz .LBB45_89
; %bb.85:
	s_andn2_b64 vcc, exec, s[40:41]
	s_cbranch_vccnz .LBB45_90
; %bb.86:
	s_add_i32 s52, s50, 1
	s_cmp_eq_u32 s48, 2
	s_cbranch_scc1 .LBB45_102
; %bb.87:
	s_and_b32 s51, s52, 28
	s_mov_b32 s53, 0
	v_mov_b32_e32 v0, 0
	s_mov_b64 s[44:45], s[24:25]
	s_mov_b64 s[46:47], s[38:39]
	v_mov_b32_e32 v1, v3
.LBB45_88:                              ; =>This Inner Loop Header: Depth=1
	s_load_dwordx8 s[0:7], s[44:45], 0x4
	s_load_dwordx4 s[16:19], s[44:45], 0x24
	s_load_dwordx4 s[20:23], s[46:47], 0x0
	s_add_u32 s44, s44, 48
	s_addc_u32 s45, s45, 0
	s_waitcnt lgkmcnt(0)
	v_mul_hi_u32 v2, s1, v1
	s_add_i32 s53, s53, 4
	s_add_u32 s46, s46, 16
	s_addc_u32 s47, s47, 0
	v_add_u32_e32 v2, v1, v2
	v_lshrrev_b32_e32 v2, s2, v2
	v_mul_lo_u32 v4, v2, s0
	v_mul_hi_u32 v5, s4, v2
	s_cmp_eq_u32 s51, s53
	v_sub_u32_e32 v1, v1, v4
	v_add_u32_e32 v4, v2, v5
	v_lshrrev_b32_e32 v4, s5, v4
	v_mul_lo_u32 v5, v1, s20
	v_mul_hi_u32 v1, s7, v4
	v_mul_lo_u32 v7, v4, s3
	v_add_u32_e32 v1, v4, v1
	v_lshrrev_b32_e32 v6, s16, v1
	v_mul_hi_u32 v1, s18, v6
	v_sub_u32_e32 v2, v2, v7
	v_mul_lo_u32 v7, v6, s6
	v_mul_lo_u32 v2, v2, s21
	v_add_u32_e32 v1, v6, v1
	v_lshrrev_b32_e32 v1, s19, v1
	v_mul_lo_u32 v8, v1, s17
	v_sub_u32_e32 v4, v4, v7
	v_mul_lo_u32 v4, v4, s22
	v_add3_u32 v0, v5, v0, v2
	v_sub_u32_e32 v6, v6, v8
	v_mul_lo_u32 v6, v6, s23
	v_add3_u32 v0, v4, v0, v6
	s_cbranch_scc0 .LBB45_88
	s_branch .LBB45_103
.LBB45_89:
                                        ; implicit-def: $vgpr0
	s_branch .LBB45_107
.LBB45_90:
	v_mov_b32_e32 v0, 0
	s_branch .LBB45_106
.LBB45_91:
	v_mov_b32_e32 v0, 0
	s_mov_b32 s51, 0
	v_mov_b32_e32 v1, v3
.LBB45_92:
	s_and_b32 s4, s52, 3
	s_cmp_eq_u32 s4, 0
	s_cbranch_scc1 .LBB45_95
; %bb.93:
	s_lshl_b32 s0, s51, 2
	s_add_u32 s0, s24, s0
	s_addc_u32 s1, s25, 0
	s_add_u32 s0, s0, 0xc4
	s_addc_u32 s1, s1, 0
	s_mul_i32 s2, s51, 12
	s_add_u32 s2, s24, s2
	s_addc_u32 s3, s25, 0
.LBB45_94:                              ; =>This Inner Loop Header: Depth=1
	s_load_dwordx2 s[6:7], s[2:3], 0x4
	s_load_dword s5, s[2:3], 0xc
	s_add_u32 s2, s2, 12
	s_addc_u32 s3, s3, 0
	s_waitcnt lgkmcnt(0)
	v_mul_hi_u32 v2, s7, v1
	s_load_dword s7, s[0:1], 0x0
	s_add_u32 s0, s0, 4
	s_addc_u32 s1, s1, 0
	v_add_u32_e32 v2, v1, v2
	v_lshrrev_b32_e32 v2, s5, v2
	v_mul_lo_u32 v4, v2, s6
	s_add_i32 s4, s4, -1
	s_cmp_lg_u32 s4, 0
	v_sub_u32_e32 v1, v1, v4
	s_waitcnt lgkmcnt(0)
	v_mad_u64_u32 v[0:1], s[6:7], v1, s7, v[0:1]
	v_mov_b32_e32 v1, v2
	s_cbranch_scc1 .LBB45_94
.LBB45_95:
	s_cbranch_execnz .LBB45_98
.LBB45_96:
	s_waitcnt lgkmcnt(0)
	v_mul_hi_u32 v0, s13, v3
	s_andn2_b64 vcc, exec, s[36:37]
	v_add_u32_e32 v0, v3, v0
	v_lshrrev_b32_e32 v1, s14, v0
	v_mul_lo_u32 v0, v1, s12
	v_sub_u32_e32 v0, v3, v0
	v_mul_lo_u32 v0, v0, s30
	s_cbranch_vccnz .LBB45_98
; %bb.97:
	v_mul_hi_u32 v2, s34, v1
	v_add_u32_e32 v2, v1, v2
	v_lshrrev_b32_e32 v2, s35, v2
	v_mul_lo_u32 v2, v2, s15
	v_sub_u32_e32 v1, v1, v2
	v_mad_u64_u32 v[0:1], s[0:1], v1, s31, v[0:1]
.LBB45_98:
	s_waitcnt lgkmcnt(0)
	v_mov_b32_e32 v1, s10
	v_mov_b32_e32 v2, s11
	v_add_u32_e32 v3, 0x80, v3
	global_store_dwordx2 v0, v[1:2], s[8:9]
	s_or_b64 exec, exec, s[42:43]
	v_cmp_gt_i32_e32 vcc, s49, v3
	s_and_saveexec_b64 s[42:43], vcc
	s_cbranch_execnz .LBB45_84
.LBB45_99:
	s_or_b64 exec, exec, s[42:43]
	v_cmp_gt_i32_e32 vcc, s49, v3
	s_and_saveexec_b64 s[42:43], vcc
	s_cbranch_execnz .LBB45_110
.LBB45_100:
	s_or_b64 exec, exec, s[42:43]
                                        ; implicit-def: $vgpr5
                                        ; implicit-def: $vgpr3
	s_andn2_saveexec_b64 s[0:1], s[28:29]
	s_cbranch_execnz .LBB45_8
.LBB45_101:
	s_endpgm
.LBB45_102:
	v_mov_b32_e32 v0, 0
	s_mov_b32 s51, 0
	v_mov_b32_e32 v1, v3
.LBB45_103:
	s_and_b32 s4, s52, 3
	s_cmp_eq_u32 s4, 0
	s_cbranch_scc1 .LBB45_106
; %bb.104:
	s_lshl_b32 s0, s51, 2
	s_add_u32 s0, s24, s0
	s_addc_u32 s1, s25, 0
	s_add_u32 s0, s0, 0xc4
	s_addc_u32 s1, s1, 0
	s_mul_i32 s2, s51, 12
	s_add_u32 s2, s24, s2
	s_addc_u32 s3, s25, 0
.LBB45_105:                             ; =>This Inner Loop Header: Depth=1
	s_load_dwordx2 s[6:7], s[2:3], 0x4
	s_load_dword s5, s[2:3], 0xc
	s_add_u32 s2, s2, 12
	s_addc_u32 s3, s3, 0
	s_waitcnt lgkmcnt(0)
	v_mul_hi_u32 v2, s7, v1
	s_load_dword s7, s[0:1], 0x0
	s_add_u32 s0, s0, 4
	s_addc_u32 s1, s1, 0
	v_add_u32_e32 v2, v1, v2
	v_lshrrev_b32_e32 v2, s5, v2
	v_mul_lo_u32 v4, v2, s6
	s_add_i32 s4, s4, -1
	s_cmp_lg_u32 s4, 0
	v_sub_u32_e32 v1, v1, v4
	s_waitcnt lgkmcnt(0)
	v_mad_u64_u32 v[0:1], s[6:7], v1, s7, v[0:1]
	v_mov_b32_e32 v1, v2
	s_cbranch_scc1 .LBB45_105
.LBB45_106:
	s_cbranch_execnz .LBB45_109
.LBB45_107:
	s_waitcnt lgkmcnt(0)
	v_mul_hi_u32 v0, s13, v3
	s_andn2_b64 vcc, exec, s[36:37]
	v_add_u32_e32 v0, v3, v0
	v_lshrrev_b32_e32 v1, s14, v0
	v_mul_lo_u32 v0, v1, s12
	v_sub_u32_e32 v0, v3, v0
	v_mul_lo_u32 v0, v0, s30
	s_cbranch_vccnz .LBB45_109
; %bb.108:
	v_mul_hi_u32 v2, s34, v1
	v_add_u32_e32 v2, v1, v2
	v_lshrrev_b32_e32 v2, s35, v2
	v_mul_lo_u32 v2, v2, s15
	v_sub_u32_e32 v1, v1, v2
	v_mad_u64_u32 v[0:1], s[0:1], v1, s31, v[0:1]
.LBB45_109:
	s_waitcnt lgkmcnt(0)
	v_mov_b32_e32 v1, s10
	v_mov_b32_e32 v2, s11
	v_add_u32_e32 v3, 0x80, v3
	global_store_dwordx2 v0, v[1:2], s[8:9]
	s_or_b64 exec, exec, s[42:43]
	v_cmp_gt_i32_e32 vcc, s49, v3
	s_and_saveexec_b64 s[42:43], vcc
	s_cbranch_execz .LBB45_100
.LBB45_110:
	s_andn2_b64 vcc, exec, s[26:27]
	s_cbranch_vccnz .LBB45_115
; %bb.111:
	s_andn2_b64 vcc, exec, s[40:41]
	s_cbranch_vccnz .LBB45_116
; %bb.112:
	s_add_i32 s50, s50, 1
	s_cmp_eq_u32 s48, 2
	s_cbranch_scc1 .LBB45_117
; %bb.113:
	s_and_b32 s44, s50, 28
	s_mov_b32 s45, 0
	v_mov_b32_e32 v0, 0
	s_mov_b64 s[40:41], s[24:25]
	v_mov_b32_e32 v1, v3
.LBB45_114:                             ; =>This Inner Loop Header: Depth=1
	s_load_dwordx8 s[0:7], s[40:41], 0x4
	s_load_dwordx4 s[16:19], s[40:41], 0x24
	s_load_dwordx4 s[20:23], s[38:39], 0x0
	s_add_u32 s40, s40, 48
	s_addc_u32 s41, s41, 0
	s_waitcnt lgkmcnt(0)
	v_mul_hi_u32 v2, s1, v1
	s_add_i32 s45, s45, 4
	s_add_u32 s38, s38, 16
	s_addc_u32 s39, s39, 0
	v_add_u32_e32 v2, v1, v2
	v_lshrrev_b32_e32 v2, s2, v2
	v_mul_lo_u32 v4, v2, s0
	v_mul_hi_u32 v5, s4, v2
	s_cmp_eq_u32 s44, s45
	v_sub_u32_e32 v1, v1, v4
	v_add_u32_e32 v4, v2, v5
	v_lshrrev_b32_e32 v4, s5, v4
	v_mul_lo_u32 v5, v1, s20
	v_mul_hi_u32 v1, s7, v4
	v_mul_lo_u32 v7, v4, s3
	v_add_u32_e32 v1, v4, v1
	v_lshrrev_b32_e32 v6, s16, v1
	v_mul_hi_u32 v1, s18, v6
	v_sub_u32_e32 v2, v2, v7
	v_mul_lo_u32 v7, v6, s6
	v_mul_lo_u32 v2, v2, s21
	v_add_u32_e32 v1, v6, v1
	v_lshrrev_b32_e32 v1, s19, v1
	v_mul_lo_u32 v8, v1, s17
	v_sub_u32_e32 v4, v4, v7
	v_mul_lo_u32 v4, v4, s22
	v_add3_u32 v0, v5, v0, v2
	v_sub_u32_e32 v6, v6, v8
	v_mul_lo_u32 v6, v6, s23
	v_add3_u32 v0, v4, v0, v6
	s_cbranch_scc0 .LBB45_114
	s_branch .LBB45_118
.LBB45_115:
                                        ; implicit-def: $vgpr0
	s_branch .LBB45_122
.LBB45_116:
	v_mov_b32_e32 v0, 0
	s_branch .LBB45_121
.LBB45_117:
	v_mov_b32_e32 v0, 0
	s_mov_b32 s44, 0
	v_mov_b32_e32 v1, v3
.LBB45_118:
	s_and_b32 s4, s50, 3
	s_cmp_eq_u32 s4, 0
	s_cbranch_scc1 .LBB45_121
; %bb.119:
	s_lshl_b32 s0, s44, 2
	s_add_u32 s0, s24, s0
	s_addc_u32 s1, s25, 0
	s_add_u32 s0, s0, 0xc4
	s_addc_u32 s1, s1, 0
	s_mul_i32 s2, s44, 12
	s_add_u32 s2, s24, s2
	s_addc_u32 s3, s25, 0
.LBB45_120:                             ; =>This Inner Loop Header: Depth=1
	s_load_dwordx2 s[6:7], s[2:3], 0x4
	s_load_dword s5, s[2:3], 0xc
	s_add_u32 s2, s2, 12
	s_addc_u32 s3, s3, 0
	s_waitcnt lgkmcnt(0)
	v_mul_hi_u32 v2, s7, v1
	s_load_dword s7, s[0:1], 0x0
	s_add_u32 s0, s0, 4
	s_addc_u32 s1, s1, 0
	v_add_u32_e32 v2, v1, v2
	v_lshrrev_b32_e32 v2, s5, v2
	v_mul_lo_u32 v4, v2, s6
	s_add_i32 s4, s4, -1
	s_cmp_lg_u32 s4, 0
	v_sub_u32_e32 v1, v1, v4
	s_waitcnt lgkmcnt(0)
	v_mad_u64_u32 v[0:1], s[6:7], v1, s7, v[0:1]
	v_mov_b32_e32 v1, v2
	s_cbranch_scc1 .LBB45_120
.LBB45_121:
	s_cbranch_execnz .LBB45_124
.LBB45_122:
	s_waitcnt lgkmcnt(0)
	v_mul_hi_u32 v0, s13, v3
	s_andn2_b64 vcc, exec, s[36:37]
	v_add_u32_e32 v0, v3, v0
	v_lshrrev_b32_e32 v1, s14, v0
	v_mul_lo_u32 v0, v1, s12
	v_sub_u32_e32 v0, v3, v0
	v_mul_lo_u32 v0, v0, s30
	s_cbranch_vccnz .LBB45_124
; %bb.123:
	v_mul_hi_u32 v2, s34, v1
	v_add_u32_e32 v2, v1, v2
	v_lshrrev_b32_e32 v2, s35, v2
	v_mul_lo_u32 v2, v2, s15
	v_sub_u32_e32 v1, v1, v2
	v_mad_u64_u32 v[0:1], s[0:1], v1, s31, v[0:1]
.LBB45_124:
	s_waitcnt lgkmcnt(0)
	v_mov_b32_e32 v1, s10
	v_mov_b32_e32 v2, s11
	global_store_dwordx2 v0, v[1:2], s[8:9]
	s_or_b64 exec, exec, s[42:43]
                                        ; implicit-def: $vgpr5
                                        ; implicit-def: $vgpr3
	s_andn2_saveexec_b64 s[0:1], s[28:29]
	s_cbranch_execz .LBB45_101
	s_branch .LBB45_8
	.section	.rodata,"a",@progbits
	.p2align	6, 0x0
	.amdhsa_kernel _ZN2at6native32elementwise_kernel_manual_unrollILi128ELi4EZNS0_22gpu_kernel_impl_nocastINS0_11FillFunctorIdEEEEvRNS_18TensorIteratorBaseERKT_EUlibE_EEviT1_
		.amdhsa_group_segment_fixed_size 0
		.amdhsa_private_segment_fixed_size 0
		.amdhsa_kernarg_size 288
		.amdhsa_user_sgpr_count 6
		.amdhsa_user_sgpr_private_segment_buffer 1
		.amdhsa_user_sgpr_dispatch_ptr 0
		.amdhsa_user_sgpr_queue_ptr 0
		.amdhsa_user_sgpr_kernarg_segment_ptr 1
		.amdhsa_user_sgpr_dispatch_id 0
		.amdhsa_user_sgpr_flat_scratch_init 0
		.amdhsa_user_sgpr_private_segment_size 0
		.amdhsa_uses_dynamic_stack 0
		.amdhsa_system_sgpr_private_segment_wavefront_offset 0
		.amdhsa_system_sgpr_workgroup_id_x 1
		.amdhsa_system_sgpr_workgroup_id_y 0
		.amdhsa_system_sgpr_workgroup_id_z 0
		.amdhsa_system_sgpr_workgroup_info 0
		.amdhsa_system_vgpr_workitem_id 0
		.amdhsa_next_free_vgpr 12
		.amdhsa_next_free_sgpr 54
		.amdhsa_reserve_vcc 1
		.amdhsa_reserve_flat_scratch 0
		.amdhsa_float_round_mode_32 0
		.amdhsa_float_round_mode_16_64 0
		.amdhsa_float_denorm_mode_32 3
		.amdhsa_float_denorm_mode_16_64 3
		.amdhsa_dx10_clamp 1
		.amdhsa_ieee_mode 1
		.amdhsa_fp16_overflow 0
		.amdhsa_exception_fp_ieee_invalid_op 0
		.amdhsa_exception_fp_denorm_src 0
		.amdhsa_exception_fp_ieee_div_zero 0
		.amdhsa_exception_fp_ieee_overflow 0
		.amdhsa_exception_fp_ieee_underflow 0
		.amdhsa_exception_fp_ieee_inexact 0
		.amdhsa_exception_int_div_zero 0
	.end_amdhsa_kernel
	.section	.text._ZN2at6native32elementwise_kernel_manual_unrollILi128ELi4EZNS0_22gpu_kernel_impl_nocastINS0_11FillFunctorIdEEEEvRNS_18TensorIteratorBaseERKT_EUlibE_EEviT1_,"axG",@progbits,_ZN2at6native32elementwise_kernel_manual_unrollILi128ELi4EZNS0_22gpu_kernel_impl_nocastINS0_11FillFunctorIdEEEEvRNS_18TensorIteratorBaseERKT_EUlibE_EEviT1_,comdat
.Lfunc_end45:
	.size	_ZN2at6native32elementwise_kernel_manual_unrollILi128ELi4EZNS0_22gpu_kernel_impl_nocastINS0_11FillFunctorIdEEEEvRNS_18TensorIteratorBaseERKT_EUlibE_EEviT1_, .Lfunc_end45-_ZN2at6native32elementwise_kernel_manual_unrollILi128ELi4EZNS0_22gpu_kernel_impl_nocastINS0_11FillFunctorIdEEEEvRNS_18TensorIteratorBaseERKT_EUlibE_EEviT1_
                                        ; -- End function
	.set _ZN2at6native32elementwise_kernel_manual_unrollILi128ELi4EZNS0_22gpu_kernel_impl_nocastINS0_11FillFunctorIdEEEEvRNS_18TensorIteratorBaseERKT_EUlibE_EEviT1_.num_vgpr, 12
	.set _ZN2at6native32elementwise_kernel_manual_unrollILi128ELi4EZNS0_22gpu_kernel_impl_nocastINS0_11FillFunctorIdEEEEvRNS_18TensorIteratorBaseERKT_EUlibE_EEviT1_.num_agpr, 0
	.set _ZN2at6native32elementwise_kernel_manual_unrollILi128ELi4EZNS0_22gpu_kernel_impl_nocastINS0_11FillFunctorIdEEEEvRNS_18TensorIteratorBaseERKT_EUlibE_EEviT1_.numbered_sgpr, 54
	.set _ZN2at6native32elementwise_kernel_manual_unrollILi128ELi4EZNS0_22gpu_kernel_impl_nocastINS0_11FillFunctorIdEEEEvRNS_18TensorIteratorBaseERKT_EUlibE_EEviT1_.num_named_barrier, 0
	.set _ZN2at6native32elementwise_kernel_manual_unrollILi128ELi4EZNS0_22gpu_kernel_impl_nocastINS0_11FillFunctorIdEEEEvRNS_18TensorIteratorBaseERKT_EUlibE_EEviT1_.private_seg_size, 0
	.set _ZN2at6native32elementwise_kernel_manual_unrollILi128ELi4EZNS0_22gpu_kernel_impl_nocastINS0_11FillFunctorIdEEEEvRNS_18TensorIteratorBaseERKT_EUlibE_EEviT1_.uses_vcc, 1
	.set _ZN2at6native32elementwise_kernel_manual_unrollILi128ELi4EZNS0_22gpu_kernel_impl_nocastINS0_11FillFunctorIdEEEEvRNS_18TensorIteratorBaseERKT_EUlibE_EEviT1_.uses_flat_scratch, 0
	.set _ZN2at6native32elementwise_kernel_manual_unrollILi128ELi4EZNS0_22gpu_kernel_impl_nocastINS0_11FillFunctorIdEEEEvRNS_18TensorIteratorBaseERKT_EUlibE_EEviT1_.has_dyn_sized_stack, 0
	.set _ZN2at6native32elementwise_kernel_manual_unrollILi128ELi4EZNS0_22gpu_kernel_impl_nocastINS0_11FillFunctorIdEEEEvRNS_18TensorIteratorBaseERKT_EUlibE_EEviT1_.has_recursion, 0
	.set _ZN2at6native32elementwise_kernel_manual_unrollILi128ELi4EZNS0_22gpu_kernel_impl_nocastINS0_11FillFunctorIdEEEEvRNS_18TensorIteratorBaseERKT_EUlibE_EEviT1_.has_indirect_call, 0
	.section	.AMDGPU.csdata,"",@progbits
; Kernel info:
; codeLenInByte = 5008
; TotalNumSgprs: 58
; NumVgprs: 12
; ScratchSize: 0
; MemoryBound: 0
; FloatMode: 240
; IeeeMode: 1
; LDSByteSize: 0 bytes/workgroup (compile time only)
; SGPRBlocks: 7
; VGPRBlocks: 2
; NumSGPRsForWavesPerEU: 58
; NumVGPRsForWavesPerEU: 12
; Occupancy: 10
; WaveLimiterHint : 1
; COMPUTE_PGM_RSRC2:SCRATCH_EN: 0
; COMPUTE_PGM_RSRC2:USER_SGPR: 6
; COMPUTE_PGM_RSRC2:TRAP_HANDLER: 0
; COMPUTE_PGM_RSRC2:TGID_X_EN: 1
; COMPUTE_PGM_RSRC2:TGID_Y_EN: 0
; COMPUTE_PGM_RSRC2:TGID_Z_EN: 0
; COMPUTE_PGM_RSRC2:TIDIG_COMP_CNT: 0
	.section	.text._ZN2at6native32elementwise_kernel_manual_unrollILi128ELi4EZNS0_15gpu_kernel_implINS0_11FillFunctorIdEEEEvRNS_18TensorIteratorBaseERKT_EUlibE_EEviT1_,"axG",@progbits,_ZN2at6native32elementwise_kernel_manual_unrollILi128ELi4EZNS0_15gpu_kernel_implINS0_11FillFunctorIdEEEEvRNS_18TensorIteratorBaseERKT_EUlibE_EEviT1_,comdat
	.protected	_ZN2at6native32elementwise_kernel_manual_unrollILi128ELi4EZNS0_15gpu_kernel_implINS0_11FillFunctorIdEEEEvRNS_18TensorIteratorBaseERKT_EUlibE_EEviT1_ ; -- Begin function _ZN2at6native32elementwise_kernel_manual_unrollILi128ELi4EZNS0_15gpu_kernel_implINS0_11FillFunctorIdEEEEvRNS_18TensorIteratorBaseERKT_EUlibE_EEviT1_
	.globl	_ZN2at6native32elementwise_kernel_manual_unrollILi128ELi4EZNS0_15gpu_kernel_implINS0_11FillFunctorIdEEEEvRNS_18TensorIteratorBaseERKT_EUlibE_EEviT1_
	.p2align	8
	.type	_ZN2at6native32elementwise_kernel_manual_unrollILi128ELi4EZNS0_15gpu_kernel_implINS0_11FillFunctorIdEEEEvRNS_18TensorIteratorBaseERKT_EUlibE_EEviT1_,@function
_ZN2at6native32elementwise_kernel_manual_unrollILi128ELi4EZNS0_15gpu_kernel_implINS0_11FillFunctorIdEEEEvRNS_18TensorIteratorBaseERKT_EUlibE_EEviT1_: ; @_ZN2at6native32elementwise_kernel_manual_unrollILi128ELi4EZNS0_15gpu_kernel_implINS0_11FillFunctorIdEEEEvRNS_18TensorIteratorBaseERKT_EUlibE_EEviT1_
; %bb.0:
	v_lshl_or_b32 v16, s6, 9, v0
	s_load_dword s48, s[4:5], 0x0
	s_load_dwordx2 s[10:11], s[4:5], 0x8
	s_load_dword s33, s[4:5], 0x10
	s_load_dwordx2 s[8:9], s[4:5], 0x18
	s_load_dword s52, s[4:5], 0x20
	v_or_b32_e32 v0, 0x180, v16
	s_waitcnt lgkmcnt(0)
	v_cmp_le_i32_e32 vcc, s48, v0
	s_mov_b64 s[6:7], 0
	s_mov_b64 s[0:1], 0
	s_and_saveexec_b64 s[2:3], vcc
	s_xor_b64 s[12:13], exec, s[2:3]
	s_cbranch_execz .LBB46_404
; %bb.1:
	v_trunc_f64_e32 v[0:1], s[8:9]
	s_movk_i32 s0, 0xffe0
	v_cvt_f32_f64_e32 v2, s[8:9]
	s_movk_i32 s1, 0xff
	s_mov_b32 s2, 0
	s_mov_b32 s3, 0xc1f00000
	v_bfe_u32 v6, v2, 23, 8
	v_and_b32_e32 v8, 0x3fffff, v2
	v_ldexp_f64 v[3:4], v[0:1], s0
	v_and_b32_e32 v7, 0x400000, v2
	v_cmp_eq_u32_e64 s[4:5], s1, v6
	v_or_b32_e32 v6, v6, v8
	v_readfirstlane_b32 s16, v2
	v_cmp_ne_u32_e32 vcc, 0, v7
	v_cmp_ne_u32_e64 s[0:1], 0, v6
	s_and_b32 s30, s16, 0x7fffffff
	v_floor_f64_e32 v[3:4], v[3:4]
	s_and_b64 s[0:1], vcc, s[0:1]
	s_cmp_lt_u32 s30, 0x43800000
	v_lshrrev_b32_e32 v5, 23, v2
	v_cndmask_b32_e64 v6, 0, 1, s[0:1]
	s_cselect_b64 s[26:27], -1, 0
	s_cmp_gt_u32 s30, 0x3bffffff
	v_add_u32_e32 v15, v5, v6
	v_fma_f64 v[5:6], v[3:4], s[2:3], v[0:1]
	s_cselect_b64 s[2:3], -1, 0
	s_bfe_u32 s0, s16, 0x10014
	s_add_i32 s17, s16, s0
	s_add_i32 s0, s17, 0x487ffff
	s_lshr_b32 s62, s0, 20
	s_mov_b32 s0, 0x46000000
	v_add_f32_e64 v14, |v2|, s0
	v_readfirstlane_b32 s0, v14
	s_and_b32 s0, s0, 0xff
	s_cmp_lg_u32 s0, 0
	s_cselect_b64 s[28:29], -1, 0
	s_cmp_gt_u32 s30, 0x477fffff
	s_cselect_b64 s[14:15], -1, 0
	s_cmp_lt_u32 s30, 0x47800000
	s_movk_i32 s0, 0x80
	s_cselect_b64 s[22:23], -1, 0
	s_cmp_gt_u32 s30, 0x37ffffff
	v_and_b32_sdwa v10, v2, s0 dst_sel:DWORD dst_unused:UNUSED_PAD src0_sel:BYTE_3 src1_sel:DWORD
	s_cselect_b64 s[0:1], -1, 0
	s_bfe_u32 s18, s16, 0x10015
	s_add_i32 s31, s16, s18
	s_add_i32 s16, s31, 0x88fffff
	s_lshr_b32 s60, s16, 21
	s_mov_b32 s16, 0x42800000
	v_add_f32_e64 v12, |v2|, s16
	v_readfirstlane_b32 s16, v12
	s_and_b32 s16, s16, 0xff
	s_cmp_lg_u32 s16, 0
	s_cselect_b64 s[24:25], -1, 0
	s_cmp_gt_u32 s30, 0x43efffff
	s_cselect_b64 s[18:19], -1, 0
	s_cmp_lt_u32 s30, 0x3c800000
	s_cselect_b64 s[20:21], -1, 0
	s_add_i32 s17, s17, 0x407ffff
	s_lshr_b32 s16, s17, 20
	s_and_b32 s17, s17, 0xff00000
	s_cmp_lg_u32 s17, 0x7f00000
	s_cselect_b32 s58, s16, 0x7e
	s_mov_b32 s16, 0x46800000
	s_cmp_lt_u32 s30, 0x38800000
	v_cvt_u32_f64_e32 v0, v[5:6]
	v_add_f32_e64 v5, |v2|, s16
	s_cselect_b64 s[16:17], -1, 0
	s_add_i32 s31, s31, 0x80fffff
	s_lshr_b32 s55, s31, 21
	s_cmp_gt_u32 s30, 0x7f800000
	s_movk_i32 s30, 0x7f
	s_cselect_b32 s61, s30, 0x7e
	s_mov_b32 s30, 0x43000000
	v_readfirstlane_b32 s59, v5
	v_add_f32_e64 v5, |v2|, s30
	s_movk_i32 s30, 0x7c
	s_cselect_b32 s57, 0x7f, s30
	v_cmp_neq_f64_e64 s[30:31], s[8:9], 0
	v_readfirstlane_b32 s56, v5
	v_bfe_u32 v5, v2, 16, 1
	v_add_u32_e32 v5, v2, v5
	v_add_u32_e32 v5, 0x7fff, v5
	v_lshrrev_b32_e32 v5, 16, v5
	v_mov_b32_e32 v6, 0x7fc0
	v_cmp_o_f32_e32 vcc, v2, v2
	v_cndmask_b32_e64 v9, 0, 1, s[30:31]
	s_lshr_b32 s30, s9, 8
	s_and_b32 s34, s30, 0xffe
	s_and_b32 s30, s9, 0x1ff
	s_or_b32 s30, s30, s8
	s_cmp_lg_u32 s30, 0
	s_cselect_b64 s[30:31], -1, 0
	v_cndmask_b32_e32 v11, v6, v5, vcc
	v_cndmask_b32_e64 v5, 0, 1, s[30:31]
	v_readfirstlane_b32 s30, v5
	s_or_b32 s30, s34, s30
	s_bfe_u32 s34, s9, 0xb0014
	s_sub_i32 s35, 0x3f1, s34
	v_med3_i32 v5, s35, 0, 13
	s_or_b32 s31, s30, 0x1000
	v_readfirstlane_b32 s35, v5
	s_lshr_b32 s36, s31, s35
	s_lshl_b32 s35, s36, s35
	s_cmp_lg_u32 s35, s31
	s_cselect_b32 s31, 1, 0
	s_addk_i32 s34, 0xfc10
	s_lshl_b32 s35, s34, 12
	s_or_b32 s31, s36, s31
	s_or_b32 s35, s30, s35
	s_cmp_lt_i32 s34, 1
	s_cselect_b32 s31, s31, s35
	s_and_b32 s35, s31, 7
	s_cmp_gt_i32 s35, 5
	s_cselect_b32 s36, 1, 0
	s_cmp_eq_u32 s35, 3
	s_cselect_b32 s35, 1, 0
	s_or_b32 s35, s35, s36
	s_lshr_b32 s31, s31, 2
	s_add_i32 s31, s31, s35
	s_cmp_lt_i32 s34, 31
	s_cselect_b32 s31, s31, 0x7c00
	s_cmp_lg_u32 s30, 0
	s_movk_i32 s30, 0x7e00
	s_cselect_b32 s30, s30, 0x7c00
	s_cmpk_eq_i32 s34, 0x40f
	v_cvt_u32_f64_e32 v13, s[8:9]
	v_cvt_u32_f64_e32 v1, v[3:4]
	s_cselect_b32 s30, s30, s31
	s_lshr_b32 s31, s9, 16
	v_cvt_i32_f64_e32 v5, v[3:4]
	v_cvt_i32_f64_e32 v8, s[8:9]
	s_and_b32 s31, s31, 0x8000
	s_or_b32 s53, s31, s30
	s_mov_b64 s[38:39], 0
	s_and_b32 s54, s53, 0xffff
	v_mov_b32_e32 v4, v0
	v_cmp_gt_i32_e32 vcc, s48, v16
	s_mov_b64 s[36:37], -1
	s_mov_b64 s[30:31], 0
	s_and_saveexec_b64 s[34:35], vcc
	s_cbranch_execz .LBB46_100
; %bb.2:
	v_mul_lo_u32 v3, v16, s33
	v_mov_b32_e32 v7, s11
	s_and_b32 s42, s52, 0xff
	s_cmp_lt_i32 s42, 11
	v_ashrrev_i32_e32 v17, 31, v3
	v_add_co_u32_e32 v6, vcc, s10, v3
	v_addc_co_u32_e32 v7, vcc, v7, v17, vcc
	s_cbranch_scc1 .LBB46_9
; %bb.3:
	s_and_b32 s43, 0xffff, s42
	s_cmp_gt_i32 s43, 25
	s_cbranch_scc0 .LBB46_12
; %bb.4:
	s_cmp_gt_i32 s43, 28
	s_cbranch_scc0 .LBB46_13
; %bb.5:
	;; [unrolled: 3-line block ×4, first 2 shown]
	s_mov_b64 s[40:41], 0
	s_mov_b64 s[30:31], -1
	s_cmp_eq_u32 s43, 46
	s_mov_b64 s[36:37], 0
	s_cbranch_scc0 .LBB46_16
; %bb.8:
	global_store_dword v[6:7], v11, off
	s_mov_b64 s[36:37], -1
	s_mov_b64 s[30:31], 0
	s_branch .LBB46_16
.LBB46_9:
	s_mov_b64 s[36:37], 0
	s_cbranch_execnz .LBB46_60
.LBB46_10:
	s_andn2_b64 vcc, exec, s[36:37]
	s_cbranch_vccnz .LBB46_98
.LBB46_11:
	v_add_u32_e32 v16, 0x80, v16
	s_mov_b64 s[36:37], -1
	s_branch .LBB46_99
.LBB46_12:
	s_mov_b64 s[36:37], 0
	s_cbranch_execnz .LBB46_38
	s_branch .LBB46_59
.LBB46_13:
	s_mov_b64 s[40:41], -1
	s_mov_b64 s[36:37], 0
	s_branch .LBB46_24
.LBB46_14:
	s_mov_b64 s[40:41], -1
	s_mov_b64 s[36:37], 0
	s_branch .LBB46_20
.LBB46_15:
	s_mov_b64 s[40:41], -1
	s_mov_b64 s[36:37], 0
.LBB46_16:
	s_and_b64 vcc, exec, s[40:41]
	s_cbranch_vccz .LBB46_19
; %bb.17:
	s_cmp_eq_u32 s43, 44
	s_mov_b64 s[30:31], -1
	s_cbranch_scc0 .LBB46_19
; %bb.18:
	v_mov_b32_e32 v3, 0xffff
	v_cndmask_b32_e64 v3, v15, v3, s[4:5]
	global_store_byte v[6:7], v3, off
	s_mov_b64 s[36:37], -1
	s_mov_b64 s[30:31], 0
.LBB46_19:
	s_mov_b64 s[40:41], 0
.LBB46_20:
	s_and_b64 vcc, exec, s[40:41]
	s_cbranch_vccz .LBB46_23
; %bb.21:
	s_cmp_eq_u32 s43, 29
	s_mov_b64 s[30:31], -1
	s_cbranch_scc0 .LBB46_23
; %bb.22:
	global_store_dwordx2 v[6:7], v[0:1], off
	s_mov_b64 s[36:37], -1
	s_mov_b64 s[30:31], 0
.LBB46_23:
	s_mov_b64 s[40:41], 0
.LBB46_24:
	s_and_b64 vcc, exec, s[40:41]
	s_cbranch_vccz .LBB46_37
; %bb.25:
	s_cmp_lt_i32 s43, 27
	s_mov_b64 s[36:37], -1
	s_cbranch_scc1 .LBB46_31
; %bb.26:
	s_cmp_gt_i32 s43, 27
	s_cbranch_scc0 .LBB46_28
; %bb.27:
	s_mov_b64 s[36:37], 0
	global_store_dword v[6:7], v13, off
.LBB46_28:
	s_andn2_b64 vcc, exec, s[36:37]
	s_cbranch_vccnz .LBB46_30
; %bb.29:
	global_store_short v[6:7], v13, off
.LBB46_30:
	s_mov_b64 s[36:37], 0
.LBB46_31:
	s_andn2_b64 vcc, exec, s[36:37]
	s_cbranch_vccnz .LBB46_36
; %bb.32:
	s_andn2_b64 vcc, exec, s[26:27]
	v_mov_b32_e32 v3, 0x80
	s_cbranch_vccnz .LBB46_35
; %bb.33:
	s_or_b64 s[36:37], s[2:3], s[28:29]
	s_andn2_b64 vcc, exec, s[36:37]
	v_mov_b32_e32 v3, 0
	s_cbranch_vccnz .LBB46_35
; %bb.34:
	v_mov_b32_e32 v3, s62
	v_cndmask_b32_e64 v3, v14, v3, s[2:3]
	v_or_b32_e32 v3, v3, v10
.LBB46_35:
	global_store_byte v[6:7], v3, off
.LBB46_36:
	s_mov_b64 s[36:37], -1
.LBB46_37:
	s_branch .LBB46_59
.LBB46_38:
	s_cmp_gt_i32 s43, 22
	s_mov_b64 s[40:41], -1
	s_cbranch_scc0 .LBB46_51
; %bb.39:
	s_cmp_lt_i32 s43, 24
	s_mov_b64 s[36:37], -1
	s_cbranch_scc1 .LBB46_48
; %bb.40:
	s_cmp_gt_i32 s43, 24
	s_cbranch_scc0 .LBB46_45
; %bb.41:
	s_andn2_b64 vcc, exec, s[22:23]
	v_mov_b32_e32 v3, 0x80
	s_cbranch_vccnz .LBB46_44
; %bb.42:
	s_or_b64 s[36:37], s[0:1], s[24:25]
	s_andn2_b64 vcc, exec, s[36:37]
	v_mov_b32_e32 v3, 0
	s_cbranch_vccnz .LBB46_44
; %bb.43:
	v_mov_b32_e32 v3, s60
	v_cndmask_b32_e64 v3, v12, v3, s[0:1]
	v_or_b32_e32 v3, v3, v10
.LBB46_44:
	s_mov_b64 s[36:37], 0
	global_store_byte v[6:7], v3, off
.LBB46_45:
	s_and_b64 vcc, exec, s[36:37]
	s_cbranch_vccz .LBB46_47
; %bb.46:
	s_and_b64 s[36:37], s[20:21], exec
	s_cselect_b32 s40, s59, s58
	s_and_b64 s[36:37], s[18:19], exec
	s_cselect_b32 s36, s61, s40
	v_or_b32_e32 v3, s36, v10
	global_store_byte v[6:7], v3, off
.LBB46_47:
	s_mov_b64 s[36:37], 0
.LBB46_48:
	s_andn2_b64 vcc, exec, s[36:37]
	s_cbranch_vccnz .LBB46_50
; %bb.49:
	s_and_b64 s[36:37], s[16:17], exec
	s_cselect_b32 s40, s56, s55
	s_and_b64 s[36:37], s[14:15], exec
	s_cselect_b32 s36, s57, s40
	v_or_b32_e32 v3, s36, v10
	global_store_byte v[6:7], v3, off
.LBB46_50:
	s_mov_b64 s[40:41], 0
	s_mov_b64 s[36:37], -1
.LBB46_51:
	s_andn2_b64 vcc, exec, s[40:41]
	s_cbranch_vccnz .LBB46_59
; %bb.52:
	s_cmp_gt_i32 s43, 14
	s_mov_b64 s[40:41], -1
	s_cbranch_scc0 .LBB46_56
; %bb.53:
	s_cmp_eq_u32 s43, 15
	s_mov_b64 s[30:31], -1
	s_cbranch_scc0 .LBB46_55
; %bb.54:
	global_store_short v[6:7], v11, off
	s_mov_b64 s[36:37], -1
	s_mov_b64 s[30:31], 0
.LBB46_55:
	s_mov_b64 s[40:41], 0
.LBB46_56:
	s_and_b64 vcc, exec, s[40:41]
	s_cbranch_vccz .LBB46_59
; %bb.57:
	s_cmp_eq_u32 s43, 11
	s_mov_b64 s[30:31], -1
	s_cbranch_scc0 .LBB46_59
; %bb.58:
	s_mov_b64 s[36:37], -1
	s_mov_b64 s[30:31], 0
	global_store_byte v[6:7], v9, off
.LBB46_59:
	s_branch .LBB46_10
.LBB46_60:
	s_and_b32 s40, 0xffff, s42
	s_cmp_lt_i32 s40, 5
	s_mov_b64 s[36:37], -1
	s_cbranch_scc1 .LBB46_81
; %bb.61:
	s_cmp_lt_i32 s40, 8
	s_cbranch_scc1 .LBB46_71
; %bb.62:
	s_cmp_lt_i32 s40, 9
	s_cbranch_scc1 .LBB46_68
; %bb.63:
	s_cmp_gt_i32 s40, 9
	s_cbranch_scc0 .LBB46_65
; %bb.64:
	v_mov_b32_e32 v19, 0
	v_mov_b32_e32 v17, s8
	;; [unrolled: 1-line block ×4, first 2 shown]
	global_store_dwordx4 v[6:7], v[17:20], off
	s_mov_b64 s[36:37], 0
.LBB46_65:
	s_andn2_b64 vcc, exec, s[36:37]
	s_cbranch_vccnz .LBB46_67
; %bb.66:
	v_mov_b32_e32 v3, 0
	global_store_dwordx2 v[6:7], v[2:3], off
.LBB46_67:
	s_mov_b64 s[36:37], 0
.LBB46_68:
	s_andn2_b64 vcc, exec, s[36:37]
	s_cbranch_vccnz .LBB46_70
; %bb.69:
	v_mov_b32_e32 v3, s54
	global_store_dword v[6:7], v3, off
.LBB46_70:
	s_mov_b64 s[36:37], 0
.LBB46_71:
	s_andn2_b64 vcc, exec, s[36:37]
	s_cbranch_vccnz .LBB46_80
; %bb.72:
	s_cmp_lt_i32 s40, 6
	s_mov_b64 s[36:37], -1
	s_cbranch_scc1 .LBB46_78
; %bb.73:
	s_cmp_gt_i32 s40, 6
	s_cbranch_scc0 .LBB46_75
; %bb.74:
	v_mov_b32_e32 v18, s9
	v_mov_b32_e32 v17, s8
	global_store_dwordx2 v[6:7], v[17:18], off
	s_mov_b64 s[36:37], 0
.LBB46_75:
	s_andn2_b64 vcc, exec, s[36:37]
	s_cbranch_vccnz .LBB46_77
; %bb.76:
	global_store_dword v[6:7], v2, off
.LBB46_77:
	s_mov_b64 s[36:37], 0
.LBB46_78:
	s_andn2_b64 vcc, exec, s[36:37]
	s_cbranch_vccnz .LBB46_80
; %bb.79:
	v_mov_b32_e32 v3, s53
	global_store_short v[6:7], v3, off
.LBB46_80:
	s_mov_b64 s[36:37], 0
.LBB46_81:
	s_andn2_b64 vcc, exec, s[36:37]
	s_cbranch_vccnz .LBB46_97
; %bb.82:
	s_cmp_lt_i32 s40, 2
	s_mov_b64 s[36:37], -1
	s_cbranch_scc1 .LBB46_92
; %bb.83:
	s_cmp_lt_i32 s40, 3
	s_cbranch_scc1 .LBB46_89
; %bb.84:
	s_cmp_gt_i32 s40, 3
	s_cbranch_scc0 .LBB46_86
; %bb.85:
	global_store_dwordx2 v[6:7], v[4:5], off
	s_mov_b64 s[36:37], 0
.LBB46_86:
	s_andn2_b64 vcc, exec, s[36:37]
	s_cbranch_vccnz .LBB46_88
; %bb.87:
	global_store_dword v[6:7], v8, off
.LBB46_88:
	s_mov_b64 s[36:37], 0
.LBB46_89:
	s_andn2_b64 vcc, exec, s[36:37]
	s_cbranch_vccnz .LBB46_91
; %bb.90:
	global_store_short v[6:7], v8, off
.LBB46_91:
	s_mov_b64 s[36:37], 0
.LBB46_92:
	s_andn2_b64 vcc, exec, s[36:37]
	s_cbranch_vccnz .LBB46_97
; %bb.93:
	s_cmp_gt_i32 s40, 0
	s_mov_b64 s[36:37], -1
	s_cbranch_scc0 .LBB46_95
; %bb.94:
	global_store_byte v[6:7], v8, off
	s_mov_b64 s[36:37], 0
.LBB46_95:
	s_andn2_b64 vcc, exec, s[36:37]
	s_cbranch_vccnz .LBB46_97
; %bb.96:
	global_store_byte v[6:7], v0, off
.LBB46_97:
	s_branch .LBB46_11
.LBB46_98:
	s_mov_b64 s[36:37], 0
                                        ; implicit-def: $vgpr16
.LBB46_99:
	s_and_b64 s[30:31], s[30:31], exec
	s_orn2_b64 s[36:37], s[36:37], exec
.LBB46_100:
	s_or_b64 exec, exec, s[34:35]
	s_mov_b64 s[40:41], 0
                                        ; implicit-def: $sgpr63
                                        ; implicit-def: $vgpr6_vgpr7
	s_and_saveexec_b64 s[34:35], s[36:37]
	s_cbranch_execz .LBB46_109
; %bb.101:
	v_cmp_gt_i32_e32 vcc, s48, v16
	s_mov_b64 s[42:43], -1
	s_mov_b64 s[36:37], s[30:31]
	s_and_saveexec_b64 s[38:39], vcc
	s_cbranch_execz .LBB46_204
; %bb.102:
	v_mul_lo_u32 v3, v16, s33
	v_mov_b32_e32 v7, s11
	s_and_b32 s44, s52, 0xff
	s_cmp_lt_i32 s44, 11
	v_ashrrev_i32_e32 v17, 31, v3
	v_add_co_u32_e32 v6, vcc, s10, v3
	v_addc_co_u32_e32 v7, vcc, v7, v17, vcc
	s_cbranch_scc1 .LBB46_112
; %bb.103:
	s_and_b32 s45, 0xffff, s44
	s_cmp_gt_i32 s45, 25
	s_cbranch_scc0 .LBB46_115
; %bb.104:
	s_cmp_gt_i32 s45, 28
	s_cbranch_scc0 .LBB46_116
; %bb.105:
	;; [unrolled: 3-line block ×4, first 2 shown]
	s_mov_b64 s[42:43], 0
	s_mov_b64 s[36:37], -1
	s_cmp_eq_u32 s45, 46
	s_cbranch_scc0 .LBB46_119
; %bb.108:
	global_store_dword v[6:7], v11, off
	s_mov_b64 s[40:41], -1
	s_mov_b64 s[36:37], 0
	s_branch .LBB46_119
.LBB46_109:
	s_or_b64 exec, exec, s[34:35]
	s_mov_b64 s[0:1], 0
	s_and_saveexec_b64 s[2:3], s[30:31]
	s_cbranch_execnz .LBB46_364
.LBB46_110:
	s_or_b64 exec, exec, s[2:3]
	s_and_saveexec_b64 s[2:3], s[38:39]
	s_xor_b64 s[2:3], exec, s[2:3]
	s_cbranch_execz .LBB46_365
.LBB46_111:
	global_store_byte v[6:7], v9, off
	s_or_b64 exec, exec, s[2:3]
	s_and_saveexec_b64 s[2:3], s[40:41]
	s_xor_b64 s[2:3], exec, s[2:3]
	s_cbranch_execz .LBB46_403
	s_branch .LBB46_366
.LBB46_112:
	s_mov_b64 s[36:37], s[30:31]
	s_and_b64 vcc, exec, s[42:43]
	s_cbranch_vccnz .LBB46_164
.LBB46_113:
	s_andn2_b64 vcc, exec, s[40:41]
	s_cbranch_vccnz .LBB46_202
.LBB46_114:
	v_add_u32_e32 v16, 0x80, v16
	s_mov_b64 s[40:41], -1
	s_branch .LBB46_203
.LBB46_115:
	s_mov_b64 s[36:37], s[30:31]
	s_branch .LBB46_141
.LBB46_116:
	s_mov_b64 s[36:37], s[30:31]
	s_branch .LBB46_127
.LBB46_117:
	s_mov_b64 s[36:37], s[30:31]
	s_branch .LBB46_123
.LBB46_118:
	s_mov_b64 s[36:37], s[30:31]
.LBB46_119:
	s_and_b64 vcc, exec, s[42:43]
	s_cbranch_vccz .LBB46_122
; %bb.120:
	s_cmp_eq_u32 s45, 44
	s_mov_b64 s[36:37], -1
	s_cbranch_scc0 .LBB46_122
; %bb.121:
	v_mov_b32_e32 v3, 0xffff
	v_cndmask_b32_e64 v3, v15, v3, s[4:5]
	s_mov_b64 s[40:41], -1
	s_mov_b64 s[36:37], 0
	global_store_byte v[6:7], v3, off
.LBB46_122:
	s_mov_b64 s[42:43], 0
.LBB46_123:
	s_and_b64 vcc, exec, s[42:43]
	s_cbranch_vccz .LBB46_126
; %bb.124:
	s_cmp_eq_u32 s45, 29
	s_mov_b64 s[36:37], -1
	s_cbranch_scc0 .LBB46_126
; %bb.125:
	global_store_dwordx2 v[6:7], v[0:1], off
	s_mov_b64 s[40:41], -1
	s_mov_b64 s[36:37], 0
.LBB46_126:
	s_mov_b64 s[42:43], 0
.LBB46_127:
	s_and_b64 vcc, exec, s[42:43]
	s_cbranch_vccz .LBB46_140
; %bb.128:
	s_cmp_lt_i32 s45, 27
	s_mov_b64 s[40:41], -1
	s_cbranch_scc1 .LBB46_134
; %bb.129:
	s_cmp_gt_i32 s45, 27
	s_cbranch_scc0 .LBB46_131
; %bb.130:
	s_mov_b64 s[40:41], 0
	global_store_dword v[6:7], v13, off
.LBB46_131:
	s_andn2_b64 vcc, exec, s[40:41]
	s_cbranch_vccnz .LBB46_133
; %bb.132:
	global_store_short v[6:7], v13, off
.LBB46_133:
	s_mov_b64 s[40:41], 0
.LBB46_134:
	s_andn2_b64 vcc, exec, s[40:41]
	s_cbranch_vccnz .LBB46_139
; %bb.135:
	s_andn2_b64 vcc, exec, s[26:27]
	v_mov_b32_e32 v3, 0x80
	s_cbranch_vccnz .LBB46_138
; %bb.136:
	s_or_b64 s[40:41], s[2:3], s[28:29]
	s_andn2_b64 vcc, exec, s[40:41]
	v_mov_b32_e32 v3, 0
	s_cbranch_vccnz .LBB46_138
; %bb.137:
	v_mov_b32_e32 v3, s62
	v_cndmask_b32_e64 v3, v14, v3, s[2:3]
	v_or_b32_e32 v3, v3, v10
.LBB46_138:
	global_store_byte v[6:7], v3, off
.LBB46_139:
	s_mov_b64 s[40:41], -1
.LBB46_140:
	s_mov_b64 s[42:43], 0
.LBB46_141:
	s_and_b64 vcc, exec, s[42:43]
	s_cbranch_vccz .LBB46_163
; %bb.142:
	s_cmp_gt_i32 s45, 22
	s_mov_b64 s[42:43], -1
	s_cbranch_scc0 .LBB46_155
; %bb.143:
	s_cmp_lt_i32 s45, 24
	s_mov_b64 s[40:41], -1
	s_cbranch_scc1 .LBB46_152
; %bb.144:
	s_cmp_gt_i32 s45, 24
	s_cbranch_scc0 .LBB46_149
; %bb.145:
	s_andn2_b64 vcc, exec, s[22:23]
	v_mov_b32_e32 v3, 0x80
	s_cbranch_vccnz .LBB46_148
; %bb.146:
	s_or_b64 s[40:41], s[0:1], s[24:25]
	s_andn2_b64 vcc, exec, s[40:41]
	v_mov_b32_e32 v3, 0
	s_cbranch_vccnz .LBB46_148
; %bb.147:
	v_mov_b32_e32 v3, s60
	v_cndmask_b32_e64 v3, v12, v3, s[0:1]
	v_or_b32_e32 v3, v3, v10
.LBB46_148:
	s_mov_b64 s[40:41], 0
	global_store_byte v[6:7], v3, off
.LBB46_149:
	s_and_b64 vcc, exec, s[40:41]
	s_cbranch_vccz .LBB46_151
; %bb.150:
	s_and_b64 s[40:41], s[20:21], exec
	s_cselect_b32 s42, s59, s58
	s_and_b64 s[40:41], s[18:19], exec
	s_cselect_b32 s40, s61, s42
	v_or_b32_e32 v3, s40, v10
	global_store_byte v[6:7], v3, off
.LBB46_151:
	s_mov_b64 s[40:41], 0
.LBB46_152:
	s_andn2_b64 vcc, exec, s[40:41]
	s_cbranch_vccnz .LBB46_154
; %bb.153:
	s_and_b64 s[40:41], s[16:17], exec
	s_cselect_b32 s42, s56, s55
	s_and_b64 s[40:41], s[14:15], exec
	s_cselect_b32 s40, s57, s42
	v_or_b32_e32 v3, s40, v10
	global_store_byte v[6:7], v3, off
.LBB46_154:
	s_mov_b64 s[42:43], 0
	s_mov_b64 s[40:41], -1
.LBB46_155:
	s_andn2_b64 vcc, exec, s[42:43]
	s_cbranch_vccnz .LBB46_163
; %bb.156:
	s_cmp_gt_i32 s45, 14
	s_mov_b64 s[42:43], -1
	s_cbranch_scc0 .LBB46_160
; %bb.157:
	s_cmp_eq_u32 s45, 15
	s_mov_b64 s[36:37], -1
	s_cbranch_scc0 .LBB46_159
; %bb.158:
	global_store_short v[6:7], v11, off
	s_mov_b64 s[40:41], -1
	s_mov_b64 s[36:37], 0
.LBB46_159:
	s_mov_b64 s[42:43], 0
.LBB46_160:
	s_and_b64 vcc, exec, s[42:43]
	s_cbranch_vccz .LBB46_163
; %bb.161:
	s_cmp_eq_u32 s45, 11
	s_mov_b64 s[36:37], -1
	s_cbranch_scc0 .LBB46_163
; %bb.162:
	s_mov_b64 s[40:41], -1
	s_mov_b64 s[36:37], 0
	global_store_byte v[6:7], v9, off
.LBB46_163:
	s_branch .LBB46_113
.LBB46_164:
	s_and_b32 s42, 0xffff, s44
	s_cmp_lt_i32 s42, 5
	s_mov_b64 s[40:41], -1
	s_cbranch_scc1 .LBB46_185
; %bb.165:
	s_cmp_lt_i32 s42, 8
	s_cbranch_scc1 .LBB46_175
; %bb.166:
	s_cmp_lt_i32 s42, 9
	s_cbranch_scc1 .LBB46_172
; %bb.167:
	s_cmp_gt_i32 s42, 9
	s_cbranch_scc0 .LBB46_169
; %bb.168:
	v_mov_b32_e32 v19, 0
	v_mov_b32_e32 v17, s8
	;; [unrolled: 1-line block ×4, first 2 shown]
	s_mov_b64 s[40:41], 0
	global_store_dwordx4 v[6:7], v[17:20], off
.LBB46_169:
	s_andn2_b64 vcc, exec, s[40:41]
	s_cbranch_vccnz .LBB46_171
; %bb.170:
	v_mov_b32_e32 v3, 0
	global_store_dwordx2 v[6:7], v[2:3], off
.LBB46_171:
	s_mov_b64 s[40:41], 0
.LBB46_172:
	s_andn2_b64 vcc, exec, s[40:41]
	s_cbranch_vccnz .LBB46_174
; %bb.173:
	v_mov_b32_e32 v3, s54
	global_store_dword v[6:7], v3, off
.LBB46_174:
	s_mov_b64 s[40:41], 0
.LBB46_175:
	s_andn2_b64 vcc, exec, s[40:41]
	s_cbranch_vccnz .LBB46_184
; %bb.176:
	s_cmp_lt_i32 s42, 6
	s_mov_b64 s[40:41], -1
	s_cbranch_scc1 .LBB46_182
; %bb.177:
	s_cmp_gt_i32 s42, 6
	s_cbranch_scc0 .LBB46_179
; %bb.178:
	v_mov_b32_e32 v18, s9
	v_mov_b32_e32 v17, s8
	s_mov_b64 s[40:41], 0
	global_store_dwordx2 v[6:7], v[17:18], off
.LBB46_179:
	s_andn2_b64 vcc, exec, s[40:41]
	s_cbranch_vccnz .LBB46_181
; %bb.180:
	global_store_dword v[6:7], v2, off
.LBB46_181:
	s_mov_b64 s[40:41], 0
.LBB46_182:
	s_andn2_b64 vcc, exec, s[40:41]
	s_cbranch_vccnz .LBB46_184
; %bb.183:
	v_mov_b32_e32 v3, s53
	global_store_short v[6:7], v3, off
.LBB46_184:
	s_mov_b64 s[40:41], 0
.LBB46_185:
	s_andn2_b64 vcc, exec, s[40:41]
	s_cbranch_vccnz .LBB46_201
; %bb.186:
	s_cmp_lt_i32 s42, 2
	s_mov_b64 s[40:41], -1
	s_cbranch_scc1 .LBB46_196
; %bb.187:
	s_cmp_lt_i32 s42, 3
	s_cbranch_scc1 .LBB46_193
; %bb.188:
	s_cmp_gt_i32 s42, 3
	s_cbranch_scc0 .LBB46_190
; %bb.189:
	s_mov_b64 s[40:41], 0
	global_store_dwordx2 v[6:7], v[4:5], off
.LBB46_190:
	s_andn2_b64 vcc, exec, s[40:41]
	s_cbranch_vccnz .LBB46_192
; %bb.191:
	global_store_dword v[6:7], v8, off
.LBB46_192:
	s_mov_b64 s[40:41], 0
.LBB46_193:
	s_andn2_b64 vcc, exec, s[40:41]
	s_cbranch_vccnz .LBB46_195
; %bb.194:
	global_store_short v[6:7], v8, off
.LBB46_195:
	s_mov_b64 s[40:41], 0
.LBB46_196:
	s_andn2_b64 vcc, exec, s[40:41]
	s_cbranch_vccnz .LBB46_201
; %bb.197:
	s_cmp_gt_i32 s42, 0
	s_mov_b64 s[40:41], -1
	s_cbranch_scc0 .LBB46_199
; %bb.198:
	s_mov_b64 s[40:41], 0
	global_store_byte v[6:7], v8, off
.LBB46_199:
	s_andn2_b64 vcc, exec, s[40:41]
	s_cbranch_vccnz .LBB46_201
; %bb.200:
	global_store_byte v[6:7], v0, off
.LBB46_201:
	s_branch .LBB46_114
.LBB46_202:
	s_mov_b64 s[40:41], 0
                                        ; implicit-def: $vgpr16
.LBB46_203:
	s_andn2_b64 s[42:43], s[30:31], exec
	s_and_b64 s[36:37], s[36:37], exec
	s_or_b64 s[36:37], s[42:43], s[36:37]
	s_orn2_b64 s[42:43], s[40:41], exec
.LBB46_204:
	s_or_b64 exec, exec, s[38:39]
	s_mov_b64 s[44:45], 0
	s_mov_b64 s[40:41], 0
                                        ; implicit-def: $sgpr63
                                        ; implicit-def: $vgpr6_vgpr7
	s_and_saveexec_b64 s[38:39], s[42:43]
	s_cbranch_execz .LBB46_363
; %bb.205:
	v_cmp_gt_i32_e32 vcc, s48, v16
	s_mov_b64 s[46:47], -1
	s_mov_b64 s[42:43], s[36:37]
	s_and_saveexec_b64 s[40:41], vcc
	s_cbranch_execz .LBB46_306
; %bb.206:
	v_mul_lo_u32 v3, v16, s33
	v_mov_b32_e32 v7, s11
	s_and_b32 s49, s52, 0xff
	s_cmp_lt_i32 s49, 11
	v_ashrrev_i32_e32 v17, 31, v3
	v_add_co_u32_e32 v6, vcc, s10, v3
	v_addc_co_u32_e32 v7, vcc, v7, v17, vcc
	s_cbranch_scc1 .LBB46_213
; %bb.207:
	s_and_b32 s50, 0xffff, s49
	s_cmp_gt_i32 s50, 25
	s_cbranch_scc0 .LBB46_214
; %bb.208:
	s_cmp_gt_i32 s50, 28
	s_cbranch_scc0 .LBB46_215
; %bb.209:
	s_cmp_gt_i32 s50, 43
	s_cbranch_scc0 .LBB46_216
; %bb.210:
	s_cmp_gt_i32 s50, 45
	s_cbranch_scc0 .LBB46_217
; %bb.211:
	s_mov_b64 s[46:47], 0
	s_mov_b64 s[42:43], -1
	s_cmp_eq_u32 s50, 46
	s_cbranch_scc0 .LBB46_218
; %bb.212:
	global_store_dword v[6:7], v11, off
	s_mov_b64 s[44:45], -1
	s_mov_b64 s[42:43], 0
	s_branch .LBB46_218
.LBB46_213:
	s_mov_b64 s[42:43], s[36:37]
	s_branch .LBB46_263
.LBB46_214:
	s_mov_b64 s[42:43], s[36:37]
	s_branch .LBB46_240
.LBB46_215:
	s_mov_b64 s[42:43], s[36:37]
	s_branch .LBB46_226
.LBB46_216:
	s_mov_b64 s[42:43], s[36:37]
	s_branch .LBB46_222
.LBB46_217:
	s_mov_b64 s[42:43], s[36:37]
.LBB46_218:
	s_and_b64 vcc, exec, s[46:47]
	s_cbranch_vccz .LBB46_221
; %bb.219:
	s_cmp_eq_u32 s50, 44
	s_mov_b64 s[42:43], -1
	s_cbranch_scc0 .LBB46_221
; %bb.220:
	v_mov_b32_e32 v3, 0xffff
	v_cndmask_b32_e64 v3, v15, v3, s[4:5]
	s_mov_b64 s[44:45], -1
	s_mov_b64 s[42:43], 0
	global_store_byte v[6:7], v3, off
.LBB46_221:
	s_mov_b64 s[46:47], 0
.LBB46_222:
	s_and_b64 vcc, exec, s[46:47]
	s_cbranch_vccz .LBB46_225
; %bb.223:
	s_cmp_eq_u32 s50, 29
	s_mov_b64 s[42:43], -1
	s_cbranch_scc0 .LBB46_225
; %bb.224:
	global_store_dwordx2 v[6:7], v[0:1], off
	s_mov_b64 s[44:45], -1
	s_mov_b64 s[42:43], 0
.LBB46_225:
	s_mov_b64 s[46:47], 0
.LBB46_226:
	s_and_b64 vcc, exec, s[46:47]
	s_cbranch_vccz .LBB46_239
; %bb.227:
	s_cmp_lt_i32 s50, 27
	s_mov_b64 s[44:45], -1
	s_cbranch_scc1 .LBB46_233
; %bb.228:
	s_cmp_gt_i32 s50, 27
	s_cbranch_scc0 .LBB46_230
; %bb.229:
	s_mov_b64 s[44:45], 0
	global_store_dword v[6:7], v13, off
.LBB46_230:
	s_andn2_b64 vcc, exec, s[44:45]
	s_cbranch_vccnz .LBB46_232
; %bb.231:
	global_store_short v[6:7], v13, off
.LBB46_232:
	s_mov_b64 s[44:45], 0
.LBB46_233:
	s_andn2_b64 vcc, exec, s[44:45]
	s_cbranch_vccnz .LBB46_238
; %bb.234:
	s_andn2_b64 vcc, exec, s[26:27]
	v_mov_b32_e32 v3, 0x80
	s_cbranch_vccnz .LBB46_237
; %bb.235:
	s_or_b64 s[44:45], s[2:3], s[28:29]
	s_andn2_b64 vcc, exec, s[44:45]
	v_mov_b32_e32 v3, 0
	s_cbranch_vccnz .LBB46_237
; %bb.236:
	v_mov_b32_e32 v3, s62
	v_cndmask_b32_e64 v3, v14, v3, s[2:3]
	v_or_b32_e32 v3, v3, v10
.LBB46_237:
	global_store_byte v[6:7], v3, off
.LBB46_238:
	s_mov_b64 s[44:45], -1
.LBB46_239:
	s_mov_b64 s[46:47], 0
.LBB46_240:
	s_and_b64 vcc, exec, s[46:47]
	s_cbranch_vccz .LBB46_262
; %bb.241:
	s_cmp_gt_i32 s50, 22
	s_mov_b64 s[46:47], -1
	s_cbranch_scc0 .LBB46_254
; %bb.242:
	s_cmp_lt_i32 s50, 24
	s_mov_b64 s[44:45], -1
	s_cbranch_scc1 .LBB46_251
; %bb.243:
	s_cmp_gt_i32 s50, 24
	s_cbranch_scc0 .LBB46_248
; %bb.244:
	s_andn2_b64 vcc, exec, s[22:23]
	v_mov_b32_e32 v3, 0x80
	s_cbranch_vccnz .LBB46_247
; %bb.245:
	s_or_b64 s[44:45], s[0:1], s[24:25]
	s_andn2_b64 vcc, exec, s[44:45]
	v_mov_b32_e32 v3, 0
	s_cbranch_vccnz .LBB46_247
; %bb.246:
	v_mov_b32_e32 v3, s60
	v_cndmask_b32_e64 v3, v12, v3, s[0:1]
	v_or_b32_e32 v3, v3, v10
.LBB46_247:
	s_mov_b64 s[44:45], 0
	global_store_byte v[6:7], v3, off
.LBB46_248:
	s_and_b64 vcc, exec, s[44:45]
	s_cbranch_vccz .LBB46_250
; %bb.249:
	s_and_b64 s[44:45], s[20:21], exec
	s_cselect_b32 s46, s59, s58
	s_and_b64 s[44:45], s[18:19], exec
	s_cselect_b32 s44, s61, s46
	v_or_b32_e32 v3, s44, v10
	global_store_byte v[6:7], v3, off
.LBB46_250:
	s_mov_b64 s[44:45], 0
.LBB46_251:
	s_andn2_b64 vcc, exec, s[44:45]
	s_cbranch_vccnz .LBB46_253
; %bb.252:
	s_and_b64 s[44:45], s[16:17], exec
	s_cselect_b32 s46, s56, s55
	s_and_b64 s[44:45], s[14:15], exec
	s_cselect_b32 s44, s57, s46
	v_or_b32_e32 v3, s44, v10
	global_store_byte v[6:7], v3, off
.LBB46_253:
	s_mov_b64 s[46:47], 0
	s_mov_b64 s[44:45], -1
.LBB46_254:
	s_andn2_b64 vcc, exec, s[46:47]
	s_cbranch_vccnz .LBB46_262
; %bb.255:
	s_cmp_gt_i32 s50, 14
	s_mov_b64 s[46:47], -1
	s_cbranch_scc0 .LBB46_259
; %bb.256:
	s_cmp_eq_u32 s50, 15
	s_mov_b64 s[42:43], -1
	s_cbranch_scc0 .LBB46_258
; %bb.257:
	global_store_short v[6:7], v11, off
	s_mov_b64 s[44:45], -1
	s_mov_b64 s[42:43], 0
.LBB46_258:
	s_mov_b64 s[46:47], 0
.LBB46_259:
	s_and_b64 vcc, exec, s[46:47]
	s_cbranch_vccz .LBB46_262
; %bb.260:
	s_cmp_eq_u32 s50, 11
	s_mov_b64 s[42:43], -1
	s_cbranch_scc0 .LBB46_262
; %bb.261:
	s_mov_b64 s[44:45], -1
	s_mov_b64 s[42:43], 0
	global_store_byte v[6:7], v9, off
.LBB46_262:
	s_mov_b64 s[46:47], 0
.LBB46_263:
	s_and_b64 vcc, exec, s[46:47]
	s_cbranch_vccz .LBB46_302
; %bb.264:
	s_and_b32 s46, 0xffff, s49
	s_cmp_lt_i32 s46, 5
	s_mov_b64 s[44:45], -1
	s_cbranch_scc1 .LBB46_285
; %bb.265:
	s_cmp_lt_i32 s46, 8
	s_cbranch_scc1 .LBB46_275
; %bb.266:
	s_cmp_lt_i32 s46, 9
	s_cbranch_scc1 .LBB46_272
; %bb.267:
	s_cmp_gt_i32 s46, 9
	s_cbranch_scc0 .LBB46_269
; %bb.268:
	v_mov_b32_e32 v19, 0
	v_mov_b32_e32 v17, s8
	;; [unrolled: 1-line block ×4, first 2 shown]
	s_mov_b64 s[44:45], 0
	global_store_dwordx4 v[6:7], v[17:20], off
.LBB46_269:
	s_andn2_b64 vcc, exec, s[44:45]
	s_cbranch_vccnz .LBB46_271
; %bb.270:
	v_mov_b32_e32 v3, 0
	global_store_dwordx2 v[6:7], v[2:3], off
.LBB46_271:
	s_mov_b64 s[44:45], 0
.LBB46_272:
	s_andn2_b64 vcc, exec, s[44:45]
	s_cbranch_vccnz .LBB46_274
; %bb.273:
	v_mov_b32_e32 v3, s54
	global_store_dword v[6:7], v3, off
.LBB46_274:
	s_mov_b64 s[44:45], 0
.LBB46_275:
	s_andn2_b64 vcc, exec, s[44:45]
	s_cbranch_vccnz .LBB46_284
; %bb.276:
	s_cmp_lt_i32 s46, 6
	s_mov_b64 s[44:45], -1
	s_cbranch_scc1 .LBB46_282
; %bb.277:
	s_cmp_gt_i32 s46, 6
	s_cbranch_scc0 .LBB46_279
; %bb.278:
	v_mov_b32_e32 v18, s9
	v_mov_b32_e32 v17, s8
	s_mov_b64 s[44:45], 0
	global_store_dwordx2 v[6:7], v[17:18], off
.LBB46_279:
	s_andn2_b64 vcc, exec, s[44:45]
	s_cbranch_vccnz .LBB46_281
; %bb.280:
	global_store_dword v[6:7], v2, off
.LBB46_281:
	s_mov_b64 s[44:45], 0
.LBB46_282:
	s_andn2_b64 vcc, exec, s[44:45]
	s_cbranch_vccnz .LBB46_284
; %bb.283:
	v_mov_b32_e32 v3, s53
	global_store_short v[6:7], v3, off
.LBB46_284:
	s_mov_b64 s[44:45], 0
.LBB46_285:
	s_andn2_b64 vcc, exec, s[44:45]
	s_cbranch_vccnz .LBB46_301
; %bb.286:
	s_cmp_lt_i32 s46, 2
	s_mov_b64 s[44:45], -1
	s_cbranch_scc1 .LBB46_296
; %bb.287:
	s_cmp_lt_i32 s46, 3
	s_cbranch_scc1 .LBB46_293
; %bb.288:
	s_cmp_gt_i32 s46, 3
	s_cbranch_scc0 .LBB46_290
; %bb.289:
	s_mov_b64 s[44:45], 0
	global_store_dwordx2 v[6:7], v[4:5], off
.LBB46_290:
	s_andn2_b64 vcc, exec, s[44:45]
	s_cbranch_vccnz .LBB46_292
; %bb.291:
	global_store_dword v[6:7], v8, off
.LBB46_292:
	s_mov_b64 s[44:45], 0
.LBB46_293:
	s_andn2_b64 vcc, exec, s[44:45]
	s_cbranch_vccnz .LBB46_295
; %bb.294:
	global_store_short v[6:7], v8, off
.LBB46_295:
	s_mov_b64 s[44:45], 0
.LBB46_296:
	s_andn2_b64 vcc, exec, s[44:45]
	s_cbranch_vccnz .LBB46_301
; %bb.297:
	s_cmp_gt_i32 s46, 0
	s_mov_b64 s[44:45], -1
	s_cbranch_scc0 .LBB46_299
; %bb.298:
	s_mov_b64 s[44:45], 0
	global_store_byte v[6:7], v8, off
.LBB46_299:
	s_andn2_b64 vcc, exec, s[44:45]
	s_cbranch_vccnz .LBB46_301
; %bb.300:
	global_store_byte v[6:7], v0, off
.LBB46_301:
	s_mov_b64 s[44:45], -1
.LBB46_302:
	s_andn2_b64 vcc, exec, s[44:45]
	s_cbranch_vccnz .LBB46_304
; %bb.303:
	v_add_u32_e32 v16, 0x80, v16
	s_mov_b64 s[44:45], -1
	s_branch .LBB46_305
.LBB46_304:
	s_mov_b64 s[44:45], 0
                                        ; implicit-def: $vgpr16
.LBB46_305:
	s_andn2_b64 s[46:47], s[36:37], exec
	s_and_b64 s[42:43], s[42:43], exec
	s_or_b64 s[42:43], s[46:47], s[42:43]
	s_orn2_b64 s[46:47], s[44:45], exec
.LBB46_306:
	s_or_b64 exec, exec, s[40:41]
	s_mov_b64 s[44:45], 0
	s_mov_b64 s[50:51], 0
                                        ; implicit-def: $sgpr63
                                        ; implicit-def: $vgpr6_vgpr7
	s_and_saveexec_b64 s[40:41], s[46:47]
	s_cbranch_execz .LBB46_362
; %bb.307:
	v_cmp_gt_i32_e32 vcc, s48, v16
	s_mov_b64 s[48:49], 0
	s_mov_b64 s[46:47], s[42:43]
                                        ; implicit-def: $sgpr63
                                        ; implicit-def: $vgpr6_vgpr7
	s_and_saveexec_b64 s[44:45], vcc
	s_cbranch_execz .LBB46_361
; %bb.308:
	v_mul_lo_u32 v3, v16, s33
	v_mov_b32_e32 v7, s11
	s_and_b32 s63, s52, 0xff
	s_cmp_lt_i32 s63, 11
	v_ashrrev_i32_e32 v16, 31, v3
	v_add_co_u32_e32 v6, vcc, s10, v3
	v_addc_co_u32_e32 v7, vcc, v7, v16, vcc
	s_cbranch_scc1 .LBB46_358
; %bb.309:
	s_and_b32 s50, 0xffff, s63
	s_mov_b64 s[48:49], -1
	s_cmp_gt_i32 s50, 25
	s_mov_b64 s[46:47], s[42:43]
	s_cbranch_scc0 .LBB46_337
; %bb.310:
	s_cmp_gt_i32 s50, 28
	s_mov_b64 s[46:47], s[42:43]
	s_cbranch_scc0 .LBB46_324
; %bb.311:
	;; [unrolled: 4-line block ×4, first 2 shown]
	s_cmp_eq_u32 s50, 46
	s_mov_b64 s[46:47], -1
	s_cbranch_scc0 .LBB46_315
; %bb.314:
	global_store_dword v[6:7], v11, off
	s_mov_b64 s[46:47], 0
.LBB46_315:
	s_mov_b64 s[48:49], 0
.LBB46_316:
	s_and_b64 vcc, exec, s[48:49]
	s_cbranch_vccz .LBB46_319
; %bb.317:
	s_cmp_eq_u32 s50, 44
	s_mov_b64 s[46:47], -1
	s_cbranch_scc0 .LBB46_319
; %bb.318:
	v_mov_b32_e32 v3, 0xffff
	v_cndmask_b32_e64 v3, v15, v3, s[4:5]
	global_store_byte v[6:7], v3, off
	s_mov_b64 s[46:47], 0
.LBB46_319:
	s_mov_b64 s[48:49], 0
.LBB46_320:
	s_and_b64 vcc, exec, s[48:49]
	s_cbranch_vccz .LBB46_323
; %bb.321:
	s_cmp_eq_u32 s50, 29
	s_mov_b64 s[46:47], -1
	s_cbranch_scc0 .LBB46_323
; %bb.322:
	global_store_dwordx2 v[6:7], v[0:1], off
	s_mov_b64 s[46:47], 0
.LBB46_323:
	s_mov_b64 s[48:49], 0
.LBB46_324:
	s_and_b64 vcc, exec, s[48:49]
	s_cbranch_vccz .LBB46_336
; %bb.325:
	s_cmp_lt_i32 s50, 27
	s_mov_b64 s[4:5], -1
	s_cbranch_scc1 .LBB46_331
; %bb.326:
	s_cmp_gt_i32 s50, 27
	s_cbranch_scc0 .LBB46_328
; %bb.327:
	s_mov_b64 s[4:5], 0
	global_store_dword v[6:7], v13, off
.LBB46_328:
	s_andn2_b64 vcc, exec, s[4:5]
	s_cbranch_vccnz .LBB46_330
; %bb.329:
	global_store_short v[6:7], v13, off
.LBB46_330:
	s_mov_b64 s[4:5], 0
.LBB46_331:
	s_andn2_b64 vcc, exec, s[4:5]
	s_cbranch_vccnz .LBB46_336
; %bb.332:
	s_andn2_b64 vcc, exec, s[26:27]
	v_mov_b32_e32 v1, 0x80
	s_cbranch_vccnz .LBB46_335
; %bb.333:
	s_or_b64 s[4:5], s[2:3], s[28:29]
	s_andn2_b64 vcc, exec, s[4:5]
	v_mov_b32_e32 v1, 0
	s_cbranch_vccnz .LBB46_335
; %bb.334:
	v_mov_b32_e32 v1, s62
	v_cndmask_b32_e64 v1, v14, v1, s[2:3]
	v_or_b32_e32 v1, v1, v10
.LBB46_335:
	global_store_byte v[6:7], v1, off
.LBB46_336:
	s_mov_b64 s[48:49], 0
.LBB46_337:
	s_mov_b64 s[2:3], 0
	s_and_b64 vcc, exec, s[48:49]
	s_cbranch_vccz .LBB46_359
; %bb.338:
	s_cmp_gt_i32 s50, 22
	s_mov_b64 s[4:5], -1
	s_cbranch_scc0 .LBB46_351
; %bb.339:
	s_cmp_lt_i32 s50, 24
	s_cbranch_scc1 .LBB46_348
; %bb.340:
	s_cmp_gt_i32 s50, 24
	s_cbranch_scc0 .LBB46_345
; %bb.341:
	s_andn2_b64 vcc, exec, s[22:23]
	v_mov_b32_e32 v1, 0x80
	s_cbranch_vccnz .LBB46_344
; %bb.342:
	s_or_b64 s[4:5], s[0:1], s[24:25]
	s_andn2_b64 vcc, exec, s[4:5]
	v_mov_b32_e32 v1, 0
	s_cbranch_vccnz .LBB46_344
; %bb.343:
	v_mov_b32_e32 v1, s60
	v_cndmask_b32_e64 v1, v12, v1, s[0:1]
	v_or_b32_e32 v1, v1, v10
.LBB46_344:
	s_mov_b64 s[4:5], 0
	global_store_byte v[6:7], v1, off
.LBB46_345:
	s_and_b64 vcc, exec, s[4:5]
	s_cbranch_vccz .LBB46_347
; %bb.346:
	s_and_b64 s[0:1], s[20:21], exec
	s_cselect_b32 s4, s59, s58
	s_and_b64 s[0:1], s[18:19], exec
	s_cselect_b32 s0, s61, s4
	v_or_b32_e32 v1, s0, v10
	global_store_byte v[6:7], v1, off
.LBB46_347:
	s_mov_b64 s[4:5], 0
.LBB46_348:
	s_andn2_b64 vcc, exec, s[4:5]
	s_cbranch_vccnz .LBB46_350
; %bb.349:
	s_and_b64 s[0:1], s[16:17], exec
	s_cselect_b32 s4, s56, s55
	s_and_b64 s[0:1], s[14:15], exec
	s_cselect_b32 s0, s57, s4
	v_or_b32_e32 v1, s0, v10
	global_store_byte v[6:7], v1, off
.LBB46_350:
	s_mov_b64 s[4:5], 0
.LBB46_351:
	s_andn2_b64 vcc, exec, s[4:5]
	s_mov_b64 s[0:1], 0
	s_cbranch_vccnz .LBB46_360
; %bb.352:
	s_cmp_gt_i32 s50, 14
	s_mov_b64 s[4:5], -1
	s_cbranch_scc0 .LBB46_356
; %bb.353:
	s_cmp_eq_u32 s50, 15
	s_mov_b64 s[46:47], -1
	s_cbranch_scc0 .LBB46_355
; %bb.354:
	global_store_short v[6:7], v11, off
	s_mov_b64 s[46:47], 0
.LBB46_355:
	s_mov_b64 s[4:5], 0
.LBB46_356:
	s_and_b64 vcc, exec, s[4:5]
	s_cbranch_vccz .LBB46_360
; %bb.357:
	s_cmp_lg_u32 s50, 11
	s_cselect_b64 s[4:5], -1, 0
	s_andn2_b64 s[14:15], s[46:47], exec
	s_and_b64 s[4:5], s[4:5], exec
	s_mov_b64 s[0:1], -1
	s_or_b64 s[46:47], s[14:15], s[4:5]
	s_branch .LBB46_360
.LBB46_358:
	s_mov_b64 s[0:1], 0
	s_mov_b64 s[2:3], -1
	s_mov_b64 s[46:47], s[42:43]
	s_branch .LBB46_360
.LBB46_359:
	s_mov_b64 s[0:1], 0
.LBB46_360:
	s_and_b64 s[50:51], s[2:3], exec
	s_and_b64 s[48:49], s[0:1], exec
	s_andn2_b64 s[0:1], s[42:43], exec
	s_and_b64 s[2:3], s[46:47], exec
	s_or_b64 s[46:47], s[0:1], s[2:3]
.LBB46_361:
	s_or_b64 exec, exec, s[44:45]
	s_andn2_b64 s[0:1], s[42:43], exec
	s_and_b64 s[2:3], s[46:47], exec
	s_and_b64 s[50:51], s[50:51], exec
	;; [unrolled: 1-line block ×3, first 2 shown]
	s_or_b64 s[42:43], s[0:1], s[2:3]
.LBB46_362:
	s_or_b64 exec, exec, s[40:41]
	s_andn2_b64 s[0:1], s[36:37], exec
	s_and_b64 s[2:3], s[42:43], exec
	s_and_b64 s[40:41], s[50:51], exec
	;; [unrolled: 1-line block ×3, first 2 shown]
	s_or_b64 s[36:37], s[0:1], s[2:3]
.LBB46_363:
	s_or_b64 exec, exec, s[38:39]
	s_andn2_b64 s[0:1], s[30:31], exec
	s_and_b64 s[2:3], s[36:37], exec
	s_and_b64 s[40:41], s[40:41], exec
	;; [unrolled: 1-line block ×3, first 2 shown]
	s_or_b64 s[30:31], s[0:1], s[2:3]
	s_or_b64 exec, exec, s[34:35]
	s_mov_b64 s[0:1], 0
	s_and_saveexec_b64 s[2:3], s[30:31]
	s_cbranch_execz .LBB46_110
.LBB46_364:
	s_mov_b64 s[0:1], exec
	s_andn2_b64 s[38:39], s[38:39], exec
	s_trap 2
	s_or_b64 exec, exec, s[2:3]
	s_and_saveexec_b64 s[2:3], s[38:39]
	s_xor_b64 s[2:3], exec, s[2:3]
	s_cbranch_execnz .LBB46_111
.LBB46_365:
	s_or_b64 exec, exec, s[2:3]
	s_and_saveexec_b64 s[2:3], s[40:41]
	s_xor_b64 s[2:3], exec, s[2:3]
	s_cbranch_execz .LBB46_403
.LBB46_366:
	s_sext_i32_i16 s14, s63
	s_cmp_lt_i32 s14, 5
	s_mov_b64 s[4:5], -1
	s_cbranch_scc1 .LBB46_387
; %bb.367:
	s_cmp_lt_i32 s14, 8
	s_cbranch_scc1 .LBB46_377
; %bb.368:
	s_cmp_lt_i32 s14, 9
	s_cbranch_scc1 .LBB46_374
; %bb.369:
	s_cmp_gt_i32 s14, 9
	s_cbranch_scc0 .LBB46_371
; %bb.370:
	v_mov_b32_e32 v11, 0
	v_mov_b32_e32 v9, s8
	;; [unrolled: 1-line block ×4, first 2 shown]
	s_mov_b64 s[4:5], 0
	global_store_dwordx4 v[6:7], v[9:12], off
.LBB46_371:
	s_andn2_b64 vcc, exec, s[4:5]
	s_cbranch_vccnz .LBB46_373
; %bb.372:
	v_mov_b32_e32 v3, 0
	global_store_dwordx2 v[6:7], v[2:3], off
.LBB46_373:
	s_mov_b64 s[4:5], 0
.LBB46_374:
	s_andn2_b64 vcc, exec, s[4:5]
	s_cbranch_vccnz .LBB46_376
; %bb.375:
	v_mov_b32_e32 v1, s54
	global_store_dword v[6:7], v1, off
.LBB46_376:
	s_mov_b64 s[4:5], 0
.LBB46_377:
	s_andn2_b64 vcc, exec, s[4:5]
	s_cbranch_vccnz .LBB46_386
; %bb.378:
	s_sext_i32_i16 s14, s63
	s_cmp_lt_i32 s14, 6
	s_mov_b64 s[4:5], -1
	s_cbranch_scc1 .LBB46_384
; %bb.379:
	s_cmp_gt_i32 s14, 6
	s_cbranch_scc0 .LBB46_381
; %bb.380:
	v_mov_b32_e32 v10, s9
	v_mov_b32_e32 v9, s8
	s_mov_b64 s[4:5], 0
	global_store_dwordx2 v[6:7], v[9:10], off
.LBB46_381:
	s_andn2_b64 vcc, exec, s[4:5]
	s_cbranch_vccnz .LBB46_383
; %bb.382:
	global_store_dword v[6:7], v2, off
.LBB46_383:
	s_mov_b64 s[4:5], 0
.LBB46_384:
	s_andn2_b64 vcc, exec, s[4:5]
	s_cbranch_vccnz .LBB46_386
; %bb.385:
	v_mov_b32_e32 v1, s53
	global_store_short v[6:7], v1, off
.LBB46_386:
	s_mov_b64 s[4:5], 0
.LBB46_387:
	s_andn2_b64 vcc, exec, s[4:5]
	s_cbranch_vccnz .LBB46_403
; %bb.388:
	s_sext_i32_i16 s14, s63
	s_cmp_lt_i32 s14, 2
	s_mov_b64 s[4:5], -1
	s_cbranch_scc1 .LBB46_398
; %bb.389:
	s_cmp_lt_i32 s14, 3
	s_cbranch_scc1 .LBB46_395
; %bb.390:
	s_cmp_gt_i32 s14, 3
	s_cbranch_scc0 .LBB46_392
; %bb.391:
	s_mov_b64 s[4:5], 0
	global_store_dwordx2 v[6:7], v[4:5], off
.LBB46_392:
	s_andn2_b64 vcc, exec, s[4:5]
	s_cbranch_vccnz .LBB46_394
; %bb.393:
	global_store_dword v[6:7], v8, off
.LBB46_394:
	s_mov_b64 s[4:5], 0
.LBB46_395:
	s_andn2_b64 vcc, exec, s[4:5]
	s_cbranch_vccnz .LBB46_397
; %bb.396:
	global_store_short v[6:7], v8, off
.LBB46_397:
	s_mov_b64 s[4:5], 0
.LBB46_398:
	s_andn2_b64 vcc, exec, s[4:5]
	s_cbranch_vccnz .LBB46_403
; %bb.399:
	s_sext_i32_i16 s4, s63
	s_cmp_gt_i32 s4, 0
	s_mov_b64 s[4:5], -1
	s_cbranch_scc0 .LBB46_401
; %bb.400:
	s_mov_b64 s[4:5], 0
	global_store_byte v[6:7], v8, off
.LBB46_401:
	s_andn2_b64 vcc, exec, s[4:5]
	s_cbranch_vccnz .LBB46_403
; %bb.402:
	global_store_byte v[6:7], v0, off
.LBB46_403:
	s_or_b64 exec, exec, s[2:3]
	s_and_b64 s[0:1], s[0:1], exec
                                        ; implicit-def: $vgpr16
.LBB46_404:
	s_or_saveexec_b64 s[2:3], s[12:13]
	s_mov_b64 s[12:13], 0
                                        ; implicit-def: $sgpr18
                                        ; implicit-def: $vgpr0_vgpr1
	s_xor_b64 exec, exec, s[2:3]
	s_cbranch_execz .LBB46_433
; %bb.405:
	v_mul_lo_u32 v2, s33, v16
	v_mov_b32_e32 v1, s11
	s_and_b32 s18, s52, 0xff
	s_cmp_lt_i32 s18, 11
	v_ashrrev_i32_e32 v3, 31, v2
	v_add_co_u32_e32 v0, vcc, s10, v2
	v_addc_co_u32_e32 v1, vcc, v1, v3, vcc
	s_cbranch_scc1 .LBB46_436
; %bb.406:
	s_and_b32 s16, 0xffff, s18
	s_mov_b64 s[14:15], -1
	s_cmp_gt_i32 s16, 25
	s_mov_b64 s[4:5], 0
	s_cbranch_scc0 .LBB46_446
; %bb.407:
	s_cmp_gt_i32 s16, 28
	s_cbranch_scc0 .LBB46_422
; %bb.408:
	s_cmp_gt_i32 s16, 43
	;; [unrolled: 3-line block ×3, first 2 shown]
	s_cbranch_scc0 .LBB46_412
; %bb.410:
	s_mov_b64 s[4:5], -1
	s_mov_b64 s[14:15], 0
	s_cmp_eq_u32 s16, 46
	s_cbranch_scc0 .LBB46_412
; %bb.411:
	v_cvt_f32_f64_e32 v3, s[8:9]
	v_mov_b32_e32 v4, 0x7fc0
	s_mov_b64 s[4:5], 0
	s_mov_b64 s[12:13], -1
	v_bfe_u32 v5, v3, 16, 1
	v_cmp_o_f32_e32 vcc, v3, v3
	v_add_u32_e32 v3, v3, v5
	v_add_u32_e32 v3, 0x7fff, v3
	v_cndmask_b32_sdwa v3, v4, v3, vcc dst_sel:DWORD dst_unused:UNUSED_PAD src0_sel:DWORD src1_sel:WORD_1
	global_store_dword v[0:1], v3, off
.LBB46_412:
	s_and_b64 vcc, exec, s[14:15]
	s_cbranch_vccz .LBB46_417
; %bb.413:
	s_cmp_eq_u32 s16, 44
	s_mov_b64 s[4:5], -1
	s_cbranch_scc0 .LBB46_417
; %bb.414:
	v_cvt_f32_f64_e32 v3, s[8:9]
	v_mov_b32_e32 v4, 0xff
	v_readfirstlane_b32 s4, v3
	s_bfe_u32 s5, s4, 0x80017
	s_cmpk_eq_i32 s5, 0xff
	s_cbranch_scc1 .LBB46_416
; %bb.415:
	s_bitcmp1_b32 s4, 22
	s_cselect_b64 s[12:13], -1, 0
	s_and_b32 s4, s4, 0x3fffff
	s_or_b32 s4, s5, s4
	s_cmp_lg_u32 s4, 0
	s_cselect_b64 s[4:5], -1, 0
	s_and_b64 s[4:5], s[12:13], s[4:5]
	v_lshrrev_b32_e32 v3, 23, v3
	v_cndmask_b32_e64 v4, 0, 1, s[4:5]
	v_add_u32_e32 v4, v3, v4
.LBB46_416:
	s_mov_b64 s[4:5], 0
	s_mov_b64 s[12:13], -1
	global_store_byte v[0:1], v4, off
.LBB46_417:
	s_mov_b64 s[14:15], 0
.LBB46_418:
	s_and_b64 vcc, exec, s[14:15]
	s_cbranch_vccz .LBB46_421
; %bb.419:
	s_cmp_eq_u32 s16, 29
	s_mov_b64 s[4:5], -1
	s_cbranch_scc0 .LBB46_421
; %bb.420:
	v_trunc_f64_e32 v[3:4], s[8:9]
	s_movk_i32 s4, 0xffe0
	s_mov_b64 s[12:13], -1
	v_ldexp_f64 v[5:6], v[3:4], s4
	s_mov_b32 s4, 0
	s_mov_b32 s5, 0xc1f00000
	v_floor_f64_e32 v[5:6], v[5:6]
	v_fma_f64 v[3:4], v[5:6], s[4:5], v[3:4]
	v_cvt_u32_f64_e32 v5, v[5:6]
	s_mov_b64 s[4:5], 0
	v_cvt_u32_f64_e32 v4, v[3:4]
	global_store_dwordx2 v[0:1], v[4:5], off
.LBB46_421:
	s_mov_b64 s[14:15], 0
.LBB46_422:
	s_and_b64 vcc, exec, s[14:15]
	s_cbranch_vccz .LBB46_445
; %bb.423:
	s_cmp_lt_i32 s16, 27
	s_mov_b64 s[12:13], -1
	s_cbranch_scc1 .LBB46_429
; %bb.424:
	s_cmp_gt_i32 s16, 27
	s_cbranch_scc0 .LBB46_426
; %bb.425:
	v_cvt_u32_f64_e32 v3, s[8:9]
	s_mov_b64 s[12:13], 0
	global_store_dword v[0:1], v3, off
.LBB46_426:
	s_andn2_b64 vcc, exec, s[12:13]
	s_cbranch_vccnz .LBB46_428
; %bb.427:
	v_cvt_u32_f64_e32 v3, s[8:9]
	global_store_short v[0:1], v3, off
.LBB46_428:
	s_mov_b64 s[12:13], 0
.LBB46_429:
	s_andn2_b64 vcc, exec, s[12:13]
	s_cbranch_vccnz .LBB46_444
; %bb.430:
	v_cvt_f32_f64_e32 v3, s[8:9]
	v_mov_b32_e32 v4, 0x80
	v_readfirstlane_b32 s17, v3
	s_and_b32 s12, s17, 0x7fffffff
	s_cmp_gt_u32 s12, 0x437fffff
	s_cbranch_scc1 .LBB46_443
; %bb.431:
	s_cmp_gt_u32 s12, 0x3bffffff
	s_cbranch_scc0 .LBB46_438
; %bb.432:
	s_bfe_u32 s12, s17, 0x10014
	s_add_i32 s12, s17, s12
	s_add_i32 s12, s12, 0x487ffff
	s_lshr_b32 s19, s12, 20
	s_mov_b64 s[14:15], 0
	s_mov_b64 s[12:13], -1
	s_branch .LBB46_439
.LBB46_433:
	s_or_b64 exec, exec, s[2:3]
	s_and_saveexec_b64 s[2:3], s[0:1]
	s_cbranch_execz .LBB46_834
.LBB46_434:
	; divergent unreachable
	s_or_b64 exec, exec, s[2:3]
	s_and_saveexec_b64 s[0:1], s[6:7]
	s_xor_b64 s[0:1], exec, s[0:1]
	s_cbranch_execnz .LBB46_835
.LBB46_435:
	s_or_b64 exec, exec, s[0:1]
	s_and_saveexec_b64 s[0:1], s[12:13]
	s_cbranch_execnz .LBB46_836
	s_branch .LBB46_873
.LBB46_436:
	s_mov_b64 s[4:5], s[0:1]
	s_cbranch_execnz .LBB46_496
.LBB46_437:
	s_andn2_b64 vcc, exec, s[12:13]
	s_cbranch_vccz .LBB46_534
	s_branch .LBB46_832
.LBB46_438:
	s_mov_b64 s[14:15], -1
	s_mov_b64 s[12:13], 0
                                        ; implicit-def: $sgpr19
.LBB46_439:
	s_andn2_b64 vcc, exec, s[14:15]
	v_mov_b32_e32 v3, s19
	s_cbranch_vccnz .LBB46_441
; %bb.440:
	v_mov_b32_e32 v3, 0x46000000
	v_add_f32_e64 v3, |s17|, v3
	v_and_b32_e32 v3, 0xff, v3
	v_cmp_ne_u32_e64 s[12:13], 0, v3
.LBB46_441:
	s_andn2_b64 vcc, exec, s[12:13]
	v_mov_b32_e32 v4, 0
	s_cbranch_vccnz .LBB46_443
; %bb.442:
	s_lshr_b32 s12, s17, 24
	s_and_b32 s12, s12, 0x80
	v_or_b32_e32 v4, s12, v3
.LBB46_443:
	global_store_byte v[0:1], v4, off
.LBB46_444:
	s_mov_b64 s[12:13], -1
.LBB46_445:
	s_mov_b64 s[14:15], 0
.LBB46_446:
	s_and_b64 vcc, exec, s[14:15]
	s_cbranch_vccz .LBB46_492
; %bb.447:
	s_cmp_gt_i32 s16, 22
	s_mov_b64 s[6:7], -1
	s_cbranch_scc0 .LBB46_485
; %bb.448:
	s_cmp_lt_i32 s16, 24
	s_cbranch_scc1 .LBB46_472
; %bb.449:
	s_cmp_gt_i32 s16, 24
	s_cbranch_scc0 .LBB46_459
; %bb.450:
	v_cvt_f32_f64_e32 v3, s[8:9]
	v_mov_b32_e32 v4, 0x80
	v_readfirstlane_b32 s14, v3
	s_and_b32 s6, s14, 0x7fffffff
	s_cmp_gt_u32 s6, 0x477fffff
	s_cbranch_scc1 .LBB46_458
; %bb.451:
	s_cmp_gt_u32 s6, 0x37ffffff
	s_cbranch_scc0 .LBB46_453
; %bb.452:
	s_bfe_u32 s6, s14, 0x10015
	s_add_i32 s6, s14, s6
	s_add_i32 s6, s6, 0x88fffff
	s_lshr_b32 s15, s6, 21
	s_mov_b64 s[12:13], 0
	s_mov_b64 s[6:7], -1
	s_branch .LBB46_454
.LBB46_453:
	s_mov_b64 s[12:13], -1
	s_mov_b64 s[6:7], 0
                                        ; implicit-def: $sgpr15
.LBB46_454:
	s_andn2_b64 vcc, exec, s[12:13]
	v_mov_b32_e32 v3, s15
	s_cbranch_vccnz .LBB46_456
; %bb.455:
	v_mov_b32_e32 v3, 0x42800000
	v_add_f32_e64 v3, |s14|, v3
	v_and_b32_e32 v3, 0xff, v3
	v_cmp_ne_u32_e64 s[6:7], 0, v3
.LBB46_456:
	s_andn2_b64 vcc, exec, s[6:7]
	v_mov_b32_e32 v4, 0
	s_cbranch_vccnz .LBB46_458
; %bb.457:
	s_lshr_b32 s6, s14, 24
	s_and_b32 s6, s6, 0x80
	v_or_b32_e32 v4, s6, v3
.LBB46_458:
	s_mov_b64 s[6:7], 0
	global_store_byte v[0:1], v4, off
.LBB46_459:
	s_and_b64 vcc, exec, s[6:7]
	s_cbranch_vccz .LBB46_471
; %bb.460:
	v_cvt_f32_f64_e32 v3, s[8:9]
	v_readfirstlane_b32 s12, v3
	s_and_b32 s13, s12, 0x7fffffff
	s_cmp_lt_u32 s13, 0x43f00000
	s_cbranch_scc0 .LBB46_463
; %bb.461:
	s_cmp_gt_u32 s13, 0x3c7fffff
	s_cbranch_scc0 .LBB46_464
; %bb.462:
	s_bfe_u32 s6, s12, 0x10014
	s_add_i32 s6, s12, s6
	s_add_i32 s6, s6, 0x407ffff
	s_lshr_b32 s7, s6, 20
	s_and_b32 s6, s6, 0xff00000
	s_cmp_lg_u32 s6, 0x7f00000
	s_cselect_b32 s14, s7, 0x7e
	s_mov_b64 s[6:7], 0
	s_branch .LBB46_465
.LBB46_463:
	s_mov_b64 s[6:7], -1
                                        ; implicit-def: $vgpr4
	s_branch .LBB46_468
.LBB46_464:
	s_mov_b64 s[6:7], -1
                                        ; implicit-def: $sgpr14
.LBB46_465:
	s_andn2_b64 vcc, exec, s[6:7]
	v_mov_b32_e32 v4, s14
	s_cbranch_vccnz .LBB46_467
; %bb.466:
	s_mov_b32 s6, 0x46800000
	v_add_f32_e64 v4, |v3|, s6
.LBB46_467:
	s_mov_b64 s[6:7], 0
.LBB46_468:
	s_andn2_b64 vcc, exec, s[6:7]
	s_cbranch_vccnz .LBB46_470
; %bb.469:
	s_cmp_gt_u32 s13, 0x7f800000
	s_movk_i32 s6, 0x7f
	s_cselect_b32 s6, s6, 0x7e
	v_mov_b32_e32 v4, s6
.LBB46_470:
	s_lshr_b32 s6, s12, 24
	s_and_b32 s6, s6, 0x80
	v_or_b32_e32 v3, s6, v4
	global_store_byte v[0:1], v3, off
.LBB46_471:
	s_mov_b64 s[6:7], 0
.LBB46_472:
	s_andn2_b64 vcc, exec, s[6:7]
	s_cbranch_vccnz .LBB46_484
; %bb.473:
	v_cvt_f32_f64_e32 v3, s[8:9]
	v_readfirstlane_b32 s12, v3
	s_and_b32 s13, s12, 0x7fffffff
	s_cmp_lt_u32 s13, 0x47800000
	s_cbranch_scc0 .LBB46_476
; %bb.474:
	s_cmp_gt_u32 s13, 0x387fffff
	s_cbranch_scc0 .LBB46_477
; %bb.475:
	s_bfe_u32 s6, s12, 0x10015
	s_add_i32 s6, s12, s6
	s_add_i32 s6, s6, 0x80fffff
	s_lshr_b32 s14, s6, 21
	s_mov_b64 s[6:7], 0
	s_branch .LBB46_478
.LBB46_476:
	s_mov_b64 s[6:7], -1
                                        ; implicit-def: $vgpr4
	s_branch .LBB46_481
.LBB46_477:
	s_mov_b64 s[6:7], -1
                                        ; implicit-def: $sgpr14
.LBB46_478:
	s_andn2_b64 vcc, exec, s[6:7]
	v_mov_b32_e32 v4, s14
	s_cbranch_vccnz .LBB46_480
; %bb.479:
	s_mov_b32 s6, 0x43000000
	v_add_f32_e64 v4, |v3|, s6
.LBB46_480:
	s_mov_b64 s[6:7], 0
.LBB46_481:
	s_andn2_b64 vcc, exec, s[6:7]
	s_cbranch_vccnz .LBB46_483
; %bb.482:
	s_cmp_gt_u32 s13, 0x7f800000
	s_movk_i32 s6, 0x7f
	s_cselect_b32 s6, s6, 0x7c
	v_mov_b32_e32 v4, s6
.LBB46_483:
	s_lshr_b32 s6, s12, 24
	s_and_b32 s6, s6, 0x80
	v_or_b32_e32 v3, s6, v4
	global_store_byte v[0:1], v3, off
.LBB46_484:
	s_mov_b64 s[6:7], 0
	s_mov_b64 s[12:13], -1
.LBB46_485:
	s_andn2_b64 vcc, exec, s[6:7]
	s_mov_b64 s[6:7], 0
	s_cbranch_vccnz .LBB46_492
; %bb.486:
	s_cmp_gt_i32 s16, 14
	s_mov_b64 s[14:15], -1
	s_cbranch_scc0 .LBB46_490
; %bb.487:
	s_cmp_eq_u32 s16, 15
	s_mov_b64 s[4:5], -1
	s_cbranch_scc0 .LBB46_489
; %bb.488:
	v_cvt_f32_f64_e32 v3, s[8:9]
	v_mov_b32_e32 v4, 0x7fc0
	s_mov_b64 s[4:5], 0
	s_mov_b64 s[12:13], -1
	v_bfe_u32 v5, v3, 16, 1
	v_cmp_o_f32_e32 vcc, v3, v3
	v_add_u32_e32 v3, v3, v5
	v_add_u32_e32 v3, 0x7fff, v3
	v_cndmask_b32_sdwa v3, v4, v3, vcc dst_sel:DWORD dst_unused:UNUSED_PAD src0_sel:DWORD src1_sel:WORD_1
	global_store_short v[0:1], v3, off
.LBB46_489:
	s_mov_b64 s[14:15], 0
.LBB46_490:
	s_and_b64 vcc, exec, s[14:15]
	s_cbranch_vccz .LBB46_492
; %bb.491:
	s_cmp_lg_u32 s16, 11
	s_mov_b64 s[6:7], -1
	s_cselect_b64 s[4:5], -1, 0
.LBB46_492:
	s_and_b64 vcc, exec, s[4:5]
	s_mov_b64 s[4:5], s[0:1]
	s_cbranch_vccnz .LBB46_564
; %bb.493:
	s_andn2_b64 vcc, exec, s[6:7]
	s_cbranch_vccnz .LBB46_495
.LBB46_494:
	v_cmp_neq_f64_e64 s[6:7], s[8:9], 0
	s_mov_b64 s[12:13], -1
	v_cndmask_b32_e64 v3, 0, 1, s[6:7]
	global_store_byte v[0:1], v3, off
.LBB46_495:
	s_branch .LBB46_437
.LBB46_496:
	s_and_b32 s12, 0xffff, s18
	s_cmp_lt_i32 s12, 5
	s_mov_b64 s[6:7], -1
	s_cbranch_scc1 .LBB46_517
; %bb.497:
	s_cmp_lt_i32 s12, 8
	s_cbranch_scc1 .LBB46_507
; %bb.498:
	s_cmp_lt_i32 s12, 9
	s_cbranch_scc1 .LBB46_504
; %bb.499:
	s_cmp_gt_i32 s12, 9
	s_cbranch_scc0 .LBB46_501
; %bb.500:
	v_mov_b32_e32 v5, 0
	v_mov_b32_e32 v3, s8
	;; [unrolled: 1-line block ×4, first 2 shown]
	global_store_dwordx4 v[0:1], v[3:6], off
	s_mov_b64 s[6:7], 0
.LBB46_501:
	s_andn2_b64 vcc, exec, s[6:7]
	s_cbranch_vccnz .LBB46_503
; %bb.502:
	v_cvt_f32_f64_e32 v3, s[8:9]
	v_mov_b32_e32 v4, 0
	global_store_dwordx2 v[0:1], v[3:4], off
.LBB46_503:
	s_mov_b64 s[6:7], 0
.LBB46_504:
	s_andn2_b64 vcc, exec, s[6:7]
	s_cbranch_vccnz .LBB46_506
; %bb.505:
	s_lshr_b32 s6, s9, 8
	s_and_b32 s13, s6, 0xffe
	s_and_b32 s6, s9, 0x1ff
	s_or_b32 s6, s6, s8
	s_cmp_lg_u32 s6, 0
	s_cselect_b64 s[6:7], -1, 0
	v_cndmask_b32_e64 v3, 0, 1, s[6:7]
	v_readfirstlane_b32 s6, v3
	s_or_b32 s6, s13, s6
	s_bfe_u32 s13, s9, 0xb0014
	s_sub_i32 s14, 0x3f1, s13
	v_med3_i32 v3, s14, 0, 13
	s_or_b32 s7, s6, 0x1000
	v_readfirstlane_b32 s14, v3
	s_lshr_b32 s15, s7, s14
	s_lshl_b32 s14, s15, s14
	s_cmp_lg_u32 s14, s7
	s_cselect_b32 s7, 1, 0
	s_addk_i32 s13, 0xfc10
	s_lshl_b32 s14, s13, 12
	s_or_b32 s7, s15, s7
	s_or_b32 s14, s6, s14
	s_cmp_lt_i32 s13, 1
	s_cselect_b32 s7, s7, s14
	s_and_b32 s14, s7, 7
	s_cmp_gt_i32 s14, 5
	s_cselect_b32 s15, 1, 0
	s_cmp_eq_u32 s14, 3
	s_cselect_b32 s14, 1, 0
	s_or_b32 s14, s14, s15
	s_lshr_b32 s7, s7, 2
	s_add_i32 s7, s7, s14
	s_cmp_lt_i32 s13, 31
	s_cselect_b32 s7, s7, 0x7c00
	s_cmp_lg_u32 s6, 0
	s_movk_i32 s6, 0x7e00
	s_cselect_b32 s6, s6, 0x7c00
	s_cmpk_eq_i32 s13, 0x40f
	s_cselect_b32 s6, s6, s7
	s_lshr_b32 s7, s9, 16
	s_and_b32 s7, s7, 0x8000
	s_or_b32 s6, s7, s6
	s_and_b32 s6, s6, 0xffff
	v_mov_b32_e32 v3, s6
	global_store_dword v[0:1], v3, off
.LBB46_506:
	s_mov_b64 s[6:7], 0
.LBB46_507:
	s_andn2_b64 vcc, exec, s[6:7]
	s_cbranch_vccnz .LBB46_516
; %bb.508:
	s_cmp_lt_i32 s12, 6
	s_mov_b64 s[6:7], -1
	s_cbranch_scc1 .LBB46_514
; %bb.509:
	s_cmp_gt_i32 s12, 6
	s_cbranch_scc0 .LBB46_511
; %bb.510:
	v_mov_b32_e32 v3, s8
	v_mov_b32_e32 v4, s9
	global_store_dwordx2 v[0:1], v[3:4], off
	s_mov_b64 s[6:7], 0
.LBB46_511:
	s_andn2_b64 vcc, exec, s[6:7]
	s_cbranch_vccnz .LBB46_513
; %bb.512:
	v_cvt_f32_f64_e32 v3, s[8:9]
	global_store_dword v[0:1], v3, off
.LBB46_513:
	s_mov_b64 s[6:7], 0
.LBB46_514:
	s_andn2_b64 vcc, exec, s[6:7]
	s_cbranch_vccnz .LBB46_516
; %bb.515:
	s_lshr_b32 s6, s9, 8
	s_and_b32 s13, s6, 0xffe
	s_and_b32 s6, s9, 0x1ff
	s_or_b32 s6, s6, s8
	s_cmp_lg_u32 s6, 0
	s_cselect_b64 s[6:7], -1, 0
	v_cndmask_b32_e64 v3, 0, 1, s[6:7]
	v_readfirstlane_b32 s6, v3
	s_or_b32 s6, s13, s6
	s_bfe_u32 s13, s9, 0xb0014
	s_sub_i32 s14, 0x3f1, s13
	v_med3_i32 v3, s14, 0, 13
	s_or_b32 s7, s6, 0x1000
	v_readfirstlane_b32 s14, v3
	s_lshr_b32 s15, s7, s14
	s_lshl_b32 s14, s15, s14
	s_cmp_lg_u32 s14, s7
	s_cselect_b32 s7, 1, 0
	s_addk_i32 s13, 0xfc10
	s_lshl_b32 s14, s13, 12
	s_or_b32 s7, s15, s7
	s_or_b32 s14, s6, s14
	s_cmp_lt_i32 s13, 1
	s_cselect_b32 s7, s7, s14
	s_and_b32 s14, s7, 7
	s_cmp_gt_i32 s14, 5
	s_cselect_b32 s15, 1, 0
	s_cmp_eq_u32 s14, 3
	s_cselect_b32 s14, 1, 0
	s_or_b32 s14, s14, s15
	s_lshr_b32 s7, s7, 2
	s_add_i32 s7, s7, s14
	s_cmp_lt_i32 s13, 31
	s_cselect_b32 s7, s7, 0x7c00
	s_cmp_lg_u32 s6, 0
	s_movk_i32 s6, 0x7e00
	s_cselect_b32 s6, s6, 0x7c00
	s_cmpk_eq_i32 s13, 0x40f
	s_cselect_b32 s6, s6, s7
	s_lshr_b32 s7, s9, 16
	s_and_b32 s7, s7, 0x8000
	s_or_b32 s6, s7, s6
	v_mov_b32_e32 v3, s6
	global_store_short v[0:1], v3, off
.LBB46_516:
	s_mov_b64 s[6:7], 0
.LBB46_517:
	s_andn2_b64 vcc, exec, s[6:7]
	s_cbranch_vccnz .LBB46_533
; %bb.518:
	s_cmp_lt_i32 s12, 2
	s_mov_b64 s[6:7], -1
	s_cbranch_scc1 .LBB46_528
; %bb.519:
	s_cmp_lt_i32 s12, 3
	s_cbranch_scc1 .LBB46_525
; %bb.520:
	s_cmp_gt_i32 s12, 3
	s_cbranch_scc0 .LBB46_522
; %bb.521:
	v_trunc_f64_e32 v[3:4], s[8:9]
	s_movk_i32 s6, 0xffe0
	v_ldexp_f64 v[5:6], v[3:4], s6
	s_mov_b32 s6, 0
	s_mov_b32 s7, 0xc1f00000
	v_floor_f64_e32 v[5:6], v[5:6]
	v_fma_f64 v[3:4], v[5:6], s[6:7], v[3:4]
	v_cvt_i32_f64_e32 v5, v[5:6]
	s_mov_b64 s[6:7], 0
	v_cvt_u32_f64_e32 v4, v[3:4]
	global_store_dwordx2 v[0:1], v[4:5], off
.LBB46_522:
	s_andn2_b64 vcc, exec, s[6:7]
	s_cbranch_vccnz .LBB46_524
; %bb.523:
	v_cvt_i32_f64_e32 v3, s[8:9]
	global_store_dword v[0:1], v3, off
.LBB46_524:
	s_mov_b64 s[6:7], 0
.LBB46_525:
	s_andn2_b64 vcc, exec, s[6:7]
	s_cbranch_vccnz .LBB46_527
; %bb.526:
	v_cvt_i32_f64_e32 v3, s[8:9]
	global_store_short v[0:1], v3, off
.LBB46_527:
	s_mov_b64 s[6:7], 0
.LBB46_528:
	s_andn2_b64 vcc, exec, s[6:7]
	s_cbranch_vccnz .LBB46_533
; %bb.529:
	s_cmp_gt_i32 s12, 0
	s_mov_b64 s[6:7], -1
	s_cbranch_scc0 .LBB46_531
; %bb.530:
	v_cvt_i32_f64_e32 v3, s[8:9]
	s_mov_b64 s[6:7], 0
	global_store_byte v[0:1], v3, off
.LBB46_531:
	s_andn2_b64 vcc, exec, s[6:7]
	s_cbranch_vccnz .LBB46_533
; %bb.532:
	v_trunc_f64_e32 v[3:4], s[8:9]
	s_movk_i32 s6, 0xffe0
	v_ldexp_f64 v[5:6], v[3:4], s6
	s_mov_b32 s6, 0
	s_mov_b32 s7, 0xc1f00000
	v_floor_f64_e32 v[5:6], v[5:6]
	v_fma_f64 v[3:4], v[5:6], s[6:7], v[3:4]
	v_cvt_u32_f64_e32 v3, v[3:4]
	global_store_byte v[0:1], v3, off
.LBB46_533:
.LBB46_534:
	s_lshl_b32 s19, s33, 7
	v_add_u32_e32 v2, s19, v2
	v_ashrrev_i32_e32 v1, 31, v2
	v_mov_b32_e32 v3, s11
	v_add_co_u32_e32 v0, vcc, s10, v2
	s_cmp_lt_i32 s18, 11
	v_addc_co_u32_e32 v1, vcc, v3, v1, vcc
	s_cbranch_scc1 .LBB46_562
; %bb.535:
	s_and_b32 s20, 0xffff, s18
	s_mov_b64 s[16:17], -1
	s_mov_b64 s[12:13], 0
	s_cmp_gt_i32 s20, 25
	s_mov_b64 s[14:15], 0
	s_mov_b64 s[6:7], 0
	s_cbranch_scc0 .LBB46_573
; %bb.536:
	s_cmp_gt_i32 s20, 28
	s_cbranch_scc0 .LBB46_551
; %bb.537:
	s_cmp_gt_i32 s20, 43
	s_cbranch_scc0 .LBB46_547
; %bb.538:
	s_cmp_gt_i32 s20, 45
	s_cbranch_scc0 .LBB46_541
; %bb.539:
	s_mov_b64 s[6:7], -1
	s_mov_b64 s[16:17], 0
	s_cmp_eq_u32 s20, 46
	s_cbranch_scc0 .LBB46_541
; %bb.540:
	v_cvt_f32_f64_e32 v3, s[8:9]
	v_mov_b32_e32 v4, 0x7fc0
	s_mov_b64 s[6:7], 0
	s_mov_b64 s[14:15], -1
	v_bfe_u32 v5, v3, 16, 1
	v_cmp_o_f32_e32 vcc, v3, v3
	v_add_u32_e32 v3, v3, v5
	v_add_u32_e32 v3, 0x7fff, v3
	v_cndmask_b32_sdwa v3, v4, v3, vcc dst_sel:DWORD dst_unused:UNUSED_PAD src0_sel:DWORD src1_sel:WORD_1
	global_store_dword v[0:1], v3, off
.LBB46_541:
	s_and_b64 vcc, exec, s[16:17]
	s_cbranch_vccz .LBB46_546
; %bb.542:
	s_cmp_eq_u32 s20, 44
	s_mov_b64 s[6:7], -1
	s_cbranch_scc0 .LBB46_546
; %bb.543:
	v_cvt_f32_f64_e32 v3, s[8:9]
	v_mov_b32_e32 v4, 0xff
	v_readfirstlane_b32 s6, v3
	s_bfe_u32 s7, s6, 0x80017
	s_cmpk_eq_i32 s7, 0xff
	s_cbranch_scc1 .LBB46_545
; %bb.544:
	s_bitcmp1_b32 s6, 22
	s_cselect_b64 s[14:15], -1, 0
	s_and_b32 s6, s6, 0x3fffff
	s_or_b32 s6, s7, s6
	s_cmp_lg_u32 s6, 0
	s_cselect_b64 s[6:7], -1, 0
	s_and_b64 s[6:7], s[14:15], s[6:7]
	v_lshrrev_b32_e32 v3, 23, v3
	v_cndmask_b32_e64 v4, 0, 1, s[6:7]
	v_add_u32_e32 v4, v3, v4
.LBB46_545:
	s_mov_b64 s[6:7], 0
	s_mov_b64 s[14:15], -1
	global_store_byte v[0:1], v4, off
.LBB46_546:
	s_mov_b64 s[16:17], 0
.LBB46_547:
	s_and_b64 vcc, exec, s[16:17]
	s_cbranch_vccz .LBB46_550
; %bb.548:
	s_cmp_eq_u32 s20, 29
	s_mov_b64 s[6:7], -1
	s_cbranch_scc0 .LBB46_550
; %bb.549:
	v_trunc_f64_e32 v[3:4], s[8:9]
	s_movk_i32 s6, 0xffe0
	s_mov_b64 s[14:15], -1
	v_ldexp_f64 v[5:6], v[3:4], s6
	s_mov_b32 s6, 0
	s_mov_b32 s7, 0xc1f00000
	v_floor_f64_e32 v[5:6], v[5:6]
	v_fma_f64 v[3:4], v[5:6], s[6:7], v[3:4]
	v_cvt_u32_f64_e32 v5, v[5:6]
	s_mov_b64 s[6:7], 0
	v_cvt_u32_f64_e32 v4, v[3:4]
	global_store_dwordx2 v[0:1], v[4:5], off
.LBB46_550:
	s_mov_b64 s[16:17], 0
.LBB46_551:
	s_and_b64 vcc, exec, s[16:17]
	s_cbranch_vccz .LBB46_572
; %bb.552:
	s_cmp_lt_i32 s20, 27
	s_mov_b64 s[14:15], -1
	s_cbranch_scc1 .LBB46_558
; %bb.553:
	s_cmp_gt_i32 s20, 27
	s_cbranch_scc0 .LBB46_555
; %bb.554:
	v_cvt_u32_f64_e32 v3, s[8:9]
	s_mov_b64 s[14:15], 0
	global_store_dword v[0:1], v3, off
.LBB46_555:
	s_andn2_b64 vcc, exec, s[14:15]
	s_cbranch_vccnz .LBB46_557
; %bb.556:
	v_cvt_u32_f64_e32 v3, s[8:9]
	global_store_short v[0:1], v3, off
.LBB46_557:
	s_mov_b64 s[14:15], 0
.LBB46_558:
	s_andn2_b64 vcc, exec, s[14:15]
	s_cbranch_vccnz .LBB46_571
; %bb.559:
	v_cvt_f32_f64_e32 v3, s[8:9]
	v_mov_b32_e32 v4, 0x80
	v_readfirstlane_b32 s21, v3
	s_and_b32 s14, s21, 0x7fffffff
	s_cmp_gt_u32 s14, 0x437fffff
	s_cbranch_scc1 .LBB46_570
; %bb.560:
	s_cmp_gt_u32 s14, 0x3bffffff
	s_cbranch_scc0 .LBB46_565
; %bb.561:
	s_bfe_u32 s14, s21, 0x10014
	s_add_i32 s14, s21, s14
	s_add_i32 s14, s14, 0x487ffff
	s_lshr_b32 s22, s14, 20
	s_mov_b64 s[16:17], 0
	s_mov_b64 s[14:15], -1
	s_branch .LBB46_566
.LBB46_562:
	s_mov_b64 s[14:15], 0
	s_cbranch_execnz .LBB46_623
.LBB46_563:
	s_andn2_b64 vcc, exec, s[14:15]
	s_cbranch_vccz .LBB46_661
	s_branch .LBB46_832
.LBB46_564:
	s_or_b64 s[4:5], s[0:1], exec
	s_trap 2
	s_cbranch_execz .LBB46_494
	s_branch .LBB46_495
.LBB46_565:
	s_mov_b64 s[16:17], -1
	s_mov_b64 s[14:15], 0
                                        ; implicit-def: $sgpr22
.LBB46_566:
	s_andn2_b64 vcc, exec, s[16:17]
	v_mov_b32_e32 v3, s22
	s_cbranch_vccnz .LBB46_568
; %bb.567:
	v_mov_b32_e32 v3, 0x46000000
	v_add_f32_e64 v3, |s21|, v3
	v_and_b32_e32 v3, 0xff, v3
	v_cmp_ne_u32_e64 s[14:15], 0, v3
.LBB46_568:
	s_andn2_b64 vcc, exec, s[14:15]
	v_mov_b32_e32 v4, 0
	s_cbranch_vccnz .LBB46_570
; %bb.569:
	s_lshr_b32 s14, s21, 24
	s_and_b32 s14, s14, 0x80
	v_or_b32_e32 v4, s14, v3
.LBB46_570:
	global_store_byte v[0:1], v4, off
.LBB46_571:
	s_mov_b64 s[14:15], -1
.LBB46_572:
	s_mov_b64 s[16:17], 0
.LBB46_573:
	s_and_b64 vcc, exec, s[16:17]
	s_cbranch_vccz .LBB46_619
; %bb.574:
	s_cmp_gt_i32 s20, 22
	s_mov_b64 s[12:13], -1
	s_cbranch_scc0 .LBB46_612
; %bb.575:
	s_cmp_lt_i32 s20, 24
	s_cbranch_scc1 .LBB46_599
; %bb.576:
	s_cmp_gt_i32 s20, 24
	s_cbranch_scc0 .LBB46_586
; %bb.577:
	v_cvt_f32_f64_e32 v3, s[8:9]
	v_mov_b32_e32 v4, 0x80
	v_readfirstlane_b32 s16, v3
	s_and_b32 s12, s16, 0x7fffffff
	s_cmp_gt_u32 s12, 0x477fffff
	s_cbranch_scc1 .LBB46_585
; %bb.578:
	s_cmp_gt_u32 s12, 0x37ffffff
	s_cbranch_scc0 .LBB46_580
; %bb.579:
	s_bfe_u32 s12, s16, 0x10015
	s_add_i32 s12, s16, s12
	s_add_i32 s12, s12, 0x88fffff
	s_lshr_b32 s17, s12, 21
	s_mov_b64 s[14:15], 0
	s_mov_b64 s[12:13], -1
	s_branch .LBB46_581
.LBB46_580:
	s_mov_b64 s[14:15], -1
	s_mov_b64 s[12:13], 0
                                        ; implicit-def: $sgpr17
.LBB46_581:
	s_andn2_b64 vcc, exec, s[14:15]
	v_mov_b32_e32 v3, s17
	s_cbranch_vccnz .LBB46_583
; %bb.582:
	v_mov_b32_e32 v3, 0x42800000
	v_add_f32_e64 v3, |s16|, v3
	v_and_b32_e32 v3, 0xff, v3
	v_cmp_ne_u32_e64 s[12:13], 0, v3
.LBB46_583:
	s_andn2_b64 vcc, exec, s[12:13]
	v_mov_b32_e32 v4, 0
	s_cbranch_vccnz .LBB46_585
; %bb.584:
	s_lshr_b32 s12, s16, 24
	s_and_b32 s12, s12, 0x80
	v_or_b32_e32 v4, s12, v3
.LBB46_585:
	s_mov_b64 s[12:13], 0
	global_store_byte v[0:1], v4, off
.LBB46_586:
	s_and_b64 vcc, exec, s[12:13]
	s_cbranch_vccz .LBB46_598
; %bb.587:
	v_cvt_f32_f64_e32 v3, s[8:9]
	v_readfirstlane_b32 s14, v3
	s_and_b32 s15, s14, 0x7fffffff
	s_cmp_lt_u32 s15, 0x43f00000
	s_cbranch_scc0 .LBB46_590
; %bb.588:
	s_cmp_gt_u32 s15, 0x3c7fffff
	s_cbranch_scc0 .LBB46_591
; %bb.589:
	s_bfe_u32 s12, s14, 0x10014
	s_add_i32 s12, s14, s12
	s_add_i32 s12, s12, 0x407ffff
	s_lshr_b32 s13, s12, 20
	s_and_b32 s12, s12, 0xff00000
	s_cmp_lg_u32 s12, 0x7f00000
	s_cselect_b32 s16, s13, 0x7e
	s_mov_b64 s[12:13], 0
	s_branch .LBB46_592
.LBB46_590:
	s_mov_b64 s[12:13], -1
                                        ; implicit-def: $vgpr4
	s_branch .LBB46_595
.LBB46_591:
	s_mov_b64 s[12:13], -1
                                        ; implicit-def: $sgpr16
.LBB46_592:
	s_andn2_b64 vcc, exec, s[12:13]
	v_mov_b32_e32 v4, s16
	s_cbranch_vccnz .LBB46_594
; %bb.593:
	s_mov_b32 s12, 0x46800000
	v_add_f32_e64 v4, |v3|, s12
.LBB46_594:
	s_mov_b64 s[12:13], 0
.LBB46_595:
	s_andn2_b64 vcc, exec, s[12:13]
	s_cbranch_vccnz .LBB46_597
; %bb.596:
	s_cmp_gt_u32 s15, 0x7f800000
	s_movk_i32 s12, 0x7f
	s_cselect_b32 s12, s12, 0x7e
	v_mov_b32_e32 v4, s12
.LBB46_597:
	s_lshr_b32 s12, s14, 24
	s_and_b32 s12, s12, 0x80
	v_or_b32_e32 v3, s12, v4
	global_store_byte v[0:1], v3, off
.LBB46_598:
	s_mov_b64 s[12:13], 0
.LBB46_599:
	s_andn2_b64 vcc, exec, s[12:13]
	s_cbranch_vccnz .LBB46_611
; %bb.600:
	v_cvt_f32_f64_e32 v3, s[8:9]
	v_readfirstlane_b32 s14, v3
	s_and_b32 s15, s14, 0x7fffffff
	s_cmp_lt_u32 s15, 0x47800000
	s_cbranch_scc0 .LBB46_603
; %bb.601:
	s_cmp_gt_u32 s15, 0x387fffff
	s_cbranch_scc0 .LBB46_604
; %bb.602:
	s_bfe_u32 s12, s14, 0x10015
	s_add_i32 s12, s14, s12
	s_add_i32 s12, s12, 0x80fffff
	s_lshr_b32 s16, s12, 21
	s_mov_b64 s[12:13], 0
	s_branch .LBB46_605
.LBB46_603:
	s_mov_b64 s[12:13], -1
                                        ; implicit-def: $vgpr4
	s_branch .LBB46_608
.LBB46_604:
	s_mov_b64 s[12:13], -1
                                        ; implicit-def: $sgpr16
.LBB46_605:
	s_andn2_b64 vcc, exec, s[12:13]
	v_mov_b32_e32 v4, s16
	s_cbranch_vccnz .LBB46_607
; %bb.606:
	s_mov_b32 s12, 0x43000000
	v_add_f32_e64 v4, |v3|, s12
.LBB46_607:
	s_mov_b64 s[12:13], 0
.LBB46_608:
	s_andn2_b64 vcc, exec, s[12:13]
	s_cbranch_vccnz .LBB46_610
; %bb.609:
	s_cmp_gt_u32 s15, 0x7f800000
	s_movk_i32 s12, 0x7f
	s_cselect_b32 s12, s12, 0x7c
	v_mov_b32_e32 v4, s12
.LBB46_610:
	s_lshr_b32 s12, s14, 24
	s_and_b32 s12, s12, 0x80
	v_or_b32_e32 v3, s12, v4
	global_store_byte v[0:1], v3, off
.LBB46_611:
	s_mov_b64 s[12:13], 0
	s_mov_b64 s[14:15], -1
.LBB46_612:
	s_andn2_b64 vcc, exec, s[12:13]
	s_mov_b64 s[12:13], 0
	s_cbranch_vccnz .LBB46_619
; %bb.613:
	s_cmp_gt_i32 s20, 14
	s_mov_b64 s[16:17], -1
	s_cbranch_scc0 .LBB46_617
; %bb.614:
	s_cmp_eq_u32 s20, 15
	s_mov_b64 s[6:7], -1
	s_cbranch_scc0 .LBB46_616
; %bb.615:
	v_cvt_f32_f64_e32 v3, s[8:9]
	v_mov_b32_e32 v4, 0x7fc0
	s_mov_b64 s[6:7], 0
	s_mov_b64 s[14:15], -1
	v_bfe_u32 v5, v3, 16, 1
	v_cmp_o_f32_e32 vcc, v3, v3
	v_add_u32_e32 v3, v3, v5
	v_add_u32_e32 v3, 0x7fff, v3
	v_cndmask_b32_sdwa v3, v4, v3, vcc dst_sel:DWORD dst_unused:UNUSED_PAD src0_sel:DWORD src1_sel:WORD_1
	global_store_short v[0:1], v3, off
.LBB46_616:
	s_mov_b64 s[16:17], 0
.LBB46_617:
	s_and_b64 vcc, exec, s[16:17]
	s_cbranch_vccz .LBB46_619
; %bb.618:
	s_cmp_lg_u32 s20, 11
	s_mov_b64 s[12:13], -1
	s_cselect_b64 s[6:7], -1, 0
.LBB46_619:
	s_and_b64 vcc, exec, s[6:7]
	s_cbranch_vccnz .LBB46_721
; %bb.620:
	s_andn2_b64 vcc, exec, s[12:13]
	s_cbranch_vccnz .LBB46_622
.LBB46_621:
	v_cmp_neq_f64_e64 s[6:7], s[8:9], 0
	s_mov_b64 s[14:15], -1
	v_cndmask_b32_e64 v3, 0, 1, s[6:7]
	global_store_byte v[0:1], v3, off
.LBB46_622:
	s_branch .LBB46_563
.LBB46_623:
	s_and_b32 s12, 0xffff, s18
	s_cmp_lt_i32 s12, 5
	s_mov_b64 s[6:7], -1
	s_cbranch_scc1 .LBB46_644
; %bb.624:
	s_cmp_lt_i32 s12, 8
	s_cbranch_scc1 .LBB46_634
; %bb.625:
	s_cmp_lt_i32 s12, 9
	s_cbranch_scc1 .LBB46_631
; %bb.626:
	s_cmp_gt_i32 s12, 9
	s_cbranch_scc0 .LBB46_628
; %bb.627:
	v_mov_b32_e32 v5, 0
	v_mov_b32_e32 v3, s8
	;; [unrolled: 1-line block ×4, first 2 shown]
	global_store_dwordx4 v[0:1], v[3:6], off
	s_mov_b64 s[6:7], 0
.LBB46_628:
	s_andn2_b64 vcc, exec, s[6:7]
	s_cbranch_vccnz .LBB46_630
; %bb.629:
	v_cvt_f32_f64_e32 v3, s[8:9]
	v_mov_b32_e32 v4, 0
	global_store_dwordx2 v[0:1], v[3:4], off
.LBB46_630:
	s_mov_b64 s[6:7], 0
.LBB46_631:
	s_andn2_b64 vcc, exec, s[6:7]
	s_cbranch_vccnz .LBB46_633
; %bb.632:
	s_lshr_b32 s6, s9, 8
	s_and_b32 s13, s6, 0xffe
	s_and_b32 s6, s9, 0x1ff
	s_or_b32 s6, s6, s8
	s_cmp_lg_u32 s6, 0
	s_cselect_b64 s[6:7], -1, 0
	v_cndmask_b32_e64 v3, 0, 1, s[6:7]
	v_readfirstlane_b32 s6, v3
	s_or_b32 s6, s13, s6
	s_bfe_u32 s13, s9, 0xb0014
	s_sub_i32 s14, 0x3f1, s13
	v_med3_i32 v3, s14, 0, 13
	s_or_b32 s7, s6, 0x1000
	v_readfirstlane_b32 s14, v3
	s_lshr_b32 s15, s7, s14
	s_lshl_b32 s14, s15, s14
	s_cmp_lg_u32 s14, s7
	s_cselect_b32 s7, 1, 0
	s_addk_i32 s13, 0xfc10
	s_lshl_b32 s14, s13, 12
	s_or_b32 s7, s15, s7
	s_or_b32 s14, s6, s14
	s_cmp_lt_i32 s13, 1
	s_cselect_b32 s7, s7, s14
	s_and_b32 s14, s7, 7
	s_cmp_gt_i32 s14, 5
	s_cselect_b32 s15, 1, 0
	s_cmp_eq_u32 s14, 3
	s_cselect_b32 s14, 1, 0
	s_or_b32 s14, s14, s15
	s_lshr_b32 s7, s7, 2
	s_add_i32 s7, s7, s14
	s_cmp_lt_i32 s13, 31
	s_cselect_b32 s7, s7, 0x7c00
	s_cmp_lg_u32 s6, 0
	s_movk_i32 s6, 0x7e00
	s_cselect_b32 s6, s6, 0x7c00
	s_cmpk_eq_i32 s13, 0x40f
	s_cselect_b32 s6, s6, s7
	s_lshr_b32 s7, s9, 16
	s_and_b32 s7, s7, 0x8000
	s_or_b32 s6, s7, s6
	s_and_b32 s6, s6, 0xffff
	v_mov_b32_e32 v3, s6
	global_store_dword v[0:1], v3, off
.LBB46_633:
	s_mov_b64 s[6:7], 0
.LBB46_634:
	s_andn2_b64 vcc, exec, s[6:7]
	s_cbranch_vccnz .LBB46_643
; %bb.635:
	s_cmp_lt_i32 s12, 6
	s_mov_b64 s[6:7], -1
	s_cbranch_scc1 .LBB46_641
; %bb.636:
	s_cmp_gt_i32 s12, 6
	s_cbranch_scc0 .LBB46_638
; %bb.637:
	v_mov_b32_e32 v3, s8
	v_mov_b32_e32 v4, s9
	global_store_dwordx2 v[0:1], v[3:4], off
	s_mov_b64 s[6:7], 0
.LBB46_638:
	s_andn2_b64 vcc, exec, s[6:7]
	s_cbranch_vccnz .LBB46_640
; %bb.639:
	v_cvt_f32_f64_e32 v3, s[8:9]
	global_store_dword v[0:1], v3, off
.LBB46_640:
	s_mov_b64 s[6:7], 0
.LBB46_641:
	s_andn2_b64 vcc, exec, s[6:7]
	s_cbranch_vccnz .LBB46_643
; %bb.642:
	s_lshr_b32 s6, s9, 8
	s_and_b32 s13, s6, 0xffe
	s_and_b32 s6, s9, 0x1ff
	s_or_b32 s6, s6, s8
	s_cmp_lg_u32 s6, 0
	s_cselect_b64 s[6:7], -1, 0
	v_cndmask_b32_e64 v3, 0, 1, s[6:7]
	v_readfirstlane_b32 s6, v3
	s_or_b32 s6, s13, s6
	s_bfe_u32 s13, s9, 0xb0014
	s_sub_i32 s14, 0x3f1, s13
	v_med3_i32 v3, s14, 0, 13
	s_or_b32 s7, s6, 0x1000
	v_readfirstlane_b32 s14, v3
	s_lshr_b32 s15, s7, s14
	s_lshl_b32 s14, s15, s14
	s_cmp_lg_u32 s14, s7
	s_cselect_b32 s7, 1, 0
	s_addk_i32 s13, 0xfc10
	s_lshl_b32 s14, s13, 12
	s_or_b32 s7, s15, s7
	s_or_b32 s14, s6, s14
	s_cmp_lt_i32 s13, 1
	s_cselect_b32 s7, s7, s14
	s_and_b32 s14, s7, 7
	s_cmp_gt_i32 s14, 5
	s_cselect_b32 s15, 1, 0
	s_cmp_eq_u32 s14, 3
	s_cselect_b32 s14, 1, 0
	s_or_b32 s14, s14, s15
	s_lshr_b32 s7, s7, 2
	s_add_i32 s7, s7, s14
	s_cmp_lt_i32 s13, 31
	s_cselect_b32 s7, s7, 0x7c00
	s_cmp_lg_u32 s6, 0
	s_movk_i32 s6, 0x7e00
	s_cselect_b32 s6, s6, 0x7c00
	s_cmpk_eq_i32 s13, 0x40f
	s_cselect_b32 s6, s6, s7
	s_lshr_b32 s7, s9, 16
	s_and_b32 s7, s7, 0x8000
	s_or_b32 s6, s7, s6
	v_mov_b32_e32 v3, s6
	global_store_short v[0:1], v3, off
.LBB46_643:
	s_mov_b64 s[6:7], 0
.LBB46_644:
	s_andn2_b64 vcc, exec, s[6:7]
	s_cbranch_vccnz .LBB46_660
; %bb.645:
	s_cmp_lt_i32 s12, 2
	s_mov_b64 s[6:7], -1
	s_cbranch_scc1 .LBB46_655
; %bb.646:
	s_cmp_lt_i32 s12, 3
	s_cbranch_scc1 .LBB46_652
; %bb.647:
	s_cmp_gt_i32 s12, 3
	s_cbranch_scc0 .LBB46_649
; %bb.648:
	v_trunc_f64_e32 v[3:4], s[8:9]
	s_movk_i32 s6, 0xffe0
	v_ldexp_f64 v[5:6], v[3:4], s6
	s_mov_b32 s6, 0
	s_mov_b32 s7, 0xc1f00000
	v_floor_f64_e32 v[5:6], v[5:6]
	v_fma_f64 v[3:4], v[5:6], s[6:7], v[3:4]
	v_cvt_i32_f64_e32 v5, v[5:6]
	s_mov_b64 s[6:7], 0
	v_cvt_u32_f64_e32 v4, v[3:4]
	global_store_dwordx2 v[0:1], v[4:5], off
.LBB46_649:
	s_andn2_b64 vcc, exec, s[6:7]
	s_cbranch_vccnz .LBB46_651
; %bb.650:
	v_cvt_i32_f64_e32 v3, s[8:9]
	global_store_dword v[0:1], v3, off
.LBB46_651:
	s_mov_b64 s[6:7], 0
.LBB46_652:
	s_andn2_b64 vcc, exec, s[6:7]
	s_cbranch_vccnz .LBB46_654
; %bb.653:
	v_cvt_i32_f64_e32 v3, s[8:9]
	global_store_short v[0:1], v3, off
.LBB46_654:
	s_mov_b64 s[6:7], 0
.LBB46_655:
	s_andn2_b64 vcc, exec, s[6:7]
	s_cbranch_vccnz .LBB46_660
; %bb.656:
	s_cmp_gt_i32 s12, 0
	s_mov_b64 s[6:7], -1
	s_cbranch_scc0 .LBB46_658
; %bb.657:
	v_cvt_i32_f64_e32 v3, s[8:9]
	s_mov_b64 s[6:7], 0
	global_store_byte v[0:1], v3, off
.LBB46_658:
	s_andn2_b64 vcc, exec, s[6:7]
	s_cbranch_vccnz .LBB46_660
; %bb.659:
	v_trunc_f64_e32 v[3:4], s[8:9]
	s_movk_i32 s6, 0xffe0
	v_ldexp_f64 v[5:6], v[3:4], s6
	s_mov_b32 s6, 0
	s_mov_b32 s7, 0xc1f00000
	v_floor_f64_e32 v[5:6], v[5:6]
	v_fma_f64 v[3:4], v[5:6], s[6:7], v[3:4]
	v_cvt_u32_f64_e32 v3, v[3:4]
	global_store_byte v[0:1], v3, off
.LBB46_660:
.LBB46_661:
	v_add_u32_e32 v2, s19, v2
	v_ashrrev_i32_e32 v1, 31, v2
	v_mov_b32_e32 v3, s11
	v_add_co_u32_e32 v0, vcc, s10, v2
	s_cmp_lt_i32 s18, 11
	v_addc_co_u32_e32 v1, vcc, v3, v1, vcc
	s_cbranch_scc1 .LBB46_689
; %bb.662:
	s_and_b32 s20, 0xffff, s18
	s_mov_b64 s[16:17], -1
	s_mov_b64 s[12:13], 0
	s_cmp_gt_i32 s20, 25
	s_mov_b64 s[14:15], 0
	s_mov_b64 s[6:7], 0
	s_cbranch_scc0 .LBB46_730
; %bb.663:
	s_cmp_gt_i32 s20, 28
	s_cbranch_scc0 .LBB46_678
; %bb.664:
	s_cmp_gt_i32 s20, 43
	;; [unrolled: 3-line block ×3, first 2 shown]
	s_cbranch_scc0 .LBB46_668
; %bb.666:
	s_mov_b64 s[6:7], -1
	s_mov_b64 s[16:17], 0
	s_cmp_eq_u32 s20, 46
	s_cbranch_scc0 .LBB46_668
; %bb.667:
	v_cvt_f32_f64_e32 v3, s[8:9]
	v_mov_b32_e32 v4, 0x7fc0
	s_mov_b64 s[6:7], 0
	s_mov_b64 s[14:15], -1
	v_bfe_u32 v5, v3, 16, 1
	v_cmp_o_f32_e32 vcc, v3, v3
	v_add_u32_e32 v3, v3, v5
	v_add_u32_e32 v3, 0x7fff, v3
	v_cndmask_b32_sdwa v3, v4, v3, vcc dst_sel:DWORD dst_unused:UNUSED_PAD src0_sel:DWORD src1_sel:WORD_1
	global_store_dword v[0:1], v3, off
.LBB46_668:
	s_and_b64 vcc, exec, s[16:17]
	s_cbranch_vccz .LBB46_673
; %bb.669:
	s_cmp_eq_u32 s20, 44
	s_mov_b64 s[6:7], -1
	s_cbranch_scc0 .LBB46_673
; %bb.670:
	v_cvt_f32_f64_e32 v3, s[8:9]
	v_mov_b32_e32 v4, 0xff
	v_readfirstlane_b32 s6, v3
	s_bfe_u32 s7, s6, 0x80017
	s_cmpk_eq_i32 s7, 0xff
	s_cbranch_scc1 .LBB46_672
; %bb.671:
	s_bitcmp1_b32 s6, 22
	s_cselect_b64 s[14:15], -1, 0
	s_and_b32 s6, s6, 0x3fffff
	s_or_b32 s6, s7, s6
	s_cmp_lg_u32 s6, 0
	s_cselect_b64 s[6:7], -1, 0
	s_and_b64 s[6:7], s[14:15], s[6:7]
	v_lshrrev_b32_e32 v3, 23, v3
	v_cndmask_b32_e64 v4, 0, 1, s[6:7]
	v_add_u32_e32 v4, v3, v4
.LBB46_672:
	s_mov_b64 s[6:7], 0
	s_mov_b64 s[14:15], -1
	global_store_byte v[0:1], v4, off
.LBB46_673:
	s_mov_b64 s[16:17], 0
.LBB46_674:
	s_and_b64 vcc, exec, s[16:17]
	s_cbranch_vccz .LBB46_677
; %bb.675:
	s_cmp_eq_u32 s20, 29
	s_mov_b64 s[6:7], -1
	s_cbranch_scc0 .LBB46_677
; %bb.676:
	v_trunc_f64_e32 v[3:4], s[8:9]
	s_movk_i32 s6, 0xffe0
	s_mov_b64 s[14:15], -1
	v_ldexp_f64 v[5:6], v[3:4], s6
	s_mov_b32 s6, 0
	s_mov_b32 s7, 0xc1f00000
	v_floor_f64_e32 v[5:6], v[5:6]
	v_fma_f64 v[3:4], v[5:6], s[6:7], v[3:4]
	v_cvt_u32_f64_e32 v5, v[5:6]
	s_mov_b64 s[6:7], 0
	v_cvt_u32_f64_e32 v4, v[3:4]
	global_store_dwordx2 v[0:1], v[4:5], off
.LBB46_677:
	s_mov_b64 s[16:17], 0
.LBB46_678:
	s_and_b64 vcc, exec, s[16:17]
	s_cbranch_vccz .LBB46_729
; %bb.679:
	s_cmp_lt_i32 s20, 27
	s_mov_b64 s[14:15], -1
	s_cbranch_scc1 .LBB46_685
; %bb.680:
	s_cmp_gt_i32 s20, 27
	s_cbranch_scc0 .LBB46_682
; %bb.681:
	v_cvt_u32_f64_e32 v3, s[8:9]
	s_mov_b64 s[14:15], 0
	global_store_dword v[0:1], v3, off
.LBB46_682:
	s_andn2_b64 vcc, exec, s[14:15]
	s_cbranch_vccnz .LBB46_684
; %bb.683:
	v_cvt_u32_f64_e32 v3, s[8:9]
	global_store_short v[0:1], v3, off
.LBB46_684:
	s_mov_b64 s[14:15], 0
.LBB46_685:
	s_andn2_b64 vcc, exec, s[14:15]
	s_cbranch_vccnz .LBB46_728
; %bb.686:
	v_cvt_f32_f64_e32 v3, s[8:9]
	v_mov_b32_e32 v4, 0x80
	v_readfirstlane_b32 s21, v3
	s_and_b32 s14, s21, 0x7fffffff
	s_cmp_gt_u32 s14, 0x437fffff
	s_cbranch_scc1 .LBB46_727
; %bb.687:
	s_cmp_gt_u32 s14, 0x3bffffff
	s_cbranch_scc0 .LBB46_722
; %bb.688:
	s_bfe_u32 s14, s21, 0x10014
	s_add_i32 s14, s21, s14
	s_add_i32 s14, s14, 0x487ffff
	s_lshr_b32 s22, s14, 20
	s_mov_b64 s[16:17], 0
	s_mov_b64 s[14:15], -1
	s_branch .LBB46_723
.LBB46_689:
	s_mov_b64 s[14:15], 0
	s_cbranch_execnz .LBB46_794
.LBB46_690:
	s_andn2_b64 vcc, exec, s[14:15]
	s_cbranch_vccnz .LBB46_832
.LBB46_691:
	v_add_u32_e32 v0, s19, v2
	v_ashrrev_i32_e32 v1, 31, v0
	v_mov_b32_e32 v2, s11
	v_add_co_u32_e32 v0, vcc, s10, v0
	s_cmp_lt_i32 s18, 11
	v_addc_co_u32_e32 v1, vcc, v2, v1, vcc
	s_cbranch_scc1 .LBB46_720
; %bb.692:
	s_and_b32 s16, 0xffff, s18
	s_mov_b64 s[12:13], -1
	s_mov_b64 s[10:11], 0
	s_cmp_gt_i32 s16, 25
	s_mov_b64 s[6:7], 0
	s_cbranch_scc0 .LBB46_744
; %bb.693:
	s_cmp_gt_i32 s16, 28
	s_cbranch_scc0 .LBB46_709
; %bb.694:
	s_cmp_gt_i32 s16, 43
	s_cbranch_scc0 .LBB46_705
; %bb.695:
	s_cmp_gt_i32 s16, 45
	s_cbranch_scc0 .LBB46_699
; %bb.696:
	s_cmp_eq_u32 s16, 46
	s_mov_b64 s[6:7], -1
	s_cbranch_scc0 .LBB46_698
; %bb.697:
	v_cvt_f32_f64_e32 v2, s[8:9]
	v_mov_b32_e32 v3, 0x7fc0
	s_mov_b64 s[6:7], 0
	v_bfe_u32 v4, v2, 16, 1
	v_cmp_o_f32_e32 vcc, v2, v2
	v_add_u32_e32 v2, v2, v4
	v_add_u32_e32 v2, 0x7fff, v2
	v_cndmask_b32_sdwa v2, v3, v2, vcc dst_sel:DWORD dst_unused:UNUSED_PAD src0_sel:DWORD src1_sel:WORD_1
	global_store_dword v[0:1], v2, off
.LBB46_698:
	s_mov_b64 s[12:13], 0
.LBB46_699:
	s_and_b64 vcc, exec, s[12:13]
	s_cbranch_vccz .LBB46_704
; %bb.700:
	s_cmp_eq_u32 s16, 44
	s_mov_b64 s[6:7], -1
	s_cbranch_scc0 .LBB46_704
; %bb.701:
	v_cvt_f32_f64_e32 v2, s[8:9]
	v_mov_b32_e32 v3, 0xff
	v_readfirstlane_b32 s6, v2
	s_bfe_u32 s7, s6, 0x80017
	s_cmpk_eq_i32 s7, 0xff
	s_cbranch_scc1 .LBB46_703
; %bb.702:
	s_bitcmp1_b32 s6, 22
	s_cselect_b64 s[12:13], -1, 0
	s_and_b32 s6, s6, 0x3fffff
	s_or_b32 s6, s7, s6
	s_cmp_lg_u32 s6, 0
	s_cselect_b64 s[6:7], -1, 0
	s_and_b64 s[6:7], s[12:13], s[6:7]
	v_lshrrev_b32_e32 v2, 23, v2
	v_cndmask_b32_e64 v3, 0, 1, s[6:7]
	v_add_u32_e32 v3, v2, v3
.LBB46_703:
	s_mov_b64 s[6:7], 0
	global_store_byte v[0:1], v3, off
.LBB46_704:
	s_mov_b64 s[12:13], 0
.LBB46_705:
	s_and_b64 vcc, exec, s[12:13]
	s_cbranch_vccz .LBB46_708
; %bb.706:
	s_cmp_eq_u32 s16, 29
	s_mov_b64 s[6:7], -1
	s_cbranch_scc0 .LBB46_708
; %bb.707:
	v_trunc_f64_e32 v[2:3], s[8:9]
	s_movk_i32 s6, 0xffe0
	v_ldexp_f64 v[4:5], v[2:3], s6
	s_mov_b32 s6, 0
	s_mov_b32 s7, 0xc1f00000
	v_floor_f64_e32 v[4:5], v[4:5]
	v_fma_f64 v[2:3], v[4:5], s[6:7], v[2:3]
	v_cvt_u32_f64_e32 v4, v[4:5]
	s_mov_b64 s[6:7], 0
	v_cvt_u32_f64_e32 v3, v[2:3]
	global_store_dwordx2 v[0:1], v[3:4], off
.LBB46_708:
	s_mov_b64 s[12:13], 0
.LBB46_709:
	s_and_b64 vcc, exec, s[12:13]
	s_cbranch_vccz .LBB46_743
; %bb.710:
	s_cmp_lt_i32 s16, 27
	s_mov_b64 s[12:13], -1
	s_cbranch_scc1 .LBB46_716
; %bb.711:
	v_cvt_u32_f64_e32 v2, s[8:9]
	s_cmp_gt_i32 s16, 27
	s_cbranch_scc0 .LBB46_713
; %bb.712:
	global_store_dword v[0:1], v2, off
	s_mov_b64 s[12:13], 0
.LBB46_713:
	s_andn2_b64 vcc, exec, s[12:13]
	s_cbranch_vccnz .LBB46_715
; %bb.714:
	global_store_short v[0:1], v2, off
.LBB46_715:
	s_mov_b64 s[12:13], 0
.LBB46_716:
	s_andn2_b64 vcc, exec, s[12:13]
	s_cbranch_vccnz .LBB46_743
; %bb.717:
	v_cvt_f32_f64_e32 v2, s[8:9]
	v_mov_b32_e32 v3, 0x80
	v_readfirstlane_b32 s17, v2
	s_and_b32 s12, s17, 0x7fffffff
	s_cmp_gt_u32 s12, 0x437fffff
	s_cbranch_scc1 .LBB46_742
; %bb.718:
	s_cmp_gt_u32 s12, 0x3bffffff
	s_cbranch_scc0 .LBB46_737
; %bb.719:
	s_bfe_u32 s12, s17, 0x10014
	s_add_i32 s12, s17, s12
	s_add_i32 s12, s12, 0x487ffff
	s_lshr_b32 s19, s12, 20
	s_mov_b64 s[14:15], 0
	s_mov_b64 s[12:13], -1
	s_branch .LBB46_738
.LBB46_720:
	s_mov_b64 s[10:11], 0
	s_mov_b64 s[6:7], -1
	s_branch .LBB46_833
.LBB46_721:
	s_trap 2
	s_or_b64 s[4:5], s[4:5], exec
	s_cbranch_execz .LBB46_621
	s_branch .LBB46_622
.LBB46_722:
	s_mov_b64 s[16:17], -1
	s_mov_b64 s[14:15], 0
                                        ; implicit-def: $sgpr22
.LBB46_723:
	s_andn2_b64 vcc, exec, s[16:17]
	v_mov_b32_e32 v3, s22
	s_cbranch_vccnz .LBB46_725
; %bb.724:
	v_mov_b32_e32 v3, 0x46000000
	v_add_f32_e64 v3, |s21|, v3
	v_and_b32_e32 v3, 0xff, v3
	v_cmp_ne_u32_e64 s[14:15], 0, v3
.LBB46_725:
	s_andn2_b64 vcc, exec, s[14:15]
	v_mov_b32_e32 v4, 0
	s_cbranch_vccnz .LBB46_727
; %bb.726:
	s_lshr_b32 s14, s21, 24
	s_and_b32 s14, s14, 0x80
	v_or_b32_e32 v4, s14, v3
.LBB46_727:
	global_store_byte v[0:1], v4, off
.LBB46_728:
	s_mov_b64 s[14:15], -1
.LBB46_729:
	s_mov_b64 s[16:17], 0
.LBB46_730:
	s_and_b64 vcc, exec, s[16:17]
	s_cbranch_vccz .LBB46_790
; %bb.731:
	s_cmp_gt_i32 s20, 22
	s_mov_b64 s[12:13], -1
	s_cbranch_scc0 .LBB46_783
; %bb.732:
	s_cmp_lt_i32 s20, 24
	s_cbranch_scc1 .LBB46_770
; %bb.733:
	s_cmp_gt_i32 s20, 24
	s_cbranch_scc0 .LBB46_757
; %bb.734:
	v_cvt_f32_f64_e32 v3, s[8:9]
	v_mov_b32_e32 v4, 0x80
	v_readfirstlane_b32 s16, v3
	s_and_b32 s12, s16, 0x7fffffff
	s_cmp_gt_u32 s12, 0x477fffff
	s_cbranch_scc1 .LBB46_756
; %bb.735:
	s_cmp_gt_u32 s12, 0x37ffffff
	s_cbranch_scc0 .LBB46_751
; %bb.736:
	s_bfe_u32 s12, s16, 0x10015
	s_add_i32 s12, s16, s12
	s_add_i32 s12, s12, 0x88fffff
	s_lshr_b32 s17, s12, 21
	s_mov_b64 s[14:15], 0
	s_mov_b64 s[12:13], -1
	s_branch .LBB46_752
.LBB46_737:
	s_mov_b64 s[14:15], -1
	s_mov_b64 s[12:13], 0
                                        ; implicit-def: $sgpr19
.LBB46_738:
	s_andn2_b64 vcc, exec, s[14:15]
	v_mov_b32_e32 v2, s19
	s_cbranch_vccnz .LBB46_740
; %bb.739:
	v_mov_b32_e32 v2, 0x46000000
	v_add_f32_e64 v2, |s17|, v2
	v_and_b32_e32 v2, 0xff, v2
	v_cmp_ne_u32_e64 s[12:13], 0, v2
.LBB46_740:
	s_andn2_b64 vcc, exec, s[12:13]
	v_mov_b32_e32 v3, 0
	s_cbranch_vccnz .LBB46_742
; %bb.741:
	s_lshr_b32 s12, s17, 24
	s_and_b32 s12, s12, 0x80
	v_or_b32_e32 v3, s12, v2
.LBB46_742:
	global_store_byte v[0:1], v3, off
.LBB46_743:
	s_mov_b64 s[12:13], 0
.LBB46_744:
	s_and_b64 vcc, exec, s[12:13]
	s_cbranch_vccz .LBB46_914
; %bb.745:
	s_cmp_gt_i32 s16, 22
	s_mov_b64 s[10:11], -1
	s_cbranch_scc0 .LBB46_907
; %bb.746:
	s_cmp_lt_i32 s16, 24
	s_cbranch_scc1 .LBB46_894
; %bb.747:
	s_cmp_gt_i32 s16, 24
	s_cbranch_scc0 .LBB46_881
; %bb.748:
	v_cvt_f32_f64_e32 v2, s[8:9]
	v_mov_b32_e32 v3, 0x80
	v_readfirstlane_b32 s14, v2
	s_and_b32 s10, s14, 0x7fffffff
	s_cmp_gt_u32 s10, 0x477fffff
	s_cbranch_scc1 .LBB46_880
; %bb.749:
	s_cmp_gt_u32 s10, 0x37ffffff
	s_cbranch_scc0 .LBB46_875
; %bb.750:
	s_bfe_u32 s10, s14, 0x10015
	s_add_i32 s10, s14, s10
	s_add_i32 s10, s10, 0x88fffff
	s_lshr_b32 s15, s10, 21
	s_mov_b64 s[12:13], 0
	s_mov_b64 s[10:11], -1
	s_branch .LBB46_876
.LBB46_751:
	s_mov_b64 s[14:15], -1
	s_mov_b64 s[12:13], 0
                                        ; implicit-def: $sgpr17
.LBB46_752:
	s_andn2_b64 vcc, exec, s[14:15]
	v_mov_b32_e32 v3, s17
	s_cbranch_vccnz .LBB46_754
; %bb.753:
	v_mov_b32_e32 v3, 0x42800000
	v_add_f32_e64 v3, |s16|, v3
	v_and_b32_e32 v3, 0xff, v3
	v_cmp_ne_u32_e64 s[12:13], 0, v3
.LBB46_754:
	s_andn2_b64 vcc, exec, s[12:13]
	v_mov_b32_e32 v4, 0
	s_cbranch_vccnz .LBB46_756
; %bb.755:
	s_lshr_b32 s12, s16, 24
	s_and_b32 s12, s12, 0x80
	v_or_b32_e32 v4, s12, v3
.LBB46_756:
	s_mov_b64 s[12:13], 0
	global_store_byte v[0:1], v4, off
.LBB46_757:
	s_and_b64 vcc, exec, s[12:13]
	s_cbranch_vccz .LBB46_769
; %bb.758:
	v_cvt_f32_f64_e32 v3, s[8:9]
	v_readfirstlane_b32 s14, v3
	s_and_b32 s15, s14, 0x7fffffff
	s_cmp_lt_u32 s15, 0x43f00000
	s_cbranch_scc0 .LBB46_761
; %bb.759:
	s_cmp_gt_u32 s15, 0x3c7fffff
	s_cbranch_scc0 .LBB46_762
; %bb.760:
	s_bfe_u32 s12, s14, 0x10014
	s_add_i32 s12, s14, s12
	s_add_i32 s12, s12, 0x407ffff
	s_lshr_b32 s13, s12, 20
	s_and_b32 s12, s12, 0xff00000
	s_cmp_lg_u32 s12, 0x7f00000
	s_cselect_b32 s16, s13, 0x7e
	s_mov_b64 s[12:13], 0
	s_branch .LBB46_763
.LBB46_761:
	s_mov_b64 s[12:13], -1
                                        ; implicit-def: $vgpr4
	s_branch .LBB46_766
.LBB46_762:
	s_mov_b64 s[12:13], -1
                                        ; implicit-def: $sgpr16
.LBB46_763:
	s_andn2_b64 vcc, exec, s[12:13]
	v_mov_b32_e32 v4, s16
	s_cbranch_vccnz .LBB46_765
; %bb.764:
	s_mov_b32 s12, 0x46800000
	v_add_f32_e64 v4, |v3|, s12
.LBB46_765:
	s_mov_b64 s[12:13], 0
.LBB46_766:
	s_andn2_b64 vcc, exec, s[12:13]
	s_cbranch_vccnz .LBB46_768
; %bb.767:
	s_cmp_gt_u32 s15, 0x7f800000
	s_movk_i32 s12, 0x7f
	s_cselect_b32 s12, s12, 0x7e
	v_mov_b32_e32 v4, s12
.LBB46_768:
	s_lshr_b32 s12, s14, 24
	s_and_b32 s12, s12, 0x80
	v_or_b32_e32 v3, s12, v4
	global_store_byte v[0:1], v3, off
.LBB46_769:
	s_mov_b64 s[12:13], 0
.LBB46_770:
	s_andn2_b64 vcc, exec, s[12:13]
	s_cbranch_vccnz .LBB46_782
; %bb.771:
	v_cvt_f32_f64_e32 v3, s[8:9]
	v_readfirstlane_b32 s14, v3
	s_and_b32 s15, s14, 0x7fffffff
	s_cmp_lt_u32 s15, 0x47800000
	s_cbranch_scc0 .LBB46_774
; %bb.772:
	s_cmp_gt_u32 s15, 0x387fffff
	s_cbranch_scc0 .LBB46_775
; %bb.773:
	s_bfe_u32 s12, s14, 0x10015
	s_add_i32 s12, s14, s12
	s_add_i32 s12, s12, 0x80fffff
	s_lshr_b32 s16, s12, 21
	s_mov_b64 s[12:13], 0
	s_branch .LBB46_776
.LBB46_774:
	s_mov_b64 s[12:13], -1
                                        ; implicit-def: $vgpr4
	s_branch .LBB46_779
.LBB46_775:
	s_mov_b64 s[12:13], -1
                                        ; implicit-def: $sgpr16
.LBB46_776:
	s_andn2_b64 vcc, exec, s[12:13]
	v_mov_b32_e32 v4, s16
	s_cbranch_vccnz .LBB46_778
; %bb.777:
	s_mov_b32 s12, 0x43000000
	v_add_f32_e64 v4, |v3|, s12
.LBB46_778:
	s_mov_b64 s[12:13], 0
.LBB46_779:
	s_andn2_b64 vcc, exec, s[12:13]
	s_cbranch_vccnz .LBB46_781
; %bb.780:
	s_cmp_gt_u32 s15, 0x7f800000
	s_movk_i32 s12, 0x7f
	s_cselect_b32 s12, s12, 0x7c
	v_mov_b32_e32 v4, s12
.LBB46_781:
	s_lshr_b32 s12, s14, 24
	s_and_b32 s12, s12, 0x80
	v_or_b32_e32 v3, s12, v4
	global_store_byte v[0:1], v3, off
.LBB46_782:
	s_mov_b64 s[12:13], 0
	s_mov_b64 s[14:15], -1
.LBB46_783:
	s_andn2_b64 vcc, exec, s[12:13]
	s_mov_b64 s[12:13], 0
	s_cbranch_vccnz .LBB46_790
; %bb.784:
	s_cmp_gt_i32 s20, 14
	s_mov_b64 s[16:17], -1
	s_cbranch_scc0 .LBB46_788
; %bb.785:
	s_cmp_eq_u32 s20, 15
	s_mov_b64 s[6:7], -1
	s_cbranch_scc0 .LBB46_787
; %bb.786:
	v_cvt_f32_f64_e32 v3, s[8:9]
	v_mov_b32_e32 v4, 0x7fc0
	s_mov_b64 s[6:7], 0
	s_mov_b64 s[14:15], -1
	v_bfe_u32 v5, v3, 16, 1
	v_cmp_o_f32_e32 vcc, v3, v3
	v_add_u32_e32 v3, v3, v5
	v_add_u32_e32 v3, 0x7fff, v3
	v_cndmask_b32_sdwa v3, v4, v3, vcc dst_sel:DWORD dst_unused:UNUSED_PAD src0_sel:DWORD src1_sel:WORD_1
	global_store_short v[0:1], v3, off
.LBB46_787:
	s_mov_b64 s[16:17], 0
.LBB46_788:
	s_and_b64 vcc, exec, s[16:17]
	s_cbranch_vccz .LBB46_790
; %bb.789:
	s_cmp_lg_u32 s20, 11
	s_mov_b64 s[12:13], -1
	s_cselect_b64 s[6:7], -1, 0
.LBB46_790:
	s_and_b64 vcc, exec, s[6:7]
	s_cbranch_vccnz .LBB46_874
; %bb.791:
	s_andn2_b64 vcc, exec, s[12:13]
	s_cbranch_vccnz .LBB46_793
.LBB46_792:
	v_cmp_neq_f64_e64 s[6:7], s[8:9], 0
	s_mov_b64 s[14:15], -1
	v_cndmask_b32_e64 v3, 0, 1, s[6:7]
	global_store_byte v[0:1], v3, off
.LBB46_793:
	s_branch .LBB46_690
.LBB46_794:
	s_and_b32 s12, 0xffff, s18
	s_cmp_lt_i32 s12, 5
	s_mov_b64 s[6:7], -1
	s_cbranch_scc1 .LBB46_815
; %bb.795:
	s_cmp_lt_i32 s12, 8
	s_cbranch_scc1 .LBB46_805
; %bb.796:
	s_cmp_lt_i32 s12, 9
	s_cbranch_scc1 .LBB46_802
; %bb.797:
	s_cmp_gt_i32 s12, 9
	s_cbranch_scc0 .LBB46_799
; %bb.798:
	v_mov_b32_e32 v5, 0
	v_mov_b32_e32 v3, s8
	;; [unrolled: 1-line block ×4, first 2 shown]
	global_store_dwordx4 v[0:1], v[3:6], off
	s_mov_b64 s[6:7], 0
.LBB46_799:
	s_andn2_b64 vcc, exec, s[6:7]
	s_cbranch_vccnz .LBB46_801
; %bb.800:
	v_cvt_f32_f64_e32 v3, s[8:9]
	v_mov_b32_e32 v4, 0
	global_store_dwordx2 v[0:1], v[3:4], off
.LBB46_801:
	s_mov_b64 s[6:7], 0
.LBB46_802:
	s_andn2_b64 vcc, exec, s[6:7]
	s_cbranch_vccnz .LBB46_804
; %bb.803:
	s_lshr_b32 s6, s9, 8
	s_and_b32 s13, s6, 0xffe
	s_and_b32 s6, s9, 0x1ff
	s_or_b32 s6, s6, s8
	s_cmp_lg_u32 s6, 0
	s_cselect_b64 s[6:7], -1, 0
	v_cndmask_b32_e64 v3, 0, 1, s[6:7]
	v_readfirstlane_b32 s6, v3
	s_or_b32 s6, s13, s6
	s_bfe_u32 s13, s9, 0xb0014
	s_sub_i32 s14, 0x3f1, s13
	v_med3_i32 v3, s14, 0, 13
	s_or_b32 s7, s6, 0x1000
	v_readfirstlane_b32 s14, v3
	s_lshr_b32 s15, s7, s14
	s_lshl_b32 s14, s15, s14
	s_cmp_lg_u32 s14, s7
	s_cselect_b32 s7, 1, 0
	s_addk_i32 s13, 0xfc10
	s_lshl_b32 s14, s13, 12
	s_or_b32 s7, s15, s7
	s_or_b32 s14, s6, s14
	s_cmp_lt_i32 s13, 1
	s_cselect_b32 s7, s7, s14
	s_and_b32 s14, s7, 7
	s_cmp_gt_i32 s14, 5
	s_cselect_b32 s15, 1, 0
	s_cmp_eq_u32 s14, 3
	s_cselect_b32 s14, 1, 0
	s_or_b32 s14, s14, s15
	s_lshr_b32 s7, s7, 2
	s_add_i32 s7, s7, s14
	s_cmp_lt_i32 s13, 31
	s_cselect_b32 s7, s7, 0x7c00
	s_cmp_lg_u32 s6, 0
	s_movk_i32 s6, 0x7e00
	s_cselect_b32 s6, s6, 0x7c00
	s_cmpk_eq_i32 s13, 0x40f
	s_cselect_b32 s6, s6, s7
	s_lshr_b32 s7, s9, 16
	s_and_b32 s7, s7, 0x8000
	s_or_b32 s6, s7, s6
	s_and_b32 s6, s6, 0xffff
	v_mov_b32_e32 v3, s6
	global_store_dword v[0:1], v3, off
.LBB46_804:
	s_mov_b64 s[6:7], 0
.LBB46_805:
	s_andn2_b64 vcc, exec, s[6:7]
	s_cbranch_vccnz .LBB46_814
; %bb.806:
	s_cmp_lt_i32 s12, 6
	s_mov_b64 s[6:7], -1
	s_cbranch_scc1 .LBB46_812
; %bb.807:
	s_cmp_gt_i32 s12, 6
	s_cbranch_scc0 .LBB46_809
; %bb.808:
	v_mov_b32_e32 v3, s8
	v_mov_b32_e32 v4, s9
	global_store_dwordx2 v[0:1], v[3:4], off
	s_mov_b64 s[6:7], 0
.LBB46_809:
	s_andn2_b64 vcc, exec, s[6:7]
	s_cbranch_vccnz .LBB46_811
; %bb.810:
	v_cvt_f32_f64_e32 v3, s[8:9]
	global_store_dword v[0:1], v3, off
.LBB46_811:
	s_mov_b64 s[6:7], 0
.LBB46_812:
	s_andn2_b64 vcc, exec, s[6:7]
	s_cbranch_vccnz .LBB46_814
; %bb.813:
	s_lshr_b32 s6, s9, 8
	s_and_b32 s13, s6, 0xffe
	s_and_b32 s6, s9, 0x1ff
	s_or_b32 s6, s6, s8
	s_cmp_lg_u32 s6, 0
	s_cselect_b64 s[6:7], -1, 0
	v_cndmask_b32_e64 v3, 0, 1, s[6:7]
	v_readfirstlane_b32 s6, v3
	s_or_b32 s6, s13, s6
	s_bfe_u32 s13, s9, 0xb0014
	s_sub_i32 s14, 0x3f1, s13
	v_med3_i32 v3, s14, 0, 13
	s_or_b32 s7, s6, 0x1000
	v_readfirstlane_b32 s14, v3
	s_lshr_b32 s15, s7, s14
	s_lshl_b32 s14, s15, s14
	s_cmp_lg_u32 s14, s7
	s_cselect_b32 s7, 1, 0
	s_addk_i32 s13, 0xfc10
	s_lshl_b32 s14, s13, 12
	s_or_b32 s7, s15, s7
	s_or_b32 s14, s6, s14
	s_cmp_lt_i32 s13, 1
	s_cselect_b32 s7, s7, s14
	s_and_b32 s14, s7, 7
	s_cmp_gt_i32 s14, 5
	s_cselect_b32 s15, 1, 0
	s_cmp_eq_u32 s14, 3
	s_cselect_b32 s14, 1, 0
	s_or_b32 s14, s14, s15
	s_lshr_b32 s7, s7, 2
	s_add_i32 s7, s7, s14
	s_cmp_lt_i32 s13, 31
	s_cselect_b32 s7, s7, 0x7c00
	s_cmp_lg_u32 s6, 0
	s_movk_i32 s6, 0x7e00
	s_cselect_b32 s6, s6, 0x7c00
	s_cmpk_eq_i32 s13, 0x40f
	s_cselect_b32 s6, s6, s7
	s_lshr_b32 s7, s9, 16
	s_and_b32 s7, s7, 0x8000
	s_or_b32 s6, s7, s6
	v_mov_b32_e32 v3, s6
	global_store_short v[0:1], v3, off
.LBB46_814:
	s_mov_b64 s[6:7], 0
.LBB46_815:
	s_andn2_b64 vcc, exec, s[6:7]
	s_cbranch_vccnz .LBB46_831
; %bb.816:
	s_cmp_lt_i32 s12, 2
	s_mov_b64 s[6:7], -1
	s_cbranch_scc1 .LBB46_826
; %bb.817:
	s_cmp_lt_i32 s12, 3
	s_cbranch_scc1 .LBB46_823
; %bb.818:
	s_cmp_gt_i32 s12, 3
	s_cbranch_scc0 .LBB46_820
; %bb.819:
	v_trunc_f64_e32 v[3:4], s[8:9]
	s_movk_i32 s6, 0xffe0
	v_ldexp_f64 v[5:6], v[3:4], s6
	s_mov_b32 s6, 0
	s_mov_b32 s7, 0xc1f00000
	v_floor_f64_e32 v[5:6], v[5:6]
	v_fma_f64 v[3:4], v[5:6], s[6:7], v[3:4]
	v_cvt_i32_f64_e32 v5, v[5:6]
	s_mov_b64 s[6:7], 0
	v_cvt_u32_f64_e32 v4, v[3:4]
	global_store_dwordx2 v[0:1], v[4:5], off
.LBB46_820:
	s_andn2_b64 vcc, exec, s[6:7]
	s_cbranch_vccnz .LBB46_822
; %bb.821:
	v_cvt_i32_f64_e32 v3, s[8:9]
	global_store_dword v[0:1], v3, off
.LBB46_822:
	s_mov_b64 s[6:7], 0
.LBB46_823:
	s_andn2_b64 vcc, exec, s[6:7]
	s_cbranch_vccnz .LBB46_825
; %bb.824:
	v_cvt_i32_f64_e32 v3, s[8:9]
	global_store_short v[0:1], v3, off
.LBB46_825:
	s_mov_b64 s[6:7], 0
.LBB46_826:
	s_andn2_b64 vcc, exec, s[6:7]
	s_cbranch_vccnz .LBB46_831
; %bb.827:
	s_cmp_gt_i32 s12, 0
	s_mov_b64 s[6:7], -1
	s_cbranch_scc0 .LBB46_829
; %bb.828:
	v_cvt_i32_f64_e32 v3, s[8:9]
	s_mov_b64 s[6:7], 0
	global_store_byte v[0:1], v3, off
.LBB46_829:
	s_andn2_b64 vcc, exec, s[6:7]
	s_cbranch_vccnz .LBB46_831
; %bb.830:
	v_trunc_f64_e32 v[3:4], s[8:9]
	s_movk_i32 s6, 0xffe0
	v_ldexp_f64 v[5:6], v[3:4], s6
	s_mov_b32 s6, 0
	s_mov_b32 s7, 0xc1f00000
	v_floor_f64_e32 v[5:6], v[5:6]
	v_fma_f64 v[3:4], v[5:6], s[6:7], v[3:4]
	v_cvt_u32_f64_e32 v3, v[3:4]
	global_store_byte v[0:1], v3, off
.LBB46_831:
	s_branch .LBB46_691
.LBB46_832:
	s_mov_b64 s[6:7], 0
	s_mov_b64 s[10:11], 0
                                        ; implicit-def: $sgpr18
                                        ; implicit-def: $vgpr0_vgpr1
.LBB46_833:
	s_andn2_b64 s[0:1], s[0:1], exec
	s_and_b64 s[4:5], s[4:5], exec
	s_and_b64 s[12:13], s[6:7], exec
	;; [unrolled: 1-line block ×3, first 2 shown]
	s_or_b64 s[0:1], s[0:1], s[4:5]
	s_or_b64 exec, exec, s[2:3]
	s_and_saveexec_b64 s[2:3], s[0:1]
	s_cbranch_execnz .LBB46_434
.LBB46_834:
	s_or_b64 exec, exec, s[2:3]
	s_and_saveexec_b64 s[0:1], s[6:7]
	s_xor_b64 s[0:1], exec, s[0:1]
	s_cbranch_execz .LBB46_435
.LBB46_835:
	v_cmp_neq_f64_e64 s[2:3], s[8:9], 0
	v_cndmask_b32_e64 v2, 0, 1, s[2:3]
	global_store_byte v[0:1], v2, off
	s_or_b64 exec, exec, s[0:1]
	s_and_saveexec_b64 s[0:1], s[12:13]
	s_cbranch_execz .LBB46_873
.LBB46_836:
	s_sext_i32_i16 s2, s18
	s_cmp_lt_i32 s2, 5
	s_mov_b64 s[0:1], -1
	s_cbranch_scc1 .LBB46_857
; %bb.837:
	s_cmp_lt_i32 s2, 8
	s_cbranch_scc1 .LBB46_847
; %bb.838:
	s_cmp_lt_i32 s2, 9
	s_cbranch_scc1 .LBB46_844
; %bb.839:
	s_cmp_gt_i32 s2, 9
	s_cbranch_scc0 .LBB46_841
; %bb.840:
	v_mov_b32_e32 v4, 0
	v_mov_b32_e32 v2, s8
	;; [unrolled: 1-line block ×4, first 2 shown]
	global_store_dwordx4 v[0:1], v[2:5], off
	s_mov_b64 s[0:1], 0
.LBB46_841:
	s_andn2_b64 vcc, exec, s[0:1]
	s_cbranch_vccnz .LBB46_843
; %bb.842:
	v_cvt_f32_f64_e32 v2, s[8:9]
	v_mov_b32_e32 v3, 0
	global_store_dwordx2 v[0:1], v[2:3], off
.LBB46_843:
	s_mov_b64 s[0:1], 0
.LBB46_844:
	s_andn2_b64 vcc, exec, s[0:1]
	s_cbranch_vccnz .LBB46_846
; %bb.845:
	s_lshr_b32 s0, s9, 8
	s_and_b32 s2, s0, 0xffe
	s_and_b32 s0, s9, 0x1ff
	s_or_b32 s0, s0, s8
	s_cmp_lg_u32 s0, 0
	s_cselect_b64 s[0:1], -1, 0
	v_cndmask_b32_e64 v2, 0, 1, s[0:1]
	v_readfirstlane_b32 s0, v2
	s_or_b32 s0, s2, s0
	s_bfe_u32 s2, s9, 0xb0014
	s_sub_i32 s3, 0x3f1, s2
	v_med3_i32 v2, s3, 0, 13
	s_or_b32 s1, s0, 0x1000
	v_readfirstlane_b32 s3, v2
	s_lshr_b32 s4, s1, s3
	s_lshl_b32 s3, s4, s3
	s_cmp_lg_u32 s3, s1
	s_cselect_b32 s1, 1, 0
	s_addk_i32 s2, 0xfc10
	s_lshl_b32 s3, s2, 12
	s_or_b32 s1, s4, s1
	s_or_b32 s3, s0, s3
	s_cmp_lt_i32 s2, 1
	s_cselect_b32 s1, s1, s3
	s_and_b32 s3, s1, 7
	s_cmp_gt_i32 s3, 5
	s_cselect_b32 s4, 1, 0
	s_cmp_eq_u32 s3, 3
	s_cselect_b32 s3, 1, 0
	s_or_b32 s3, s3, s4
	s_lshr_b32 s1, s1, 2
	s_add_i32 s1, s1, s3
	s_cmp_lt_i32 s2, 31
	s_cselect_b32 s1, s1, 0x7c00
	s_cmp_lg_u32 s0, 0
	s_movk_i32 s0, 0x7e00
	s_cselect_b32 s0, s0, 0x7c00
	s_cmpk_eq_i32 s2, 0x40f
	s_cselect_b32 s0, s0, s1
	s_lshr_b32 s1, s9, 16
	s_and_b32 s1, s1, 0x8000
	s_or_b32 s0, s1, s0
	s_and_b32 s0, s0, 0xffff
	v_mov_b32_e32 v2, s0
	global_store_dword v[0:1], v2, off
.LBB46_846:
	s_mov_b64 s[0:1], 0
.LBB46_847:
	s_andn2_b64 vcc, exec, s[0:1]
	s_cbranch_vccnz .LBB46_856
; %bb.848:
	s_sext_i32_i16 s2, s18
	s_cmp_lt_i32 s2, 6
	s_mov_b64 s[0:1], -1
	s_cbranch_scc1 .LBB46_854
; %bb.849:
	s_cmp_gt_i32 s2, 6
	s_cbranch_scc0 .LBB46_851
; %bb.850:
	v_mov_b32_e32 v2, s8
	v_mov_b32_e32 v3, s9
	global_store_dwordx2 v[0:1], v[2:3], off
	s_mov_b64 s[0:1], 0
.LBB46_851:
	s_andn2_b64 vcc, exec, s[0:1]
	s_cbranch_vccnz .LBB46_853
; %bb.852:
	v_cvt_f32_f64_e32 v2, s[8:9]
	global_store_dword v[0:1], v2, off
.LBB46_853:
	s_mov_b64 s[0:1], 0
.LBB46_854:
	s_andn2_b64 vcc, exec, s[0:1]
	s_cbranch_vccnz .LBB46_856
; %bb.855:
	s_lshr_b32 s0, s9, 8
	s_and_b32 s2, s0, 0xffe
	s_and_b32 s0, s9, 0x1ff
	s_or_b32 s0, s0, s8
	s_cmp_lg_u32 s0, 0
	s_cselect_b64 s[0:1], -1, 0
	v_cndmask_b32_e64 v2, 0, 1, s[0:1]
	v_readfirstlane_b32 s0, v2
	s_or_b32 s0, s2, s0
	s_bfe_u32 s2, s9, 0xb0014
	s_sub_i32 s3, 0x3f1, s2
	v_med3_i32 v2, s3, 0, 13
	s_or_b32 s1, s0, 0x1000
	v_readfirstlane_b32 s3, v2
	s_lshr_b32 s4, s1, s3
	s_lshl_b32 s3, s4, s3
	s_cmp_lg_u32 s3, s1
	s_cselect_b32 s1, 1, 0
	s_addk_i32 s2, 0xfc10
	s_lshl_b32 s3, s2, 12
	s_or_b32 s1, s4, s1
	s_or_b32 s3, s0, s3
	s_cmp_lt_i32 s2, 1
	s_cselect_b32 s1, s1, s3
	s_and_b32 s3, s1, 7
	s_cmp_gt_i32 s3, 5
	s_cselect_b32 s4, 1, 0
	s_cmp_eq_u32 s3, 3
	s_cselect_b32 s3, 1, 0
	s_or_b32 s3, s3, s4
	s_lshr_b32 s1, s1, 2
	s_add_i32 s1, s1, s3
	s_cmp_lt_i32 s2, 31
	s_cselect_b32 s1, s1, 0x7c00
	s_cmp_lg_u32 s0, 0
	s_movk_i32 s0, 0x7e00
	s_cselect_b32 s0, s0, 0x7c00
	s_cmpk_eq_i32 s2, 0x40f
	s_cselect_b32 s0, s0, s1
	s_lshr_b32 s1, s9, 16
	s_and_b32 s1, s1, 0x8000
	s_or_b32 s0, s1, s0
	v_mov_b32_e32 v2, s0
	global_store_short v[0:1], v2, off
.LBB46_856:
	s_mov_b64 s[0:1], 0
.LBB46_857:
	s_andn2_b64 vcc, exec, s[0:1]
	s_cbranch_vccnz .LBB46_873
; %bb.858:
	s_sext_i32_i16 s2, s18
	s_cmp_lt_i32 s2, 2
	s_mov_b64 s[0:1], -1
	s_cbranch_scc1 .LBB46_868
; %bb.859:
	s_cmp_lt_i32 s2, 3
	s_cbranch_scc1 .LBB46_865
; %bb.860:
	s_cmp_gt_i32 s2, 3
	s_cbranch_scc0 .LBB46_862
; %bb.861:
	v_trunc_f64_e32 v[2:3], s[8:9]
	s_movk_i32 s0, 0xffe0
	v_ldexp_f64 v[4:5], v[2:3], s0
	s_mov_b32 s0, 0
	s_mov_b32 s1, 0xc1f00000
	v_floor_f64_e32 v[4:5], v[4:5]
	v_fma_f64 v[2:3], v[4:5], s[0:1], v[2:3]
	v_cvt_i32_f64_e32 v4, v[4:5]
	s_mov_b64 s[0:1], 0
	v_cvt_u32_f64_e32 v3, v[2:3]
	global_store_dwordx2 v[0:1], v[3:4], off
.LBB46_862:
	s_andn2_b64 vcc, exec, s[0:1]
	s_cbranch_vccnz .LBB46_864
; %bb.863:
	v_cvt_i32_f64_e32 v2, s[8:9]
	global_store_dword v[0:1], v2, off
.LBB46_864:
	s_mov_b64 s[0:1], 0
.LBB46_865:
	s_andn2_b64 vcc, exec, s[0:1]
	s_cbranch_vccnz .LBB46_867
; %bb.866:
	v_cvt_i32_f64_e32 v2, s[8:9]
	global_store_short v[0:1], v2, off
.LBB46_867:
	s_mov_b64 s[0:1], 0
.LBB46_868:
	s_andn2_b64 vcc, exec, s[0:1]
	s_cbranch_vccnz .LBB46_873
; %bb.869:
	s_sext_i32_i16 s0, s18
	s_cmp_gt_i32 s0, 0
	s_mov_b64 s[0:1], -1
	s_cbranch_scc0 .LBB46_871
; %bb.870:
	v_cvt_i32_f64_e32 v2, s[8:9]
	s_mov_b64 s[0:1], 0
	global_store_byte v[0:1], v2, off
.LBB46_871:
	s_andn2_b64 vcc, exec, s[0:1]
	s_cbranch_vccnz .LBB46_873
; %bb.872:
	v_trunc_f64_e32 v[2:3], s[8:9]
	s_movk_i32 s0, 0xffe0
	v_ldexp_f64 v[4:5], v[2:3], s0
	s_mov_b32 s0, 0
	s_mov_b32 s1, 0xc1f00000
	v_floor_f64_e32 v[4:5], v[4:5]
	v_fma_f64 v[2:3], v[4:5], s[0:1], v[2:3]
	v_cvt_u32_f64_e32 v2, v[2:3]
	global_store_byte v[0:1], v2, off
	s_endpgm
.LBB46_873:
	s_endpgm
.LBB46_874:
	s_trap 2
	s_or_b64 s[4:5], s[4:5], exec
	s_cbranch_execz .LBB46_792
	s_branch .LBB46_793
.LBB46_875:
	s_mov_b64 s[12:13], -1
	s_mov_b64 s[10:11], 0
                                        ; implicit-def: $sgpr15
.LBB46_876:
	s_andn2_b64 vcc, exec, s[12:13]
	v_mov_b32_e32 v2, s15
	s_cbranch_vccnz .LBB46_878
; %bb.877:
	v_mov_b32_e32 v2, 0x42800000
	v_add_f32_e64 v2, |s14|, v2
	v_and_b32_e32 v2, 0xff, v2
	v_cmp_ne_u32_e64 s[10:11], 0, v2
.LBB46_878:
	s_andn2_b64 vcc, exec, s[10:11]
	v_mov_b32_e32 v3, 0
	s_cbranch_vccnz .LBB46_880
; %bb.879:
	s_lshr_b32 s10, s14, 24
	s_and_b32 s10, s10, 0x80
	v_or_b32_e32 v3, s10, v2
.LBB46_880:
	s_mov_b64 s[10:11], 0
	global_store_byte v[0:1], v3, off
.LBB46_881:
	s_and_b64 vcc, exec, s[10:11]
	s_cbranch_vccz .LBB46_893
; %bb.882:
	v_cvt_f32_f64_e32 v2, s[8:9]
	v_readfirstlane_b32 s12, v2
	s_and_b32 s13, s12, 0x7fffffff
	s_cmp_lt_u32 s13, 0x43f00000
	s_cbranch_scc0 .LBB46_885
; %bb.883:
	s_cmp_gt_u32 s13, 0x3c7fffff
	s_cbranch_scc0 .LBB46_886
; %bb.884:
	s_bfe_u32 s10, s12, 0x10014
	s_add_i32 s10, s12, s10
	s_add_i32 s10, s10, 0x407ffff
	s_lshr_b32 s11, s10, 20
	s_and_b32 s10, s10, 0xff00000
	s_cmp_lg_u32 s10, 0x7f00000
	s_cselect_b32 s14, s11, 0x7e
	s_mov_b64 s[10:11], 0
	s_branch .LBB46_887
.LBB46_885:
	s_mov_b64 s[10:11], -1
                                        ; implicit-def: $vgpr3
	s_branch .LBB46_890
.LBB46_886:
	s_mov_b64 s[10:11], -1
                                        ; implicit-def: $sgpr14
.LBB46_887:
	s_andn2_b64 vcc, exec, s[10:11]
	v_mov_b32_e32 v3, s14
	s_cbranch_vccnz .LBB46_889
; %bb.888:
	s_mov_b32 s10, 0x46800000
	v_add_f32_e64 v3, |v2|, s10
.LBB46_889:
	s_mov_b64 s[10:11], 0
.LBB46_890:
	s_andn2_b64 vcc, exec, s[10:11]
	s_cbranch_vccnz .LBB46_892
; %bb.891:
	s_cmp_gt_u32 s13, 0x7f800000
	s_movk_i32 s10, 0x7f
	s_cselect_b32 s10, s10, 0x7e
	v_mov_b32_e32 v3, s10
.LBB46_892:
	s_lshr_b32 s10, s12, 24
	s_and_b32 s10, s10, 0x80
	v_or_b32_e32 v2, s10, v3
	global_store_byte v[0:1], v2, off
.LBB46_893:
	s_mov_b64 s[10:11], 0
.LBB46_894:
	s_andn2_b64 vcc, exec, s[10:11]
	s_cbranch_vccnz .LBB46_906
; %bb.895:
	v_cvt_f32_f64_e32 v2, s[8:9]
	v_readfirstlane_b32 s12, v2
	s_and_b32 s13, s12, 0x7fffffff
	s_cmp_lt_u32 s13, 0x47800000
	s_cbranch_scc0 .LBB46_898
; %bb.896:
	s_cmp_gt_u32 s13, 0x387fffff
	s_cbranch_scc0 .LBB46_899
; %bb.897:
	s_bfe_u32 s10, s12, 0x10015
	s_add_i32 s10, s12, s10
	s_add_i32 s10, s10, 0x80fffff
	s_lshr_b32 s14, s10, 21
	s_mov_b64 s[10:11], 0
	s_branch .LBB46_900
.LBB46_898:
	s_mov_b64 s[10:11], -1
                                        ; implicit-def: $vgpr3
	s_branch .LBB46_903
.LBB46_899:
	s_mov_b64 s[10:11], -1
                                        ; implicit-def: $sgpr14
.LBB46_900:
	s_andn2_b64 vcc, exec, s[10:11]
	v_mov_b32_e32 v3, s14
	s_cbranch_vccnz .LBB46_902
; %bb.901:
	s_mov_b32 s10, 0x43000000
	v_add_f32_e64 v3, |v2|, s10
.LBB46_902:
	s_mov_b64 s[10:11], 0
.LBB46_903:
	s_andn2_b64 vcc, exec, s[10:11]
	s_cbranch_vccnz .LBB46_905
; %bb.904:
	s_cmp_gt_u32 s13, 0x7f800000
	s_movk_i32 s10, 0x7f
	s_cselect_b32 s10, s10, 0x7c
	v_mov_b32_e32 v3, s10
.LBB46_905:
	s_lshr_b32 s10, s12, 24
	s_and_b32 s10, s10, 0x80
	v_or_b32_e32 v2, s10, v3
	global_store_byte v[0:1], v2, off
.LBB46_906:
	s_mov_b64 s[10:11], 0
.LBB46_907:
	s_andn2_b64 vcc, exec, s[10:11]
	s_mov_b64 s[10:11], 0
	s_cbranch_vccnz .LBB46_914
; %bb.908:
	s_cmp_gt_i32 s16, 14
	s_mov_b64 s[12:13], -1
	s_cbranch_scc0 .LBB46_912
; %bb.909:
	s_cmp_eq_u32 s16, 15
	s_mov_b64 s[6:7], -1
	s_cbranch_scc0 .LBB46_911
; %bb.910:
	v_cvt_f32_f64_e32 v2, s[8:9]
	v_mov_b32_e32 v3, 0x7fc0
	s_mov_b64 s[6:7], 0
	v_bfe_u32 v4, v2, 16, 1
	v_cmp_o_f32_e32 vcc, v2, v2
	v_add_u32_e32 v2, v2, v4
	v_add_u32_e32 v2, 0x7fff, v2
	v_cndmask_b32_sdwa v2, v3, v2, vcc dst_sel:DWORD dst_unused:UNUSED_PAD src0_sel:DWORD src1_sel:WORD_1
	global_store_short v[0:1], v2, off
.LBB46_911:
	s_mov_b64 s[12:13], 0
.LBB46_912:
	s_and_b64 vcc, exec, s[12:13]
	s_cbranch_vccz .LBB46_914
; %bb.913:
	s_cmp_lg_u32 s16, 11
	s_mov_b64 s[10:11], -1
	s_cselect_b64 s[6:7], -1, 0
.LBB46_914:
	s_and_b64 vcc, exec, s[6:7]
	s_cbranch_vccnz .LBB46_916
.LBB46_915:
	s_mov_b64 s[6:7], 0
	s_branch .LBB46_833
.LBB46_916:
	s_mov_b64 s[10:11], 0
	s_or_b64 s[4:5], s[4:5], exec
	s_trap 2
	s_branch .LBB46_915
	.section	.rodata,"a",@progbits
	.p2align	6, 0x0
	.amdhsa_kernel _ZN2at6native32elementwise_kernel_manual_unrollILi128ELi4EZNS0_15gpu_kernel_implINS0_11FillFunctorIdEEEEvRNS_18TensorIteratorBaseERKT_EUlibE_EEviT1_
		.amdhsa_group_segment_fixed_size 0
		.amdhsa_private_segment_fixed_size 0
		.amdhsa_kernarg_size 40
		.amdhsa_user_sgpr_count 6
		.amdhsa_user_sgpr_private_segment_buffer 1
		.amdhsa_user_sgpr_dispatch_ptr 0
		.amdhsa_user_sgpr_queue_ptr 0
		.amdhsa_user_sgpr_kernarg_segment_ptr 1
		.amdhsa_user_sgpr_dispatch_id 0
		.amdhsa_user_sgpr_flat_scratch_init 0
		.amdhsa_user_sgpr_private_segment_size 0
		.amdhsa_uses_dynamic_stack 0
		.amdhsa_system_sgpr_private_segment_wavefront_offset 0
		.amdhsa_system_sgpr_workgroup_id_x 1
		.amdhsa_system_sgpr_workgroup_id_y 0
		.amdhsa_system_sgpr_workgroup_id_z 0
		.amdhsa_system_sgpr_workgroup_info 0
		.amdhsa_system_vgpr_workitem_id 0
		.amdhsa_next_free_vgpr 21
		.amdhsa_next_free_sgpr 64
		.amdhsa_reserve_vcc 1
		.amdhsa_reserve_flat_scratch 0
		.amdhsa_float_round_mode_32 0
		.amdhsa_float_round_mode_16_64 0
		.amdhsa_float_denorm_mode_32 3
		.amdhsa_float_denorm_mode_16_64 3
		.amdhsa_dx10_clamp 1
		.amdhsa_ieee_mode 1
		.amdhsa_fp16_overflow 0
		.amdhsa_exception_fp_ieee_invalid_op 0
		.amdhsa_exception_fp_denorm_src 0
		.amdhsa_exception_fp_ieee_div_zero 0
		.amdhsa_exception_fp_ieee_overflow 0
		.amdhsa_exception_fp_ieee_underflow 0
		.amdhsa_exception_fp_ieee_inexact 0
		.amdhsa_exception_int_div_zero 0
	.end_amdhsa_kernel
	.section	.text._ZN2at6native32elementwise_kernel_manual_unrollILi128ELi4EZNS0_15gpu_kernel_implINS0_11FillFunctorIdEEEEvRNS_18TensorIteratorBaseERKT_EUlibE_EEviT1_,"axG",@progbits,_ZN2at6native32elementwise_kernel_manual_unrollILi128ELi4EZNS0_15gpu_kernel_implINS0_11FillFunctorIdEEEEvRNS_18TensorIteratorBaseERKT_EUlibE_EEviT1_,comdat
.Lfunc_end46:
	.size	_ZN2at6native32elementwise_kernel_manual_unrollILi128ELi4EZNS0_15gpu_kernel_implINS0_11FillFunctorIdEEEEvRNS_18TensorIteratorBaseERKT_EUlibE_EEviT1_, .Lfunc_end46-_ZN2at6native32elementwise_kernel_manual_unrollILi128ELi4EZNS0_15gpu_kernel_implINS0_11FillFunctorIdEEEEvRNS_18TensorIteratorBaseERKT_EUlibE_EEviT1_
                                        ; -- End function
	.set _ZN2at6native32elementwise_kernel_manual_unrollILi128ELi4EZNS0_15gpu_kernel_implINS0_11FillFunctorIdEEEEvRNS_18TensorIteratorBaseERKT_EUlibE_EEviT1_.num_vgpr, 21
	.set _ZN2at6native32elementwise_kernel_manual_unrollILi128ELi4EZNS0_15gpu_kernel_implINS0_11FillFunctorIdEEEEvRNS_18TensorIteratorBaseERKT_EUlibE_EEviT1_.num_agpr, 0
	.set _ZN2at6native32elementwise_kernel_manual_unrollILi128ELi4EZNS0_15gpu_kernel_implINS0_11FillFunctorIdEEEEvRNS_18TensorIteratorBaseERKT_EUlibE_EEviT1_.numbered_sgpr, 64
	.set _ZN2at6native32elementwise_kernel_manual_unrollILi128ELi4EZNS0_15gpu_kernel_implINS0_11FillFunctorIdEEEEvRNS_18TensorIteratorBaseERKT_EUlibE_EEviT1_.num_named_barrier, 0
	.set _ZN2at6native32elementwise_kernel_manual_unrollILi128ELi4EZNS0_15gpu_kernel_implINS0_11FillFunctorIdEEEEvRNS_18TensorIteratorBaseERKT_EUlibE_EEviT1_.private_seg_size, 0
	.set _ZN2at6native32elementwise_kernel_manual_unrollILi128ELi4EZNS0_15gpu_kernel_implINS0_11FillFunctorIdEEEEvRNS_18TensorIteratorBaseERKT_EUlibE_EEviT1_.uses_vcc, 1
	.set _ZN2at6native32elementwise_kernel_manual_unrollILi128ELi4EZNS0_15gpu_kernel_implINS0_11FillFunctorIdEEEEvRNS_18TensorIteratorBaseERKT_EUlibE_EEviT1_.uses_flat_scratch, 0
	.set _ZN2at6native32elementwise_kernel_manual_unrollILi128ELi4EZNS0_15gpu_kernel_implINS0_11FillFunctorIdEEEEvRNS_18TensorIteratorBaseERKT_EUlibE_EEviT1_.has_dyn_sized_stack, 0
	.set _ZN2at6native32elementwise_kernel_manual_unrollILi128ELi4EZNS0_15gpu_kernel_implINS0_11FillFunctorIdEEEEvRNS_18TensorIteratorBaseERKT_EUlibE_EEviT1_.has_recursion, 0
	.set _ZN2at6native32elementwise_kernel_manual_unrollILi128ELi4EZNS0_15gpu_kernel_implINS0_11FillFunctorIdEEEEvRNS_18TensorIteratorBaseERKT_EUlibE_EEviT1_.has_indirect_call, 0
	.section	.AMDGPU.csdata,"",@progbits
; Kernel info:
; codeLenInByte = 14764
; TotalNumSgprs: 68
; NumVgprs: 21
; ScratchSize: 0
; MemoryBound: 0
; FloatMode: 240
; IeeeMode: 1
; LDSByteSize: 0 bytes/workgroup (compile time only)
; SGPRBlocks: 8
; VGPRBlocks: 5
; NumSGPRsForWavesPerEU: 68
; NumVGPRsForWavesPerEU: 21
; Occupancy: 10
; WaveLimiterHint : 0
; COMPUTE_PGM_RSRC2:SCRATCH_EN: 0
; COMPUTE_PGM_RSRC2:USER_SGPR: 6
; COMPUTE_PGM_RSRC2:TRAP_HANDLER: 0
; COMPUTE_PGM_RSRC2:TGID_X_EN: 1
; COMPUTE_PGM_RSRC2:TGID_Y_EN: 0
; COMPUTE_PGM_RSRC2:TGID_Z_EN: 0
; COMPUTE_PGM_RSRC2:TIDIG_COMP_CNT: 0
	.section	.text._ZN2at6native32elementwise_kernel_manual_unrollILi128ELi4EZNS0_15gpu_kernel_implINS0_11FillFunctorIdEEEEvRNS_18TensorIteratorBaseERKT_EUlibE0_EEviT1_,"axG",@progbits,_ZN2at6native32elementwise_kernel_manual_unrollILi128ELi4EZNS0_15gpu_kernel_implINS0_11FillFunctorIdEEEEvRNS_18TensorIteratorBaseERKT_EUlibE0_EEviT1_,comdat
	.protected	_ZN2at6native32elementwise_kernel_manual_unrollILi128ELi4EZNS0_15gpu_kernel_implINS0_11FillFunctorIdEEEEvRNS_18TensorIteratorBaseERKT_EUlibE0_EEviT1_ ; -- Begin function _ZN2at6native32elementwise_kernel_manual_unrollILi128ELi4EZNS0_15gpu_kernel_implINS0_11FillFunctorIdEEEEvRNS_18TensorIteratorBaseERKT_EUlibE0_EEviT1_
	.globl	_ZN2at6native32elementwise_kernel_manual_unrollILi128ELi4EZNS0_15gpu_kernel_implINS0_11FillFunctorIdEEEEvRNS_18TensorIteratorBaseERKT_EUlibE0_EEviT1_
	.p2align	8
	.type	_ZN2at6native32elementwise_kernel_manual_unrollILi128ELi4EZNS0_15gpu_kernel_implINS0_11FillFunctorIdEEEEvRNS_18TensorIteratorBaseERKT_EUlibE0_EEviT1_,@function
_ZN2at6native32elementwise_kernel_manual_unrollILi128ELi4EZNS0_15gpu_kernel_implINS0_11FillFunctorIdEEEEvRNS_18TensorIteratorBaseERKT_EUlibE0_EEviT1_: ; @_ZN2at6native32elementwise_kernel_manual_unrollILi128ELi4EZNS0_15gpu_kernel_implINS0_11FillFunctorIdEEEEvRNS_18TensorIteratorBaseERKT_EUlibE0_EEviT1_
; %bb.0:
	s_load_dword s92, s[4:5], 0x0
	s_load_dword s33, s[4:5], 0x8
	s_add_u32 s34, s4, 8
	s_addc_u32 s35, s5, 0
	v_lshl_or_b32 v9, s6, 9, v0
	v_or_b32_e32 v8, 0x180, v9
	s_waitcnt lgkmcnt(0)
	s_add_i32 s80, s33, -1
	s_cmp_gt_u32 s80, 1
	v_cmp_le_i32_e32 vcc, s92, v8
	s_cselect_b64 s[36:37], -1, 0
	s_mov_b64 s[6:7], 0
	s_mov_b64 s[20:21], 0
	s_and_saveexec_b64 s[0:1], vcc
	s_xor_b64 s[38:39], exec, s[0:1]
	s_cbranch_execz .LBB47_462
; %bb.1:
	s_load_dwordx4 s[16:19], s[34:35], 0x108
	s_load_dwordx2 s[56:57], s[34:35], 0xc4
	s_movk_i32 s0, 0xffe0
	s_cmp_lg_u32 s33, 0
	s_movk_i32 s1, 0xff
	s_waitcnt lgkmcnt(0)
	v_trunc_f64_e32 v[0:1], s[18:19]
	v_cvt_f32_f64_e32 v2, s[18:19]
	s_cselect_b64 s[64:65], -1, 0
	s_add_u32 s60, s34, 0xc4
	s_addc_u32 s61, s35, 0
	v_bfe_u32 v5, v2, 23, 8
	v_and_b32_e32 v8, 0x3fffff, v2
	s_min_u32 s93, s80, 15
	v_ldexp_f64 v[3:4], v[0:1], s0
	v_and_b32_e32 v6, 0x400000, v2
	v_cmp_eq_u32_e64 s[4:5], s1, v5
	v_or_b32_e32 v5, v5, v8
	s_cmp_gt_u32 s33, 1
	v_readfirstlane_b32 s8, v2
	v_cmp_ne_u32_e32 vcc, 0, v6
	v_cmp_ne_u32_e64 s[0:1], 0, v5
	v_floor_f64_e32 v[3:4], v[3:4]
	s_cselect_b64 s[58:59], -1, 0
	s_and_b32 s9, s8, 0x7fffffff
	s_and_b64 s[0:1], vcc, s[0:1]
	s_mov_b32 s2, 0
	s_cmp_lt_u32 s9, 0x43800000
	s_mov_b32 s3, 0xc1f00000
	s_cselect_b64 s[52:53], -1, 0
	s_cmp_gt_u32 s9, 0x3bffffff
	v_fma_f64 v[5:6], v[3:4], s[2:3], v[0:1]
	v_cndmask_b32_e64 v0, 0, 1, s[0:1]
	s_cselect_b64 s[2:3], -1, 0
	s_bfe_u32 s0, s8, 0x10014
	s_add_i32 s10, s8, s0
	s_add_i32 s0, s10, 0x487ffff
	s_lshr_b32 s90, s0, 20
	s_mov_b32 s0, 0x46000000
	v_add_f32_e64 v15, |v2|, s0
	v_readfirstlane_b32 s0, v15
	s_and_b32 s0, s0, 0xff
	s_cmp_lg_u32 s0, 0
	s_cselect_b64 s[54:55], -1, 0
	s_cmp_gt_u32 s9, 0x477fffff
	s_cselect_b64 s[40:41], -1, 0
	s_cmp_lt_u32 s9, 0x47800000
	s_movk_i32 s0, 0x80
	s_cselect_b64 s[48:49], -1, 0
	s_cmp_gt_u32 s9, 0x37ffffff
	v_and_b32_sdwa v11, v2, s0 dst_sel:DWORD dst_unused:UNUSED_PAD src0_sel:BYTE_3 src1_sel:DWORD
	s_cselect_b64 s[0:1], -1, 0
	s_bfe_u32 s11, s8, 0x10015
	s_add_i32 s8, s8, s11
	s_add_i32 s11, s8, 0x88fffff
	s_lshr_b32 s88, s11, 21
	s_mov_b32 s11, 0x42800000
	v_add_f32_e64 v13, |v2|, s11
	v_readfirstlane_b32 s11, v13
	s_and_b32 s11, s11, 0xff
	s_cmp_lg_u32 s11, 0
	s_cselect_b64 s[50:51], -1, 0
	s_cmp_gt_u32 s9, 0x43efffff
	s_cselect_b64 s[44:45], -1, 0
	s_cmp_lt_u32 s9, 0x3c800000
	s_cselect_b64 s[46:47], -1, 0
	s_add_i32 s10, s10, 0x407ffff
	s_lshr_b32 s11, s10, 20
	s_and_b32 s10, s10, 0xff00000
	s_cmp_lg_u32 s10, 0x7f00000
	s_cselect_b32 s86, s11, 0x7e
	s_cmp_lt_u32 s9, 0x38800000
	s_cselect_b64 s[42:43], -1, 0
	s_add_i32 s8, s8, 0x80fffff
	s_lshr_b32 s83, s8, 21
	v_lshrrev_b32_e32 v7, 23, v2
	s_mov_b32 s10, 0x46800000
	s_cmp_gt_u32 s9, 0x7f800000
	s_movk_i32 s8, 0x7f
	v_add_u32_e32 v16, v7, v0
	v_cvt_u32_f64_e32 v0, v[5:6]
	v_add_f32_e64 v5, |v2|, s10
	s_cselect_b32 s89, s8, 0x7e
	s_mov_b32 s8, 0x43000000
	v_readfirstlane_b32 s87, v5
	v_add_f32_e64 v5, |v2|, s8
	s_movk_i32 s8, 0x7c
	s_cselect_b32 s85, 0x7f, s8
	v_cmp_neq_f64_e64 s[8:9], s[18:19], 0
	v_readfirstlane_b32 s84, v5
	v_bfe_u32 v5, v2, 16, 1
	v_add_u32_e32 v5, v2, v5
	v_add_u32_e32 v5, 0x7fff, v5
	v_lshrrev_b32_e32 v5, 16, v5
	v_mov_b32_e32 v6, 0x7fc0
	v_cmp_o_f32_e32 vcc, v2, v2
	v_cndmask_b32_e64 v10, 0, 1, s[8:9]
	s_lshr_b32 s8, s19, 8
	s_and_b32 s10, s8, 0xffe
	s_and_b32 s8, s19, 0x1ff
	s_or_b32 s8, s8, s18
	s_cmp_lg_u32 s8, 0
	s_cselect_b64 s[8:9], -1, 0
	v_cndmask_b32_e32 v12, v6, v5, vcc
	v_cndmask_b32_e64 v5, 0, 1, s[8:9]
	v_readfirstlane_b32 s8, v5
	s_or_b32 s8, s10, s8
	s_bfe_u32 s10, s19, 0xb0014
	s_sub_i32 s11, 0x3f1, s10
	v_med3_i32 v5, s11, 0, 13
	s_or_b32 s9, s8, 0x1000
	v_readfirstlane_b32 s11, v5
	s_lshr_b32 s12, s9, s11
	s_lshl_b32 s11, s12, s11
	s_cmp_lg_u32 s11, s9
	s_cselect_b32 s9, 1, 0
	s_addk_i32 s10, 0xfc10
	s_lshl_b32 s11, s10, 12
	s_or_b32 s9, s12, s9
	s_or_b32 s11, s8, s11
	s_cmp_lt_i32 s10, 1
	s_cselect_b32 s9, s9, s11
	s_and_b32 s11, s9, 7
	s_cmp_gt_i32 s11, 5
	s_cselect_b32 s12, 1, 0
	s_cmp_eq_u32 s11, 3
	s_cselect_b32 s11, 1, 0
	s_or_b32 s11, s11, s12
	s_lshr_b32 s9, s9, 2
	s_add_i32 s9, s9, s11
	s_cmp_lt_i32 s10, 31
	s_cselect_b32 s9, s9, 0x7c00
	s_cmp_lg_u32 s8, 0
	s_movk_i32 s8, 0x7e00
	s_load_dword s91, s[34:35], 0x118
	s_cselect_b32 s8, s8, 0x7c00
	s_cmpk_eq_i32 s10, 0x40f
	s_load_dwordx2 s[62:63], s[34:35], 0x14
	s_load_dwordx4 s[20:23], s[34:35], 0x4
	v_cvt_u32_f64_e32 v14, s[18:19]
	v_cvt_u32_f64_e32 v1, v[3:4]
	s_cselect_b32 s8, s8, s9
	s_lshr_b32 s9, s19, 16
	v_cvt_i32_f64_e32 v5, v[3:4]
	v_cvt_i32_f64_e32 v8, s[18:19]
	s_and_b32 s9, s9, 0x8000
	s_or_b32 s81, s9, s8
	s_mov_b64 s[72:73], 0
	s_and_b32 s82, s81, 0xffff
	v_mov_b32_e32 v4, v0
	v_cmp_gt_i32_e32 vcc, s92, v9
	s_mov_b64 s[10:11], -1
	s_mov_b64 s[66:67], 0
	s_and_saveexec_b64 s[68:69], vcc
	s_cbranch_execz .LBB47_114
; %bb.2:
	s_andn2_b64 vcc, exec, s[36:37]
	s_cbranch_vccnz .LBB47_7
; %bb.3:
	s_andn2_b64 vcc, exec, s[64:65]
	s_cbranch_vccnz .LBB47_8
; %bb.4:
	s_add_i32 s75, s93, 1
	s_cmp_eq_u32 s80, 2
	s_cbranch_scc1 .LBB47_9
; %bb.5:
	s_and_b32 s74, s75, 28
	s_mov_b32 s76, 0
	v_mov_b32_e32 v6, 0
	s_mov_b64 s[66:67], s[34:35]
	s_mov_b64 s[70:71], s[60:61]
	v_mov_b32_e32 v3, v9
.LBB47_6:                               ; =>This Inner Loop Header: Depth=1
	s_load_dwordx8 s[8:15], s[66:67], 0x4
	s_load_dwordx4 s[24:27], s[66:67], 0x24
	s_load_dwordx4 s[28:31], s[70:71], 0x0
	s_add_u32 s66, s66, 48
	s_addc_u32 s67, s67, 0
	s_waitcnt lgkmcnt(0)
	v_mul_hi_u32 v7, s9, v3
	s_add_i32 s76, s76, 4
	s_add_u32 s70, s70, 16
	s_addc_u32 s71, s71, 0
	v_add_u32_e32 v7, v3, v7
	v_lshrrev_b32_e32 v7, s10, v7
	v_mul_lo_u32 v17, v7, s8
	v_mul_hi_u32 v18, s12, v7
	s_cmp_lg_u32 s74, s76
	v_sub_u32_e32 v3, v3, v17
	v_add_u32_e32 v17, v7, v18
	v_lshrrev_b32_e32 v17, s13, v17
	v_mul_lo_u32 v18, v3, s28
	v_mul_hi_u32 v3, s15, v17
	v_mul_lo_u32 v20, v17, s11
	v_add_u32_e32 v3, v17, v3
	v_lshrrev_b32_e32 v19, s24, v3
	v_mul_hi_u32 v3, s26, v19
	v_sub_u32_e32 v7, v7, v20
	v_mul_lo_u32 v20, v19, s14
	v_mul_lo_u32 v7, v7, s29
	v_add_u32_e32 v3, v19, v3
	v_lshrrev_b32_e32 v3, s27, v3
	v_mul_lo_u32 v21, v3, s25
	v_sub_u32_e32 v17, v17, v20
	v_mul_lo_u32 v17, v17, s30
	v_add3_u32 v6, v18, v6, v7
	v_sub_u32_e32 v19, v19, v21
	v_mul_lo_u32 v19, v19, s31
	v_add3_u32 v6, v17, v6, v19
	s_cbranch_scc1 .LBB47_6
	s_branch .LBB47_10
.LBB47_7:
                                        ; implicit-def: $vgpr6
	s_branch .LBB47_14
.LBB47_8:
	v_mov_b32_e32 v6, 0
	s_branch .LBB47_13
.LBB47_9:
	v_mov_b32_e32 v6, 0
	s_mov_b32 s74, 0
	v_mov_b32_e32 v3, v9
.LBB47_10:
	s_and_b32 s12, s75, 3
	s_cmp_eq_u32 s12, 0
	s_cbranch_scc1 .LBB47_13
; %bb.11:
	s_lshl_b32 s8, s74, 2
	s_add_u32 s8, s34, s8
	s_addc_u32 s9, s35, 0
	s_add_u32 s8, s8, 0xc4
	s_addc_u32 s9, s9, 0
	s_mul_i32 s10, s74, 12
	s_add_u32 s10, s34, s10
	s_addc_u32 s11, s35, 0
.LBB47_12:                              ; =>This Inner Loop Header: Depth=1
	s_load_dwordx2 s[14:15], s[10:11], 0x4
	s_load_dword s13, s[10:11], 0xc
	s_add_u32 s10, s10, 12
	s_addc_u32 s11, s11, 0
	s_waitcnt lgkmcnt(0)
	v_mul_hi_u32 v7, s15, v3
	s_load_dword s15, s[8:9], 0x0
	s_add_u32 s8, s8, 4
	s_addc_u32 s9, s9, 0
	v_add_u32_e32 v7, v3, v7
	v_lshrrev_b32_e32 v17, s13, v7
	v_mul_lo_u32 v7, v17, s14
	s_add_i32 s12, s12, -1
	s_cmp_lg_u32 s12, 0
	v_sub_u32_e32 v3, v3, v7
	s_waitcnt lgkmcnt(0)
	v_mad_u64_u32 v[6:7], s[14:15], v3, s15, v[6:7]
	v_mov_b32_e32 v3, v17
	s_cbranch_scc1 .LBB47_12
.LBB47_13:
	s_cbranch_execnz .LBB47_16
.LBB47_14:
	s_waitcnt lgkmcnt(0)
	v_mul_hi_u32 v3, s21, v9
	s_andn2_b64 vcc, exec, s[58:59]
	v_add_u32_e32 v3, v9, v3
	v_lshrrev_b32_e32 v3, s22, v3
	v_mul_lo_u32 v6, v3, s20
	v_sub_u32_e32 v6, v9, v6
	v_mul_lo_u32 v6, v6, s56
	s_cbranch_vccnz .LBB47_16
; %bb.15:
	v_mul_hi_u32 v7, s62, v3
	v_add_u32_e32 v7, v3, v7
	v_lshrrev_b32_e32 v7, s63, v7
	v_mul_lo_u32 v7, v7, s23
	v_sub_u32_e32 v3, v3, v7
	v_mad_u64_u32 v[6:7], s[8:9], v3, s57, v[6:7]
.LBB47_16:
	v_mov_b32_e32 v3, s17
	s_waitcnt lgkmcnt(0)
	s_and_b32 s14, s91, 0xff
	v_add_co_u32_e32 v6, vcc, s16, v6
	s_cmp_lt_i32 s14, 11
	v_addc_co_u32_e32 v7, vcc, 0, v3, vcc
	s_cbranch_scc1 .LBB47_23
; %bb.17:
	s_and_b32 s15, 0xffff, s14
	s_cmp_gt_i32 s15, 25
	s_cbranch_scc0 .LBB47_26
; %bb.18:
	s_cmp_gt_i32 s15, 28
	s_cbranch_scc0 .LBB47_27
; %bb.19:
	;; [unrolled: 3-line block ×4, first 2 shown]
	s_mov_b64 s[12:13], 0
	s_mov_b64 s[8:9], -1
	s_cmp_eq_u32 s15, 46
	s_mov_b64 s[10:11], 0
	s_cbranch_scc0 .LBB47_30
; %bb.22:
	global_store_dword v[6:7], v12, off
	s_mov_b64 s[10:11], -1
	s_mov_b64 s[8:9], 0
	s_branch .LBB47_30
.LBB47_23:
	s_mov_b64 s[8:9], 0
	s_mov_b64 s[10:11], 0
	s_cbranch_execnz .LBB47_74
.LBB47_24:
	s_andn2_b64 vcc, exec, s[10:11]
	s_cbranch_vccnz .LBB47_112
.LBB47_25:
	v_add_u32_e32 v9, 0x80, v9
	s_mov_b64 s[10:11], -1
	s_branch .LBB47_113
.LBB47_26:
	s_mov_b64 s[8:9], 0
	s_mov_b64 s[10:11], 0
	s_cbranch_execnz .LBB47_52
	s_branch .LBB47_73
.LBB47_27:
	s_mov_b64 s[12:13], -1
	s_mov_b64 s[8:9], 0
	s_mov_b64 s[10:11], 0
	s_branch .LBB47_38
.LBB47_28:
	s_mov_b64 s[12:13], -1
	s_mov_b64 s[8:9], 0
	s_mov_b64 s[10:11], 0
	s_branch .LBB47_34
.LBB47_29:
	s_mov_b64 s[12:13], -1
	s_mov_b64 s[8:9], 0
	s_mov_b64 s[10:11], 0
.LBB47_30:
	s_and_b64 vcc, exec, s[12:13]
	s_cbranch_vccz .LBB47_33
; %bb.31:
	s_cmp_eq_u32 s15, 44
	s_mov_b64 s[8:9], -1
	s_cbranch_scc0 .LBB47_33
; %bb.32:
	v_mov_b32_e32 v3, 0xffff
	v_cndmask_b32_e64 v3, v16, v3, s[4:5]
	global_store_byte v[6:7], v3, off
	s_mov_b64 s[10:11], -1
	s_mov_b64 s[8:9], 0
.LBB47_33:
	s_mov_b64 s[12:13], 0
.LBB47_34:
	s_and_b64 vcc, exec, s[12:13]
	s_cbranch_vccz .LBB47_37
; %bb.35:
	s_cmp_eq_u32 s15, 29
	s_mov_b64 s[8:9], -1
	s_cbranch_scc0 .LBB47_37
; %bb.36:
	global_store_dwordx2 v[6:7], v[0:1], off
	s_mov_b64 s[10:11], -1
	s_mov_b64 s[8:9], 0
.LBB47_37:
	s_mov_b64 s[12:13], 0
.LBB47_38:
	s_and_b64 vcc, exec, s[12:13]
	s_cbranch_vccz .LBB47_51
; %bb.39:
	s_cmp_lt_i32 s15, 27
	s_mov_b64 s[10:11], -1
	s_cbranch_scc1 .LBB47_45
; %bb.40:
	s_cmp_gt_i32 s15, 27
	s_cbranch_scc0 .LBB47_42
; %bb.41:
	s_mov_b64 s[10:11], 0
	global_store_dword v[6:7], v14, off
.LBB47_42:
	s_andn2_b64 vcc, exec, s[10:11]
	s_cbranch_vccnz .LBB47_44
; %bb.43:
	global_store_short v[6:7], v14, off
.LBB47_44:
	s_mov_b64 s[10:11], 0
.LBB47_45:
	s_andn2_b64 vcc, exec, s[10:11]
	s_cbranch_vccnz .LBB47_50
; %bb.46:
	s_andn2_b64 vcc, exec, s[52:53]
	v_mov_b32_e32 v3, 0x80
	s_cbranch_vccnz .LBB47_49
; %bb.47:
	s_or_b64 s[10:11], s[2:3], s[54:55]
	s_andn2_b64 vcc, exec, s[10:11]
	v_mov_b32_e32 v3, 0
	s_cbranch_vccnz .LBB47_49
; %bb.48:
	v_mov_b32_e32 v3, s90
	v_cndmask_b32_e64 v3, v15, v3, s[2:3]
	v_or_b32_e32 v3, v3, v11
.LBB47_49:
	global_store_byte v[6:7], v3, off
.LBB47_50:
	s_mov_b64 s[10:11], -1
.LBB47_51:
	s_branch .LBB47_73
.LBB47_52:
	s_cmp_gt_i32 s15, 22
	s_mov_b64 s[12:13], -1
	s_cbranch_scc0 .LBB47_65
; %bb.53:
	s_cmp_lt_i32 s15, 24
	s_mov_b64 s[10:11], -1
	s_cbranch_scc1 .LBB47_62
; %bb.54:
	s_cmp_gt_i32 s15, 24
	s_cbranch_scc0 .LBB47_59
; %bb.55:
	s_andn2_b64 vcc, exec, s[48:49]
	v_mov_b32_e32 v3, 0x80
	s_cbranch_vccnz .LBB47_58
; %bb.56:
	s_or_b64 s[10:11], s[0:1], s[50:51]
	s_andn2_b64 vcc, exec, s[10:11]
	v_mov_b32_e32 v3, 0
	s_cbranch_vccnz .LBB47_58
; %bb.57:
	v_mov_b32_e32 v3, s88
	v_cndmask_b32_e64 v3, v13, v3, s[0:1]
	v_or_b32_e32 v3, v3, v11
.LBB47_58:
	s_mov_b64 s[10:11], 0
	global_store_byte v[6:7], v3, off
.LBB47_59:
	s_and_b64 vcc, exec, s[10:11]
	s_cbranch_vccz .LBB47_61
; %bb.60:
	s_and_b64 s[10:11], s[46:47], exec
	s_cselect_b32 s12, s87, s86
	s_and_b64 s[10:11], s[44:45], exec
	s_cselect_b32 s10, s89, s12
	v_or_b32_e32 v3, s10, v11
	global_store_byte v[6:7], v3, off
.LBB47_61:
	s_mov_b64 s[10:11], 0
.LBB47_62:
	s_andn2_b64 vcc, exec, s[10:11]
	s_cbranch_vccnz .LBB47_64
; %bb.63:
	s_and_b64 s[10:11], s[42:43], exec
	s_cselect_b32 s12, s84, s83
	s_and_b64 s[10:11], s[40:41], exec
	s_cselect_b32 s10, s85, s12
	v_or_b32_e32 v3, s10, v11
	global_store_byte v[6:7], v3, off
.LBB47_64:
	s_mov_b64 s[12:13], 0
	s_mov_b64 s[10:11], -1
.LBB47_65:
	s_andn2_b64 vcc, exec, s[12:13]
	s_cbranch_vccnz .LBB47_73
; %bb.66:
	s_cmp_gt_i32 s15, 14
	s_mov_b64 s[12:13], -1
	s_cbranch_scc0 .LBB47_70
; %bb.67:
	s_cmp_eq_u32 s15, 15
	s_mov_b64 s[8:9], -1
	s_cbranch_scc0 .LBB47_69
; %bb.68:
	global_store_short v[6:7], v12, off
	s_mov_b64 s[10:11], -1
	s_mov_b64 s[8:9], 0
.LBB47_69:
	s_mov_b64 s[12:13], 0
.LBB47_70:
	s_and_b64 vcc, exec, s[12:13]
	s_cbranch_vccz .LBB47_73
; %bb.71:
	s_cmp_eq_u32 s15, 11
	s_mov_b64 s[8:9], -1
	s_cbranch_scc0 .LBB47_73
; %bb.72:
	s_mov_b64 s[10:11], -1
	s_mov_b64 s[8:9], 0
	global_store_byte v[6:7], v10, off
.LBB47_73:
	s_branch .LBB47_24
.LBB47_74:
	s_and_b32 s12, 0xffff, s14
	s_cmp_lt_i32 s12, 5
	s_mov_b64 s[10:11], -1
	s_cbranch_scc1 .LBB47_95
; %bb.75:
	s_cmp_lt_i32 s12, 8
	s_cbranch_scc1 .LBB47_85
; %bb.76:
	s_cmp_lt_i32 s12, 9
	s_cbranch_scc1 .LBB47_82
; %bb.77:
	s_cmp_gt_i32 s12, 9
	s_cbranch_scc0 .LBB47_79
; %bb.78:
	v_mov_b32_e32 v19, 0
	v_mov_b32_e32 v17, s18
	;; [unrolled: 1-line block ×4, first 2 shown]
	global_store_dwordx4 v[6:7], v[17:20], off
	s_mov_b64 s[10:11], 0
.LBB47_79:
	s_andn2_b64 vcc, exec, s[10:11]
	s_cbranch_vccnz .LBB47_81
; %bb.80:
	v_mov_b32_e32 v3, 0
	global_store_dwordx2 v[6:7], v[2:3], off
.LBB47_81:
	s_mov_b64 s[10:11], 0
.LBB47_82:
	s_andn2_b64 vcc, exec, s[10:11]
	s_cbranch_vccnz .LBB47_84
; %bb.83:
	v_mov_b32_e32 v3, s82
	global_store_dword v[6:7], v3, off
.LBB47_84:
	s_mov_b64 s[10:11], 0
.LBB47_85:
	s_andn2_b64 vcc, exec, s[10:11]
	s_cbranch_vccnz .LBB47_94
; %bb.86:
	s_cmp_lt_i32 s12, 6
	s_mov_b64 s[10:11], -1
	s_cbranch_scc1 .LBB47_92
; %bb.87:
	s_cmp_gt_i32 s12, 6
	s_cbranch_scc0 .LBB47_89
; %bb.88:
	v_mov_b32_e32 v17, s18
	v_mov_b32_e32 v18, s19
	global_store_dwordx2 v[6:7], v[17:18], off
	s_mov_b64 s[10:11], 0
.LBB47_89:
	s_andn2_b64 vcc, exec, s[10:11]
	s_cbranch_vccnz .LBB47_91
; %bb.90:
	global_store_dword v[6:7], v2, off
.LBB47_91:
	s_mov_b64 s[10:11], 0
.LBB47_92:
	s_andn2_b64 vcc, exec, s[10:11]
	s_cbranch_vccnz .LBB47_94
; %bb.93:
	v_mov_b32_e32 v3, s81
	global_store_short v[6:7], v3, off
.LBB47_94:
	s_mov_b64 s[10:11], 0
.LBB47_95:
	s_andn2_b64 vcc, exec, s[10:11]
	s_cbranch_vccnz .LBB47_111
; %bb.96:
	s_cmp_lt_i32 s12, 2
	s_mov_b64 s[10:11], -1
	s_cbranch_scc1 .LBB47_106
; %bb.97:
	s_cmp_lt_i32 s12, 3
	s_cbranch_scc1 .LBB47_103
; %bb.98:
	s_cmp_gt_i32 s12, 3
	s_cbranch_scc0 .LBB47_100
; %bb.99:
	global_store_dwordx2 v[6:7], v[4:5], off
	s_mov_b64 s[10:11], 0
.LBB47_100:
	s_andn2_b64 vcc, exec, s[10:11]
	s_cbranch_vccnz .LBB47_102
; %bb.101:
	global_store_dword v[6:7], v8, off
.LBB47_102:
	s_mov_b64 s[10:11], 0
.LBB47_103:
	s_andn2_b64 vcc, exec, s[10:11]
	s_cbranch_vccnz .LBB47_105
; %bb.104:
	global_store_short v[6:7], v8, off
.LBB47_105:
	s_mov_b64 s[10:11], 0
.LBB47_106:
	s_andn2_b64 vcc, exec, s[10:11]
	s_cbranch_vccnz .LBB47_111
; %bb.107:
	s_cmp_gt_i32 s12, 0
	s_mov_b64 s[10:11], -1
	s_cbranch_scc0 .LBB47_109
; %bb.108:
	global_store_byte v[6:7], v8, off
	s_mov_b64 s[10:11], 0
.LBB47_109:
	s_andn2_b64 vcc, exec, s[10:11]
	s_cbranch_vccnz .LBB47_111
; %bb.110:
	global_store_byte v[6:7], v0, off
.LBB47_111:
	s_branch .LBB47_25
.LBB47_112:
	s_mov_b64 s[10:11], 0
                                        ; implicit-def: $vgpr9
.LBB47_113:
	s_and_b64 s[66:67], s[8:9], exec
	s_orn2_b64 s[10:11], s[10:11], exec
.LBB47_114:
	s_or_b64 exec, exec, s[68:69]
	s_mov_b64 s[8:9], 0
                                        ; implicit-def: $sgpr24
                                        ; implicit-def: $vgpr6_vgpr7
	s_and_saveexec_b64 s[68:69], s[10:11]
	s_cbranch_execz .LBB47_121
; %bb.115:
	v_cmp_gt_i32_e32 vcc, s92, v9
	s_mov_b64 s[8:9], -1
	s_mov_b64 s[70:71], s[66:67]
	s_and_saveexec_b64 s[72:73], vcc
	s_cbranch_execz .LBB47_232
; %bb.116:
	s_andn2_b64 vcc, exec, s[36:37]
	s_cbranch_vccnz .LBB47_124
; %bb.117:
	s_andn2_b64 vcc, exec, s[64:65]
	s_cbranch_vccnz .LBB47_125
; %bb.118:
	s_add_i32 s77, s93, 1
	s_cmp_eq_u32 s80, 2
	s_cbranch_scc1 .LBB47_126
; %bb.119:
	s_and_b32 s76, s77, 28
	s_mov_b32 s78, 0
	v_mov_b32_e32 v6, 0
	s_mov_b64 s[70:71], s[34:35]
	s_mov_b64 s[74:75], s[60:61]
	v_mov_b32_e32 v3, v9
.LBB47_120:                             ; =>This Inner Loop Header: Depth=1
	s_load_dwordx8 s[8:15], s[70:71], 0x4
	s_load_dwordx4 s[24:27], s[70:71], 0x24
	s_load_dwordx4 s[28:31], s[74:75], 0x0
	s_add_u32 s70, s70, 48
	s_addc_u32 s71, s71, 0
	s_waitcnt lgkmcnt(0)
	v_mul_hi_u32 v7, s9, v3
	s_add_i32 s78, s78, 4
	s_add_u32 s74, s74, 16
	s_addc_u32 s75, s75, 0
	v_add_u32_e32 v7, v3, v7
	v_lshrrev_b32_e32 v7, s10, v7
	v_mul_lo_u32 v17, v7, s8
	v_mul_hi_u32 v18, s12, v7
	s_cmp_eq_u32 s76, s78
	v_sub_u32_e32 v3, v3, v17
	v_add_u32_e32 v17, v7, v18
	v_lshrrev_b32_e32 v17, s13, v17
	v_mul_lo_u32 v18, v3, s28
	v_mul_hi_u32 v3, s15, v17
	v_mul_lo_u32 v20, v17, s11
	v_add_u32_e32 v3, v17, v3
	v_lshrrev_b32_e32 v19, s24, v3
	v_mul_hi_u32 v3, s26, v19
	v_sub_u32_e32 v7, v7, v20
	v_mul_lo_u32 v20, v19, s14
	v_mul_lo_u32 v7, v7, s29
	v_add_u32_e32 v3, v19, v3
	v_lshrrev_b32_e32 v3, s27, v3
	v_mul_lo_u32 v21, v3, s25
	v_sub_u32_e32 v17, v17, v20
	v_mul_lo_u32 v17, v17, s30
	v_add3_u32 v6, v18, v6, v7
	v_sub_u32_e32 v19, v19, v21
	v_mul_lo_u32 v19, v19, s31
	v_add3_u32 v6, v17, v6, v19
	s_cbranch_scc0 .LBB47_120
	s_branch .LBB47_127
.LBB47_121:
	s_or_b64 exec, exec, s[68:69]
	s_mov_b64 s[0:1], 0
	s_and_saveexec_b64 s[2:3], s[66:67]
	s_cbranch_execnz .LBB47_422
.LBB47_122:
	s_or_b64 exec, exec, s[2:3]
	s_and_saveexec_b64 s[2:3], s[72:73]
	s_xor_b64 s[2:3], exec, s[2:3]
	s_cbranch_execz .LBB47_423
.LBB47_123:
	global_store_byte v[6:7], v10, off
	s_or_b64 exec, exec, s[2:3]
	s_and_saveexec_b64 s[2:3], s[8:9]
	s_xor_b64 s[2:3], exec, s[2:3]
	s_cbranch_execz .LBB47_461
	s_branch .LBB47_424
.LBB47_124:
                                        ; implicit-def: $vgpr6
	s_andn2_b64 vcc, exec, s[8:9]
	s_cbranch_vccz .LBB47_131
	s_branch .LBB47_133
.LBB47_125:
	v_mov_b32_e32 v6, 0
	s_branch .LBB47_130
.LBB47_126:
	v_mov_b32_e32 v6, 0
	s_mov_b32 s76, 0
	v_mov_b32_e32 v3, v9
.LBB47_127:
	s_and_b32 s12, s77, 3
	s_cmp_eq_u32 s12, 0
	s_cbranch_scc1 .LBB47_130
; %bb.128:
	s_lshl_b32 s8, s76, 2
	s_add_u32 s8, s34, s8
	s_addc_u32 s9, s35, 0
	s_add_u32 s8, s8, 0xc4
	s_addc_u32 s9, s9, 0
	s_mul_i32 s10, s76, 12
	s_add_u32 s10, s34, s10
	s_addc_u32 s11, s35, 0
.LBB47_129:                             ; =>This Inner Loop Header: Depth=1
	s_load_dwordx2 s[14:15], s[10:11], 0x4
	s_load_dword s13, s[10:11], 0xc
	s_add_u32 s10, s10, 12
	s_addc_u32 s11, s11, 0
	s_waitcnt lgkmcnt(0)
	v_mul_hi_u32 v7, s15, v3
	s_load_dword s15, s[8:9], 0x0
	s_add_u32 s8, s8, 4
	s_addc_u32 s9, s9, 0
	v_add_u32_e32 v7, v3, v7
	v_lshrrev_b32_e32 v17, s13, v7
	v_mul_lo_u32 v7, v17, s14
	s_add_i32 s12, s12, -1
	s_cmp_lg_u32 s12, 0
	v_sub_u32_e32 v3, v3, v7
	s_waitcnt lgkmcnt(0)
	v_mad_u64_u32 v[6:7], s[14:15], v3, s15, v[6:7]
	v_mov_b32_e32 v3, v17
	s_cbranch_scc1 .LBB47_129
.LBB47_130:
	s_cbranch_execnz .LBB47_133
.LBB47_131:
	s_waitcnt lgkmcnt(0)
	v_mul_hi_u32 v3, s21, v9
	s_andn2_b64 vcc, exec, s[58:59]
	v_add_u32_e32 v3, v9, v3
	v_lshrrev_b32_e32 v3, s22, v3
	v_mul_lo_u32 v6, v3, s20
	v_sub_u32_e32 v6, v9, v6
	v_mul_lo_u32 v6, v6, s56
	s_cbranch_vccnz .LBB47_133
; %bb.132:
	v_mul_hi_u32 v7, s62, v3
	v_add_u32_e32 v7, v3, v7
	v_lshrrev_b32_e32 v7, s63, v7
	v_mul_lo_u32 v7, v7, s23
	v_sub_u32_e32 v3, v3, v7
	v_mad_u64_u32 v[6:7], s[8:9], v3, s57, v[6:7]
.LBB47_133:
	v_mov_b32_e32 v3, s17
	s_waitcnt lgkmcnt(0)
	s_and_b32 s14, s91, 0xff
	v_add_co_u32_e32 v6, vcc, s16, v6
	s_cmp_lt_i32 s14, 11
	v_addc_co_u32_e32 v7, vcc, 0, v3, vcc
	s_cbranch_scc1 .LBB47_140
; %bb.134:
	s_and_b32 s15, 0xffff, s14
	s_cmp_gt_i32 s15, 25
	s_cbranch_scc0 .LBB47_143
; %bb.135:
	s_cmp_gt_i32 s15, 28
	s_cbranch_scc0 .LBB47_144
; %bb.136:
	;; [unrolled: 3-line block ×4, first 2 shown]
	s_mov_b64 s[12:13], 0
	s_mov_b64 s[8:9], -1
	s_cmp_eq_u32 s15, 46
	s_mov_b64 s[10:11], 0
	s_cbranch_scc0 .LBB47_147
; %bb.139:
	global_store_dword v[6:7], v12, off
	s_mov_b64 s[10:11], -1
	s_mov_b64 s[8:9], 0
	s_branch .LBB47_147
.LBB47_140:
	s_mov_b64 s[10:11], 0
	s_mov_b64 s[8:9], s[66:67]
	s_cbranch_execnz .LBB47_192
.LBB47_141:
	s_andn2_b64 vcc, exec, s[10:11]
	s_cbranch_vccnz .LBB47_230
.LBB47_142:
	v_add_u32_e32 v9, 0x80, v9
	s_mov_b64 s[10:11], -1
	s_branch .LBB47_231
.LBB47_143:
	s_mov_b64 s[12:13], -1
	s_mov_b64 s[10:11], 0
	s_mov_b64 s[8:9], s[66:67]
	s_branch .LBB47_169
.LBB47_144:
	s_mov_b64 s[12:13], -1
	s_mov_b64 s[10:11], 0
	s_mov_b64 s[8:9], s[66:67]
	s_branch .LBB47_155
.LBB47_145:
	s_mov_b64 s[12:13], -1
	s_mov_b64 s[10:11], 0
	s_mov_b64 s[8:9], s[66:67]
	s_branch .LBB47_151
.LBB47_146:
	s_mov_b64 s[12:13], -1
	s_mov_b64 s[10:11], 0
	s_mov_b64 s[8:9], s[66:67]
.LBB47_147:
	s_and_b64 vcc, exec, s[12:13]
	s_cbranch_vccz .LBB47_150
; %bb.148:
	s_cmp_eq_u32 s15, 44
	s_mov_b64 s[8:9], -1
	s_cbranch_scc0 .LBB47_150
; %bb.149:
	v_mov_b32_e32 v3, 0xffff
	v_cndmask_b32_e64 v3, v16, v3, s[4:5]
	s_mov_b64 s[10:11], -1
	s_mov_b64 s[8:9], 0
	global_store_byte v[6:7], v3, off
.LBB47_150:
	s_mov_b64 s[12:13], 0
.LBB47_151:
	s_and_b64 vcc, exec, s[12:13]
	s_cbranch_vccz .LBB47_154
; %bb.152:
	s_cmp_eq_u32 s15, 29
	s_mov_b64 s[8:9], -1
	s_cbranch_scc0 .LBB47_154
; %bb.153:
	global_store_dwordx2 v[6:7], v[0:1], off
	s_mov_b64 s[10:11], -1
	s_mov_b64 s[8:9], 0
.LBB47_154:
	s_mov_b64 s[12:13], 0
.LBB47_155:
	s_and_b64 vcc, exec, s[12:13]
	s_cbranch_vccz .LBB47_168
; %bb.156:
	s_cmp_lt_i32 s15, 27
	s_mov_b64 s[10:11], -1
	s_cbranch_scc1 .LBB47_162
; %bb.157:
	s_cmp_gt_i32 s15, 27
	s_cbranch_scc0 .LBB47_159
; %bb.158:
	s_mov_b64 s[10:11], 0
	global_store_dword v[6:7], v14, off
.LBB47_159:
	s_andn2_b64 vcc, exec, s[10:11]
	s_cbranch_vccnz .LBB47_161
; %bb.160:
	global_store_short v[6:7], v14, off
.LBB47_161:
	s_mov_b64 s[10:11], 0
.LBB47_162:
	s_andn2_b64 vcc, exec, s[10:11]
	s_cbranch_vccnz .LBB47_167
; %bb.163:
	s_andn2_b64 vcc, exec, s[52:53]
	v_mov_b32_e32 v3, 0x80
	s_cbranch_vccnz .LBB47_166
; %bb.164:
	s_or_b64 s[10:11], s[2:3], s[54:55]
	s_andn2_b64 vcc, exec, s[10:11]
	v_mov_b32_e32 v3, 0
	s_cbranch_vccnz .LBB47_166
; %bb.165:
	v_mov_b32_e32 v3, s90
	v_cndmask_b32_e64 v3, v15, v3, s[2:3]
	v_or_b32_e32 v3, v3, v11
.LBB47_166:
	global_store_byte v[6:7], v3, off
.LBB47_167:
	s_mov_b64 s[10:11], -1
.LBB47_168:
	s_mov_b64 s[12:13], 0
.LBB47_169:
	s_and_b64 vcc, exec, s[12:13]
	s_cbranch_vccz .LBB47_191
; %bb.170:
	s_cmp_gt_i32 s15, 22
	s_mov_b64 s[12:13], -1
	s_cbranch_scc0 .LBB47_183
; %bb.171:
	s_cmp_lt_i32 s15, 24
	s_mov_b64 s[10:11], -1
	s_cbranch_scc1 .LBB47_180
; %bb.172:
	s_cmp_gt_i32 s15, 24
	s_cbranch_scc0 .LBB47_177
; %bb.173:
	s_andn2_b64 vcc, exec, s[48:49]
	v_mov_b32_e32 v3, 0x80
	s_cbranch_vccnz .LBB47_176
; %bb.174:
	s_or_b64 s[10:11], s[0:1], s[50:51]
	s_andn2_b64 vcc, exec, s[10:11]
	v_mov_b32_e32 v3, 0
	s_cbranch_vccnz .LBB47_176
; %bb.175:
	v_mov_b32_e32 v3, s88
	v_cndmask_b32_e64 v3, v13, v3, s[0:1]
	v_or_b32_e32 v3, v3, v11
.LBB47_176:
	s_mov_b64 s[10:11], 0
	global_store_byte v[6:7], v3, off
.LBB47_177:
	s_and_b64 vcc, exec, s[10:11]
	s_cbranch_vccz .LBB47_179
; %bb.178:
	s_and_b64 s[10:11], s[46:47], exec
	s_cselect_b32 s12, s87, s86
	s_and_b64 s[10:11], s[44:45], exec
	s_cselect_b32 s10, s89, s12
	v_or_b32_e32 v3, s10, v11
	global_store_byte v[6:7], v3, off
.LBB47_179:
	s_mov_b64 s[10:11], 0
.LBB47_180:
	s_andn2_b64 vcc, exec, s[10:11]
	s_cbranch_vccnz .LBB47_182
; %bb.181:
	s_and_b64 s[10:11], s[42:43], exec
	s_cselect_b32 s12, s84, s83
	s_and_b64 s[10:11], s[40:41], exec
	s_cselect_b32 s10, s85, s12
	v_or_b32_e32 v3, s10, v11
	global_store_byte v[6:7], v3, off
.LBB47_182:
	s_mov_b64 s[12:13], 0
	s_mov_b64 s[10:11], -1
.LBB47_183:
	s_andn2_b64 vcc, exec, s[12:13]
	s_cbranch_vccnz .LBB47_191
; %bb.184:
	s_cmp_gt_i32 s15, 14
	s_mov_b64 s[12:13], -1
	s_cbranch_scc0 .LBB47_188
; %bb.185:
	s_cmp_eq_u32 s15, 15
	s_mov_b64 s[8:9], -1
	s_cbranch_scc0 .LBB47_187
; %bb.186:
	global_store_short v[6:7], v12, off
	s_mov_b64 s[10:11], -1
	s_mov_b64 s[8:9], 0
.LBB47_187:
	s_mov_b64 s[12:13], 0
.LBB47_188:
	s_and_b64 vcc, exec, s[12:13]
	s_cbranch_vccz .LBB47_191
; %bb.189:
	s_cmp_eq_u32 s15, 11
	s_mov_b64 s[8:9], -1
	s_cbranch_scc0 .LBB47_191
; %bb.190:
	s_mov_b64 s[10:11], -1
	s_mov_b64 s[8:9], 0
	global_store_byte v[6:7], v10, off
.LBB47_191:
	s_branch .LBB47_141
.LBB47_192:
	s_and_b32 s12, 0xffff, s14
	s_cmp_lt_i32 s12, 5
	s_mov_b64 s[10:11], -1
	s_cbranch_scc1 .LBB47_213
; %bb.193:
	s_cmp_lt_i32 s12, 8
	s_cbranch_scc1 .LBB47_203
; %bb.194:
	s_cmp_lt_i32 s12, 9
	s_cbranch_scc1 .LBB47_200
; %bb.195:
	s_cmp_gt_i32 s12, 9
	s_cbranch_scc0 .LBB47_197
; %bb.196:
	v_mov_b32_e32 v19, 0
	v_mov_b32_e32 v17, s18
	;; [unrolled: 1-line block ×4, first 2 shown]
	s_mov_b64 s[10:11], 0
	global_store_dwordx4 v[6:7], v[17:20], off
.LBB47_197:
	s_andn2_b64 vcc, exec, s[10:11]
	s_cbranch_vccnz .LBB47_199
; %bb.198:
	v_mov_b32_e32 v3, 0
	global_store_dwordx2 v[6:7], v[2:3], off
.LBB47_199:
	s_mov_b64 s[10:11], 0
.LBB47_200:
	s_andn2_b64 vcc, exec, s[10:11]
	s_cbranch_vccnz .LBB47_202
; %bb.201:
	v_mov_b32_e32 v3, s82
	global_store_dword v[6:7], v3, off
.LBB47_202:
	s_mov_b64 s[10:11], 0
.LBB47_203:
	s_andn2_b64 vcc, exec, s[10:11]
	s_cbranch_vccnz .LBB47_212
; %bb.204:
	s_cmp_lt_i32 s12, 6
	s_mov_b64 s[10:11], -1
	s_cbranch_scc1 .LBB47_210
; %bb.205:
	s_cmp_gt_i32 s12, 6
	s_cbranch_scc0 .LBB47_207
; %bb.206:
	v_mov_b32_e32 v17, s18
	v_mov_b32_e32 v18, s19
	s_mov_b64 s[10:11], 0
	global_store_dwordx2 v[6:7], v[17:18], off
.LBB47_207:
	s_andn2_b64 vcc, exec, s[10:11]
	s_cbranch_vccnz .LBB47_209
; %bb.208:
	global_store_dword v[6:7], v2, off
.LBB47_209:
	s_mov_b64 s[10:11], 0
.LBB47_210:
	s_andn2_b64 vcc, exec, s[10:11]
	s_cbranch_vccnz .LBB47_212
; %bb.211:
	v_mov_b32_e32 v3, s81
	global_store_short v[6:7], v3, off
.LBB47_212:
	s_mov_b64 s[10:11], 0
.LBB47_213:
	s_andn2_b64 vcc, exec, s[10:11]
	s_cbranch_vccnz .LBB47_229
; %bb.214:
	s_cmp_lt_i32 s12, 2
	s_mov_b64 s[10:11], -1
	s_cbranch_scc1 .LBB47_224
; %bb.215:
	s_cmp_lt_i32 s12, 3
	s_cbranch_scc1 .LBB47_221
; %bb.216:
	s_cmp_gt_i32 s12, 3
	s_cbranch_scc0 .LBB47_218
; %bb.217:
	s_mov_b64 s[10:11], 0
	global_store_dwordx2 v[6:7], v[4:5], off
.LBB47_218:
	s_andn2_b64 vcc, exec, s[10:11]
	s_cbranch_vccnz .LBB47_220
; %bb.219:
	global_store_dword v[6:7], v8, off
.LBB47_220:
	s_mov_b64 s[10:11], 0
.LBB47_221:
	s_andn2_b64 vcc, exec, s[10:11]
	s_cbranch_vccnz .LBB47_223
; %bb.222:
	global_store_short v[6:7], v8, off
.LBB47_223:
	s_mov_b64 s[10:11], 0
.LBB47_224:
	s_andn2_b64 vcc, exec, s[10:11]
	s_cbranch_vccnz .LBB47_229
; %bb.225:
	s_cmp_gt_i32 s12, 0
	s_mov_b64 s[10:11], -1
	s_cbranch_scc0 .LBB47_227
; %bb.226:
	s_mov_b64 s[10:11], 0
	global_store_byte v[6:7], v8, off
.LBB47_227:
	s_andn2_b64 vcc, exec, s[10:11]
	s_cbranch_vccnz .LBB47_229
; %bb.228:
	global_store_byte v[6:7], v0, off
.LBB47_229:
	s_branch .LBB47_142
.LBB47_230:
	s_mov_b64 s[10:11], 0
                                        ; implicit-def: $vgpr9
.LBB47_231:
	s_andn2_b64 s[12:13], s[66:67], exec
	s_and_b64 s[8:9], s[8:9], exec
	s_or_b64 s[70:71], s[12:13], s[8:9]
	s_orn2_b64 s[8:9], s[10:11], exec
.LBB47_232:
	s_or_b64 exec, exec, s[72:73]
	s_mov_b64 s[10:11], 0
	s_mov_b64 s[12:13], 0
                                        ; implicit-def: $sgpr24
                                        ; implicit-def: $vgpr6_vgpr7
	s_and_saveexec_b64 s[72:73], s[8:9]
	s_cbranch_execz .LBB47_421
; %bb.233:
	v_cmp_gt_i32_e32 vcc, s92, v9
	s_mov_b64 s[10:11], -1
	s_mov_b64 s[76:77], s[70:71]
	s_and_saveexec_b64 s[74:75], vcc
	s_cbranch_execz .LBB47_349
; %bb.234:
	s_andn2_b64 vcc, exec, s[36:37]
	s_cbranch_vccnz .LBB47_239
; %bb.235:
	s_andn2_b64 vcc, exec, s[64:65]
	s_cbranch_vccnz .LBB47_240
; %bb.236:
	s_add_i32 s95, s93, 1
	s_cmp_eq_u32 s80, 2
	s_cbranch_scc1 .LBB47_241
; %bb.237:
	s_and_b32 s94, s95, 28
	s_mov_b32 vcc_lo, 0
	v_mov_b32_e32 v6, 0
	s_mov_b64 s[76:77], s[34:35]
	s_mov_b64 s[78:79], s[60:61]
	v_mov_b32_e32 v3, v9
.LBB47_238:                             ; =>This Inner Loop Header: Depth=1
	s_load_dwordx8 s[8:15], s[76:77], 0x4
	s_load_dwordx4 s[24:27], s[76:77], 0x24
	s_load_dwordx4 s[28:31], s[78:79], 0x0
	s_add_u32 s76, s76, 48
	s_addc_u32 s77, s77, 0
	s_waitcnt lgkmcnt(0)
	v_mul_hi_u32 v7, s9, v3
	s_add_i32 vcc_lo, vcc_lo, 4
	s_add_u32 s78, s78, 16
	s_addc_u32 s79, s79, 0
	v_add_u32_e32 v7, v3, v7
	v_lshrrev_b32_e32 v7, s10, v7
	v_mul_lo_u32 v17, v7, s8
	v_mul_hi_u32 v18, s12, v7
	s_cmp_eq_u32 s94, vcc_lo
	v_sub_u32_e32 v3, v3, v17
	v_add_u32_e32 v17, v7, v18
	v_lshrrev_b32_e32 v17, s13, v17
	v_mul_lo_u32 v18, v3, s28
	v_mul_hi_u32 v3, s15, v17
	v_mul_lo_u32 v20, v17, s11
	v_add_u32_e32 v3, v17, v3
	v_lshrrev_b32_e32 v19, s24, v3
	v_mul_hi_u32 v3, s26, v19
	v_sub_u32_e32 v7, v7, v20
	v_mul_lo_u32 v20, v19, s14
	v_mul_lo_u32 v7, v7, s29
	v_add_u32_e32 v3, v19, v3
	v_lshrrev_b32_e32 v3, s27, v3
	v_mul_lo_u32 v21, v3, s25
	v_sub_u32_e32 v17, v17, v20
	v_mul_lo_u32 v17, v17, s30
	v_add3_u32 v6, v18, v6, v7
	v_sub_u32_e32 v19, v19, v21
	v_mul_lo_u32 v19, v19, s31
	v_add3_u32 v6, v17, v6, v19
	s_cbranch_scc0 .LBB47_238
	s_branch .LBB47_242
.LBB47_239:
	s_mov_b64 s[8:9], -1
                                        ; implicit-def: $vgpr6
	s_branch .LBB47_246
.LBB47_240:
	v_mov_b32_e32 v6, 0
	s_branch .LBB47_245
.LBB47_241:
	v_mov_b32_e32 v6, 0
	s_mov_b32 s94, 0
	v_mov_b32_e32 v3, v9
.LBB47_242:
	s_and_b32 s12, s95, 3
	s_cmp_eq_u32 s12, 0
	s_cbranch_scc1 .LBB47_245
; %bb.243:
	s_lshl_b32 s8, s94, 2
	s_add_u32 s8, s34, s8
	s_addc_u32 s9, s35, 0
	s_add_u32 s8, s8, 0xc4
	s_addc_u32 s9, s9, 0
	s_mul_i32 s10, s94, 12
	s_add_u32 s10, s34, s10
	s_addc_u32 s11, s35, 0
.LBB47_244:                             ; =>This Inner Loop Header: Depth=1
	s_load_dwordx2 s[14:15], s[10:11], 0x4
	s_load_dword s13, s[10:11], 0xc
	s_add_u32 s10, s10, 12
	s_addc_u32 s11, s11, 0
	s_waitcnt lgkmcnt(0)
	v_mul_hi_u32 v7, s15, v3
	s_load_dword s15, s[8:9], 0x0
	s_add_u32 s8, s8, 4
	s_addc_u32 s9, s9, 0
	v_add_u32_e32 v7, v3, v7
	v_lshrrev_b32_e32 v17, s13, v7
	v_mul_lo_u32 v7, v17, s14
	s_add_i32 s12, s12, -1
	s_cmp_lg_u32 s12, 0
	v_sub_u32_e32 v3, v3, v7
	s_waitcnt lgkmcnt(0)
	v_mad_u64_u32 v[6:7], s[14:15], v3, s15, v[6:7]
	v_mov_b32_e32 v3, v17
	s_cbranch_scc1 .LBB47_244
.LBB47_245:
	s_mov_b64 s[8:9], 0
.LBB47_246:
	s_andn2_b64 vcc, exec, s[8:9]
	s_cbranch_vccnz .LBB47_249
; %bb.247:
	s_waitcnt lgkmcnt(0)
	v_mul_hi_u32 v3, s21, v9
	s_andn2_b64 vcc, exec, s[58:59]
	v_add_u32_e32 v3, v9, v3
	v_lshrrev_b32_e32 v3, s22, v3
	v_mul_lo_u32 v6, v3, s20
	v_sub_u32_e32 v6, v9, v6
	v_mul_lo_u32 v6, v6, s56
	s_cbranch_vccnz .LBB47_249
; %bb.248:
	v_mul_hi_u32 v7, s62, v3
	v_add_u32_e32 v7, v3, v7
	v_lshrrev_b32_e32 v7, s63, v7
	v_mul_lo_u32 v7, v7, s23
	v_sub_u32_e32 v3, v3, v7
	v_mad_u64_u32 v[6:7], s[8:9], v3, s57, v[6:7]
.LBB47_249:
	v_mov_b32_e32 v3, s17
	s_waitcnt lgkmcnt(0)
	s_and_b32 s14, s91, 0xff
	v_add_co_u32_e32 v6, vcc, s16, v6
	s_cmp_lt_i32 s14, 11
	v_addc_co_u32_e32 v7, vcc, 0, v3, vcc
	s_cbranch_scc1 .LBB47_256
; %bb.250:
	s_and_b32 s15, 0xffff, s14
	s_cmp_gt_i32 s15, 25
	s_cbranch_scc0 .LBB47_257
; %bb.251:
	s_cmp_gt_i32 s15, 28
	s_cbranch_scc0 .LBB47_258
; %bb.252:
	;; [unrolled: 3-line block ×4, first 2 shown]
	s_mov_b64 s[12:13], 0
	s_mov_b64 s[8:9], -1
	s_cmp_eq_u32 s15, 46
	s_mov_b64 s[10:11], 0
	s_cbranch_scc0 .LBB47_261
; %bb.255:
	global_store_dword v[6:7], v12, off
	s_mov_b64 s[10:11], -1
	s_mov_b64 s[8:9], 0
	s_branch .LBB47_261
.LBB47_256:
	s_mov_b64 s[12:13], -1
	s_mov_b64 s[10:11], 0
	s_mov_b64 s[8:9], s[70:71]
	s_branch .LBB47_306
.LBB47_257:
	s_mov_b64 s[12:13], -1
	s_mov_b64 s[10:11], 0
	s_mov_b64 s[8:9], s[70:71]
	s_branch .LBB47_283
.LBB47_258:
	s_mov_b64 s[12:13], -1
	s_mov_b64 s[10:11], 0
	s_mov_b64 s[8:9], s[70:71]
	s_branch .LBB47_269
.LBB47_259:
	s_mov_b64 s[12:13], -1
	s_mov_b64 s[10:11], 0
	s_mov_b64 s[8:9], s[70:71]
	s_branch .LBB47_265
.LBB47_260:
	s_mov_b64 s[12:13], -1
	s_mov_b64 s[10:11], 0
	s_mov_b64 s[8:9], s[70:71]
.LBB47_261:
	s_and_b64 vcc, exec, s[12:13]
	s_cbranch_vccz .LBB47_264
; %bb.262:
	s_cmp_eq_u32 s15, 44
	s_mov_b64 s[8:9], -1
	s_cbranch_scc0 .LBB47_264
; %bb.263:
	v_mov_b32_e32 v3, 0xffff
	v_cndmask_b32_e64 v3, v16, v3, s[4:5]
	s_mov_b64 s[10:11], -1
	s_mov_b64 s[8:9], 0
	global_store_byte v[6:7], v3, off
.LBB47_264:
	s_mov_b64 s[12:13], 0
.LBB47_265:
	s_and_b64 vcc, exec, s[12:13]
	s_cbranch_vccz .LBB47_268
; %bb.266:
	s_cmp_eq_u32 s15, 29
	s_mov_b64 s[8:9], -1
	s_cbranch_scc0 .LBB47_268
; %bb.267:
	global_store_dwordx2 v[6:7], v[0:1], off
	s_mov_b64 s[10:11], -1
	s_mov_b64 s[8:9], 0
.LBB47_268:
	s_mov_b64 s[12:13], 0
.LBB47_269:
	s_and_b64 vcc, exec, s[12:13]
	s_cbranch_vccz .LBB47_282
; %bb.270:
	s_cmp_lt_i32 s15, 27
	s_mov_b64 s[10:11], -1
	s_cbranch_scc1 .LBB47_276
; %bb.271:
	s_cmp_gt_i32 s15, 27
	s_cbranch_scc0 .LBB47_273
; %bb.272:
	s_mov_b64 s[10:11], 0
	global_store_dword v[6:7], v14, off
.LBB47_273:
	s_andn2_b64 vcc, exec, s[10:11]
	s_cbranch_vccnz .LBB47_275
; %bb.274:
	global_store_short v[6:7], v14, off
.LBB47_275:
	s_mov_b64 s[10:11], 0
.LBB47_276:
	s_andn2_b64 vcc, exec, s[10:11]
	s_cbranch_vccnz .LBB47_281
; %bb.277:
	s_andn2_b64 vcc, exec, s[52:53]
	v_mov_b32_e32 v3, 0x80
	s_cbranch_vccnz .LBB47_280
; %bb.278:
	s_or_b64 s[10:11], s[2:3], s[54:55]
	s_andn2_b64 vcc, exec, s[10:11]
	v_mov_b32_e32 v3, 0
	s_cbranch_vccnz .LBB47_280
; %bb.279:
	v_mov_b32_e32 v3, s90
	v_cndmask_b32_e64 v3, v15, v3, s[2:3]
	v_or_b32_e32 v3, v3, v11
.LBB47_280:
	global_store_byte v[6:7], v3, off
.LBB47_281:
	s_mov_b64 s[10:11], -1
.LBB47_282:
	s_mov_b64 s[12:13], 0
.LBB47_283:
	s_and_b64 vcc, exec, s[12:13]
	s_cbranch_vccz .LBB47_305
; %bb.284:
	s_cmp_gt_i32 s15, 22
	s_mov_b64 s[12:13], -1
	s_cbranch_scc0 .LBB47_297
; %bb.285:
	s_cmp_lt_i32 s15, 24
	s_mov_b64 s[10:11], -1
	s_cbranch_scc1 .LBB47_294
; %bb.286:
	s_cmp_gt_i32 s15, 24
	s_cbranch_scc0 .LBB47_291
; %bb.287:
	s_andn2_b64 vcc, exec, s[48:49]
	v_mov_b32_e32 v3, 0x80
	s_cbranch_vccnz .LBB47_290
; %bb.288:
	s_or_b64 s[10:11], s[0:1], s[50:51]
	s_andn2_b64 vcc, exec, s[10:11]
	v_mov_b32_e32 v3, 0
	s_cbranch_vccnz .LBB47_290
; %bb.289:
	v_mov_b32_e32 v3, s88
	v_cndmask_b32_e64 v3, v13, v3, s[0:1]
	v_or_b32_e32 v3, v3, v11
.LBB47_290:
	s_mov_b64 s[10:11], 0
	global_store_byte v[6:7], v3, off
.LBB47_291:
	s_and_b64 vcc, exec, s[10:11]
	s_cbranch_vccz .LBB47_293
; %bb.292:
	s_and_b64 s[10:11], s[46:47], exec
	s_cselect_b32 s12, s87, s86
	s_and_b64 s[10:11], s[44:45], exec
	s_cselect_b32 s10, s89, s12
	v_or_b32_e32 v3, s10, v11
	global_store_byte v[6:7], v3, off
.LBB47_293:
	s_mov_b64 s[10:11], 0
.LBB47_294:
	s_andn2_b64 vcc, exec, s[10:11]
	s_cbranch_vccnz .LBB47_296
; %bb.295:
	s_and_b64 s[10:11], s[42:43], exec
	s_cselect_b32 s12, s84, s83
	s_and_b64 s[10:11], s[40:41], exec
	s_cselect_b32 s10, s85, s12
	v_or_b32_e32 v3, s10, v11
	global_store_byte v[6:7], v3, off
.LBB47_296:
	s_mov_b64 s[12:13], 0
	s_mov_b64 s[10:11], -1
.LBB47_297:
	s_andn2_b64 vcc, exec, s[12:13]
	s_cbranch_vccnz .LBB47_305
; %bb.298:
	s_cmp_gt_i32 s15, 14
	s_mov_b64 s[12:13], -1
	s_cbranch_scc0 .LBB47_302
; %bb.299:
	s_cmp_eq_u32 s15, 15
	s_mov_b64 s[8:9], -1
	s_cbranch_scc0 .LBB47_301
; %bb.300:
	global_store_short v[6:7], v12, off
	s_mov_b64 s[10:11], -1
	s_mov_b64 s[8:9], 0
.LBB47_301:
	s_mov_b64 s[12:13], 0
.LBB47_302:
	s_and_b64 vcc, exec, s[12:13]
	s_cbranch_vccz .LBB47_305
; %bb.303:
	s_cmp_eq_u32 s15, 11
	s_mov_b64 s[8:9], -1
	s_cbranch_scc0 .LBB47_305
; %bb.304:
	s_mov_b64 s[10:11], -1
	s_mov_b64 s[8:9], 0
	global_store_byte v[6:7], v10, off
.LBB47_305:
	s_mov_b64 s[12:13], 0
.LBB47_306:
	s_and_b64 vcc, exec, s[12:13]
	s_cbranch_vccz .LBB47_345
; %bb.307:
	s_and_b32 s12, 0xffff, s14
	s_cmp_lt_i32 s12, 5
	s_mov_b64 s[10:11], -1
	s_cbranch_scc1 .LBB47_328
; %bb.308:
	s_cmp_lt_i32 s12, 8
	s_cbranch_scc1 .LBB47_318
; %bb.309:
	s_cmp_lt_i32 s12, 9
	s_cbranch_scc1 .LBB47_315
; %bb.310:
	s_cmp_gt_i32 s12, 9
	s_cbranch_scc0 .LBB47_312
; %bb.311:
	v_mov_b32_e32 v19, 0
	v_mov_b32_e32 v17, s18
	;; [unrolled: 1-line block ×4, first 2 shown]
	s_mov_b64 s[10:11], 0
	global_store_dwordx4 v[6:7], v[17:20], off
.LBB47_312:
	s_andn2_b64 vcc, exec, s[10:11]
	s_cbranch_vccnz .LBB47_314
; %bb.313:
	v_mov_b32_e32 v3, 0
	global_store_dwordx2 v[6:7], v[2:3], off
.LBB47_314:
	s_mov_b64 s[10:11], 0
.LBB47_315:
	s_andn2_b64 vcc, exec, s[10:11]
	s_cbranch_vccnz .LBB47_317
; %bb.316:
	v_mov_b32_e32 v3, s82
	global_store_dword v[6:7], v3, off
.LBB47_317:
	s_mov_b64 s[10:11], 0
.LBB47_318:
	s_andn2_b64 vcc, exec, s[10:11]
	s_cbranch_vccnz .LBB47_327
; %bb.319:
	s_cmp_lt_i32 s12, 6
	s_mov_b64 s[10:11], -1
	s_cbranch_scc1 .LBB47_325
; %bb.320:
	s_cmp_gt_i32 s12, 6
	s_cbranch_scc0 .LBB47_322
; %bb.321:
	v_mov_b32_e32 v17, s18
	v_mov_b32_e32 v18, s19
	s_mov_b64 s[10:11], 0
	global_store_dwordx2 v[6:7], v[17:18], off
.LBB47_322:
	s_andn2_b64 vcc, exec, s[10:11]
	s_cbranch_vccnz .LBB47_324
; %bb.323:
	global_store_dword v[6:7], v2, off
.LBB47_324:
	s_mov_b64 s[10:11], 0
.LBB47_325:
	s_andn2_b64 vcc, exec, s[10:11]
	s_cbranch_vccnz .LBB47_327
; %bb.326:
	v_mov_b32_e32 v3, s81
	global_store_short v[6:7], v3, off
.LBB47_327:
	s_mov_b64 s[10:11], 0
.LBB47_328:
	s_andn2_b64 vcc, exec, s[10:11]
	s_cbranch_vccnz .LBB47_344
; %bb.329:
	s_cmp_lt_i32 s12, 2
	s_mov_b64 s[10:11], -1
	s_cbranch_scc1 .LBB47_339
; %bb.330:
	s_cmp_lt_i32 s12, 3
	s_cbranch_scc1 .LBB47_336
; %bb.331:
	s_cmp_gt_i32 s12, 3
	s_cbranch_scc0 .LBB47_333
; %bb.332:
	s_mov_b64 s[10:11], 0
	global_store_dwordx2 v[6:7], v[4:5], off
.LBB47_333:
	s_andn2_b64 vcc, exec, s[10:11]
	s_cbranch_vccnz .LBB47_335
; %bb.334:
	global_store_dword v[6:7], v8, off
.LBB47_335:
	s_mov_b64 s[10:11], 0
.LBB47_336:
	s_andn2_b64 vcc, exec, s[10:11]
	s_cbranch_vccnz .LBB47_338
; %bb.337:
	global_store_short v[6:7], v8, off
.LBB47_338:
	s_mov_b64 s[10:11], 0
.LBB47_339:
	s_andn2_b64 vcc, exec, s[10:11]
	s_cbranch_vccnz .LBB47_344
; %bb.340:
	s_cmp_gt_i32 s12, 0
	s_mov_b64 s[10:11], -1
	s_cbranch_scc0 .LBB47_342
; %bb.341:
	s_mov_b64 s[10:11], 0
	global_store_byte v[6:7], v8, off
.LBB47_342:
	s_andn2_b64 vcc, exec, s[10:11]
	s_cbranch_vccnz .LBB47_344
; %bb.343:
	global_store_byte v[6:7], v0, off
.LBB47_344:
	s_mov_b64 s[10:11], -1
.LBB47_345:
	s_andn2_b64 vcc, exec, s[10:11]
	s_cbranch_vccnz .LBB47_347
; %bb.346:
	v_add_u32_e32 v9, 0x80, v9
	s_mov_b64 s[10:11], -1
	s_branch .LBB47_348
.LBB47_347:
	s_mov_b64 s[10:11], 0
                                        ; implicit-def: $vgpr9
.LBB47_348:
	s_andn2_b64 s[12:13], s[70:71], exec
	s_and_b64 s[8:9], s[8:9], exec
	s_or_b64 s[76:77], s[12:13], s[8:9]
	s_orn2_b64 s[10:11], s[10:11], exec
.LBB47_349:
	s_or_b64 exec, exec, s[74:75]
	s_mov_b64 s[8:9], 0
	s_mov_b64 s[14:15], 0
                                        ; implicit-def: $sgpr24
                                        ; implicit-def: $vgpr6_vgpr7
	s_and_saveexec_b64 s[74:75], s[10:11]
	s_cbranch_execz .LBB47_420
; %bb.350:
	v_cmp_gt_i32_e32 vcc, s92, v9
	s_mov_b64 s[10:11], 0
	s_mov_b64 s[12:13], s[76:77]
                                        ; implicit-def: $sgpr24
                                        ; implicit-def: $vgpr6_vgpr7
	s_and_saveexec_b64 s[78:79], vcc
	s_cbranch_execz .LBB47_419
; %bb.351:
	s_andn2_b64 vcc, exec, s[36:37]
	s_cbranch_vccnz .LBB47_356
; %bb.352:
	s_andn2_b64 vcc, exec, s[64:65]
	s_cbranch_vccnz .LBB47_357
; %bb.353:
	s_add_i32 s93, s93, 1
	s_cmp_eq_u32 s80, 2
	s_cbranch_scc1 .LBB47_358
; %bb.354:
	s_and_b32 s92, s93, 28
	s_mov_b32 s94, 0
	v_mov_b32_e32 v6, 0
	s_mov_b64 s[64:65], s[34:35]
	v_mov_b32_e32 v3, v9
.LBB47_355:                             ; =>This Inner Loop Header: Depth=1
	s_load_dwordx8 s[8:15], s[64:65], 0x4
	s_load_dwordx4 s[24:27], s[64:65], 0x24
	s_load_dwordx4 s[28:31], s[60:61], 0x0
	s_add_u32 s64, s64, 48
	s_addc_u32 s65, s65, 0
	s_waitcnt lgkmcnt(0)
	v_mul_hi_u32 v7, s9, v3
	s_add_i32 s94, s94, 4
	s_add_u32 s60, s60, 16
	s_addc_u32 s61, s61, 0
	v_add_u32_e32 v7, v3, v7
	v_lshrrev_b32_e32 v7, s10, v7
	v_mul_lo_u32 v17, v7, s8
	v_mul_hi_u32 v18, s12, v7
	s_cmp_eq_u32 s92, s94
	v_sub_u32_e32 v3, v3, v17
	v_add_u32_e32 v17, v7, v18
	v_lshrrev_b32_e32 v17, s13, v17
	v_mul_lo_u32 v18, v3, s28
	v_mul_hi_u32 v3, s15, v17
	v_mul_lo_u32 v20, v17, s11
	v_add_u32_e32 v3, v17, v3
	v_lshrrev_b32_e32 v19, s24, v3
	v_mul_hi_u32 v3, s26, v19
	v_sub_u32_e32 v7, v7, v20
	v_mul_lo_u32 v20, v19, s14
	v_mul_lo_u32 v7, v7, s29
	v_add_u32_e32 v3, v19, v3
	v_lshrrev_b32_e32 v3, s27, v3
	v_mul_lo_u32 v21, v3, s25
	v_sub_u32_e32 v17, v17, v20
	v_mul_lo_u32 v17, v17, s30
	v_add3_u32 v6, v18, v6, v7
	v_sub_u32_e32 v19, v19, v21
	v_mul_lo_u32 v19, v19, s31
	v_add3_u32 v6, v17, v6, v19
	s_cbranch_scc0 .LBB47_355
	s_branch .LBB47_359
.LBB47_356:
	s_mov_b64 s[8:9], -1
                                        ; implicit-def: $vgpr6
	s_branch .LBB47_363
.LBB47_357:
	v_mov_b32_e32 v6, 0
	s_branch .LBB47_362
.LBB47_358:
	v_mov_b32_e32 v6, 0
	s_mov_b32 s92, 0
	v_mov_b32_e32 v3, v9
.LBB47_359:
	s_and_b32 s12, s93, 3
	s_cmp_eq_u32 s12, 0
	s_cbranch_scc1 .LBB47_362
; %bb.360:
	s_lshl_b32 s8, s92, 2
	s_add_u32 s8, s34, s8
	s_addc_u32 s9, s35, 0
	s_add_u32 s8, s8, 0xc4
	s_addc_u32 s9, s9, 0
	s_mul_i32 s10, s92, 12
	s_add_u32 s10, s34, s10
	s_addc_u32 s11, s35, 0
.LBB47_361:                             ; =>This Inner Loop Header: Depth=1
	s_load_dwordx2 s[14:15], s[10:11], 0x4
	s_load_dword s13, s[10:11], 0xc
	s_add_u32 s10, s10, 12
	s_addc_u32 s11, s11, 0
	s_waitcnt lgkmcnt(0)
	v_mul_hi_u32 v7, s15, v3
	s_load_dword s15, s[8:9], 0x0
	s_add_u32 s8, s8, 4
	s_addc_u32 s9, s9, 0
	v_add_u32_e32 v7, v3, v7
	v_lshrrev_b32_e32 v17, s13, v7
	v_mul_lo_u32 v7, v17, s14
	s_add_i32 s12, s12, -1
	s_cmp_lg_u32 s12, 0
	v_sub_u32_e32 v3, v3, v7
	s_waitcnt lgkmcnt(0)
	v_mad_u64_u32 v[6:7], s[14:15], v3, s15, v[6:7]
	v_mov_b32_e32 v3, v17
	s_cbranch_scc1 .LBB47_361
.LBB47_362:
	s_mov_b64 s[8:9], 0
.LBB47_363:
	s_andn2_b64 vcc, exec, s[8:9]
	s_cbranch_vccnz .LBB47_366
; %bb.364:
	s_waitcnt lgkmcnt(0)
	v_mul_hi_u32 v3, s21, v9
	s_andn2_b64 vcc, exec, s[58:59]
	v_add_u32_e32 v3, v9, v3
	v_lshrrev_b32_e32 v3, s22, v3
	v_mul_lo_u32 v6, v3, s20
	v_sub_u32_e32 v6, v9, v6
	v_mul_lo_u32 v6, v6, s56
	s_cbranch_vccnz .LBB47_366
; %bb.365:
	v_mul_hi_u32 v7, s62, v3
	v_add_u32_e32 v7, v3, v7
	v_lshrrev_b32_e32 v7, s63, v7
	v_mul_lo_u32 v7, v7, s23
	v_sub_u32_e32 v3, v3, v7
	v_mad_u64_u32 v[6:7], s[8:9], v3, s57, v[6:7]
.LBB47_366:
	v_mov_b32_e32 v3, s17
	s_waitcnt lgkmcnt(0)
	s_and_b32 s24, s91, 0xff
	v_add_co_u32_e32 v6, vcc, s16, v6
	s_cmp_lt_i32 s24, 11
	v_addc_co_u32_e32 v7, vcc, 0, v3, vcc
	s_cbranch_scc1 .LBB47_416
; %bb.367:
	s_and_b32 s12, 0xffff, s24
	s_mov_b64 s[10:11], -1
	s_cmp_gt_i32 s12, 25
	s_mov_b64 s[8:9], s[76:77]
	s_cbranch_scc0 .LBB47_395
; %bb.368:
	s_cmp_gt_i32 s12, 28
	s_mov_b64 s[8:9], s[76:77]
	s_cbranch_scc0 .LBB47_382
; %bb.369:
	s_cmp_gt_i32 s12, 43
	s_mov_b64 s[8:9], s[76:77]
	s_cbranch_scc0 .LBB47_378
; %bb.370:
	s_cmp_gt_i32 s12, 45
	s_mov_b64 s[8:9], s[76:77]
	s_cbranch_scc0 .LBB47_374
; %bb.371:
	s_cmp_eq_u32 s12, 46
	s_mov_b64 s[8:9], -1
	s_cbranch_scc0 .LBB47_373
; %bb.372:
	global_store_dword v[6:7], v12, off
	s_mov_b64 s[8:9], 0
.LBB47_373:
	s_mov_b64 s[10:11], 0
.LBB47_374:
	s_and_b64 vcc, exec, s[10:11]
	s_cbranch_vccz .LBB47_377
; %bb.375:
	s_cmp_eq_u32 s12, 44
	s_mov_b64 s[8:9], -1
	s_cbranch_scc0 .LBB47_377
; %bb.376:
	v_mov_b32_e32 v3, 0xffff
	v_cndmask_b32_e64 v3, v16, v3, s[4:5]
	global_store_byte v[6:7], v3, off
	s_mov_b64 s[8:9], 0
.LBB47_377:
	s_mov_b64 s[10:11], 0
.LBB47_378:
	s_and_b64 vcc, exec, s[10:11]
	s_cbranch_vccz .LBB47_381
; %bb.379:
	s_cmp_eq_u32 s12, 29
	s_mov_b64 s[8:9], -1
	s_cbranch_scc0 .LBB47_381
; %bb.380:
	global_store_dwordx2 v[6:7], v[0:1], off
	s_mov_b64 s[8:9], 0
.LBB47_381:
	s_mov_b64 s[10:11], 0
.LBB47_382:
	s_and_b64 vcc, exec, s[10:11]
	s_cbranch_vccz .LBB47_394
; %bb.383:
	s_cmp_lt_i32 s12, 27
	s_mov_b64 s[4:5], -1
	s_cbranch_scc1 .LBB47_389
; %bb.384:
	s_cmp_gt_i32 s12, 27
	s_cbranch_scc0 .LBB47_386
; %bb.385:
	s_mov_b64 s[4:5], 0
	global_store_dword v[6:7], v14, off
.LBB47_386:
	s_andn2_b64 vcc, exec, s[4:5]
	s_cbranch_vccnz .LBB47_388
; %bb.387:
	global_store_short v[6:7], v14, off
.LBB47_388:
	s_mov_b64 s[4:5], 0
.LBB47_389:
	s_andn2_b64 vcc, exec, s[4:5]
	s_cbranch_vccnz .LBB47_394
; %bb.390:
	s_andn2_b64 vcc, exec, s[52:53]
	v_mov_b32_e32 v1, 0x80
	s_cbranch_vccnz .LBB47_393
; %bb.391:
	s_or_b64 s[4:5], s[2:3], s[54:55]
	s_andn2_b64 vcc, exec, s[4:5]
	v_mov_b32_e32 v1, 0
	s_cbranch_vccnz .LBB47_393
; %bb.392:
	v_mov_b32_e32 v1, s90
	v_cndmask_b32_e64 v1, v15, v1, s[2:3]
	v_or_b32_e32 v1, v1, v11
.LBB47_393:
	global_store_byte v[6:7], v1, off
.LBB47_394:
	s_mov_b64 s[10:11], 0
.LBB47_395:
	s_mov_b64 s[2:3], 0
	s_and_b64 vcc, exec, s[10:11]
	s_cbranch_vccz .LBB47_417
; %bb.396:
	s_cmp_gt_i32 s12, 22
	s_mov_b64 s[4:5], -1
	s_cbranch_scc0 .LBB47_409
; %bb.397:
	s_cmp_lt_i32 s12, 24
	s_cbranch_scc1 .LBB47_406
; %bb.398:
	s_cmp_gt_i32 s12, 24
	s_cbranch_scc0 .LBB47_403
; %bb.399:
	s_andn2_b64 vcc, exec, s[48:49]
	v_mov_b32_e32 v1, 0x80
	s_cbranch_vccnz .LBB47_402
; %bb.400:
	s_or_b64 s[4:5], s[0:1], s[50:51]
	s_andn2_b64 vcc, exec, s[4:5]
	v_mov_b32_e32 v1, 0
	s_cbranch_vccnz .LBB47_402
; %bb.401:
	v_mov_b32_e32 v1, s88
	v_cndmask_b32_e64 v1, v13, v1, s[0:1]
	v_or_b32_e32 v1, v1, v11
.LBB47_402:
	s_mov_b64 s[4:5], 0
	global_store_byte v[6:7], v1, off
.LBB47_403:
	s_and_b64 vcc, exec, s[4:5]
	s_cbranch_vccz .LBB47_405
; %bb.404:
	s_and_b64 s[0:1], s[46:47], exec
	s_cselect_b32 s4, s87, s86
	s_and_b64 s[0:1], s[44:45], exec
	s_cselect_b32 s0, s89, s4
	v_or_b32_e32 v1, s0, v11
	global_store_byte v[6:7], v1, off
.LBB47_405:
	s_mov_b64 s[4:5], 0
.LBB47_406:
	s_andn2_b64 vcc, exec, s[4:5]
	s_cbranch_vccnz .LBB47_408
; %bb.407:
	s_and_b64 s[0:1], s[42:43], exec
	s_cselect_b32 s4, s84, s83
	s_and_b64 s[0:1], s[40:41], exec
	s_cselect_b32 s0, s85, s4
	v_or_b32_e32 v1, s0, v11
	global_store_byte v[6:7], v1, off
.LBB47_408:
	s_mov_b64 s[4:5], 0
.LBB47_409:
	s_andn2_b64 vcc, exec, s[4:5]
	s_mov_b64 s[0:1], 0
	s_cbranch_vccnz .LBB47_418
; %bb.410:
	s_cmp_gt_i32 s12, 14
	s_mov_b64 s[4:5], -1
	s_cbranch_scc0 .LBB47_414
; %bb.411:
	s_cmp_eq_u32 s12, 15
	s_mov_b64 s[8:9], -1
	s_cbranch_scc0 .LBB47_413
; %bb.412:
	global_store_short v[6:7], v12, off
	s_mov_b64 s[8:9], 0
.LBB47_413:
	s_mov_b64 s[4:5], 0
.LBB47_414:
	s_and_b64 vcc, exec, s[4:5]
	s_cbranch_vccz .LBB47_418
; %bb.415:
	s_cmp_lg_u32 s12, 11
	s_cselect_b64 s[4:5], -1, 0
	s_andn2_b64 s[8:9], s[8:9], exec
	s_and_b64 s[4:5], s[4:5], exec
	s_mov_b64 s[0:1], -1
	s_or_b64 s[8:9], s[8:9], s[4:5]
	s_branch .LBB47_418
.LBB47_416:
	s_mov_b64 s[0:1], 0
	s_mov_b64 s[2:3], -1
	s_mov_b64 s[8:9], s[76:77]
	s_branch .LBB47_418
.LBB47_417:
	s_mov_b64 s[0:1], 0
.LBB47_418:
	s_and_b64 s[14:15], s[2:3], exec
	s_and_b64 s[10:11], s[0:1], exec
	s_andn2_b64 s[0:1], s[76:77], exec
	s_and_b64 s[2:3], s[8:9], exec
	s_or_b64 s[12:13], s[0:1], s[2:3]
.LBB47_419:
	s_or_b64 exec, exec, s[78:79]
	s_andn2_b64 s[0:1], s[76:77], exec
	s_and_b64 s[2:3], s[12:13], exec
	s_and_b64 s[14:15], s[14:15], exec
	;; [unrolled: 1-line block ×3, first 2 shown]
	s_or_b64 s[76:77], s[0:1], s[2:3]
.LBB47_420:
	s_or_b64 exec, exec, s[74:75]
	s_andn2_b64 s[0:1], s[70:71], exec
	s_and_b64 s[2:3], s[76:77], exec
	s_and_b64 s[12:13], s[14:15], exec
	;; [unrolled: 1-line block ×3, first 2 shown]
	s_or_b64 s[70:71], s[0:1], s[2:3]
.LBB47_421:
	s_or_b64 exec, exec, s[72:73]
	s_andn2_b64 s[0:1], s[66:67], exec
	s_and_b64 s[2:3], s[70:71], exec
	s_and_b64 s[8:9], s[12:13], exec
	;; [unrolled: 1-line block ×3, first 2 shown]
	s_or_b64 s[66:67], s[0:1], s[2:3]
	s_or_b64 exec, exec, s[68:69]
	s_mov_b64 s[0:1], 0
	s_and_saveexec_b64 s[2:3], s[66:67]
	s_cbranch_execz .LBB47_122
.LBB47_422:
	s_mov_b64 s[0:1], exec
	s_andn2_b64 s[72:73], s[72:73], exec
	s_trap 2
	s_or_b64 exec, exec, s[2:3]
	s_and_saveexec_b64 s[2:3], s[72:73]
	s_xor_b64 s[2:3], exec, s[2:3]
	s_cbranch_execnz .LBB47_123
.LBB47_423:
	s_or_b64 exec, exec, s[2:3]
	s_and_saveexec_b64 s[2:3], s[8:9]
	s_xor_b64 s[2:3], exec, s[2:3]
	s_cbranch_execz .LBB47_461
.LBB47_424:
	s_sext_i32_i16 s8, s24
	s_cmp_lt_i32 s8, 5
	s_mov_b64 s[4:5], -1
	s_cbranch_scc1 .LBB47_445
; %bb.425:
	s_cmp_lt_i32 s8, 8
	s_cbranch_scc1 .LBB47_435
; %bb.426:
	s_cmp_lt_i32 s8, 9
	s_cbranch_scc1 .LBB47_432
; %bb.427:
	s_cmp_gt_i32 s8, 9
	s_cbranch_scc0 .LBB47_429
; %bb.428:
	v_mov_b32_e32 v11, 0
	v_mov_b32_e32 v9, s18
	;; [unrolled: 1-line block ×4, first 2 shown]
	s_mov_b64 s[4:5], 0
	global_store_dwordx4 v[6:7], v[9:12], off
.LBB47_429:
	s_andn2_b64 vcc, exec, s[4:5]
	s_cbranch_vccnz .LBB47_431
; %bb.430:
	v_mov_b32_e32 v3, 0
	global_store_dwordx2 v[6:7], v[2:3], off
.LBB47_431:
	s_mov_b64 s[4:5], 0
.LBB47_432:
	s_andn2_b64 vcc, exec, s[4:5]
	s_cbranch_vccnz .LBB47_434
; %bb.433:
	v_mov_b32_e32 v1, s82
	global_store_dword v[6:7], v1, off
.LBB47_434:
	s_mov_b64 s[4:5], 0
.LBB47_435:
	s_andn2_b64 vcc, exec, s[4:5]
	s_cbranch_vccnz .LBB47_444
; %bb.436:
	s_sext_i32_i16 s8, s24
	s_cmp_lt_i32 s8, 6
	s_mov_b64 s[4:5], -1
	s_cbranch_scc1 .LBB47_442
; %bb.437:
	s_cmp_gt_i32 s8, 6
	s_cbranch_scc0 .LBB47_439
; %bb.438:
	v_mov_b32_e32 v9, s18
	v_mov_b32_e32 v10, s19
	s_mov_b64 s[4:5], 0
	global_store_dwordx2 v[6:7], v[9:10], off
.LBB47_439:
	s_andn2_b64 vcc, exec, s[4:5]
	s_cbranch_vccnz .LBB47_441
; %bb.440:
	global_store_dword v[6:7], v2, off
.LBB47_441:
	s_mov_b64 s[4:5], 0
.LBB47_442:
	s_andn2_b64 vcc, exec, s[4:5]
	s_cbranch_vccnz .LBB47_444
; %bb.443:
	v_mov_b32_e32 v1, s81
	global_store_short v[6:7], v1, off
.LBB47_444:
	s_mov_b64 s[4:5], 0
.LBB47_445:
	s_andn2_b64 vcc, exec, s[4:5]
	s_cbranch_vccnz .LBB47_461
; %bb.446:
	s_sext_i32_i16 s8, s24
	s_cmp_lt_i32 s8, 2
	s_mov_b64 s[4:5], -1
	s_cbranch_scc1 .LBB47_456
; %bb.447:
	s_cmp_lt_i32 s8, 3
	s_cbranch_scc1 .LBB47_453
; %bb.448:
	s_cmp_gt_i32 s8, 3
	s_cbranch_scc0 .LBB47_450
; %bb.449:
	s_mov_b64 s[4:5], 0
	global_store_dwordx2 v[6:7], v[4:5], off
.LBB47_450:
	s_andn2_b64 vcc, exec, s[4:5]
	s_cbranch_vccnz .LBB47_452
; %bb.451:
	global_store_dword v[6:7], v8, off
.LBB47_452:
	s_mov_b64 s[4:5], 0
.LBB47_453:
	s_andn2_b64 vcc, exec, s[4:5]
	s_cbranch_vccnz .LBB47_455
; %bb.454:
	global_store_short v[6:7], v8, off
.LBB47_455:
	s_mov_b64 s[4:5], 0
.LBB47_456:
	s_andn2_b64 vcc, exec, s[4:5]
	s_cbranch_vccnz .LBB47_461
; %bb.457:
	s_sext_i32_i16 s4, s24
	s_cmp_gt_i32 s4, 0
	s_mov_b64 s[4:5], -1
	s_cbranch_scc0 .LBB47_459
; %bb.458:
	s_mov_b64 s[4:5], 0
	global_store_byte v[6:7], v8, off
.LBB47_459:
	s_andn2_b64 vcc, exec, s[4:5]
	s_cbranch_vccnz .LBB47_461
; %bb.460:
	global_store_byte v[6:7], v0, off
.LBB47_461:
	s_or_b64 exec, exec, s[2:3]
	s_waitcnt lgkmcnt(0)
	s_and_b64 s[20:21], s[0:1], exec
                                        ; implicit-def: $vgpr8
                                        ; implicit-def: $vgpr9
.LBB47_462:
	s_or_saveexec_b64 s[22:23], s[38:39]
	s_mov_b64 s[0:1], 0
                                        ; implicit-def: $sgpr14
                                        ; implicit-def: $vgpr0_vgpr1
                                        ; implicit-def: $sgpr2_sgpr3
	s_xor_b64 exec, exec, s[22:23]
	s_cbranch_execz .LBB47_945
; %bb.463:
	v_cndmask_b32_e64 v0, 0, 1, s[36:37]
	v_cmp_ne_u32_e64 s[0:1], 1, v0
	s_andn2_b64 vcc, exec, s[36:37]
	s_cbranch_vccnz .LBB47_469
; %bb.464:
	s_cmp_lg_u32 s33, 0
	s_mov_b32 s26, 0
	s_cbranch_scc0 .LBB47_470
; %bb.465:
	s_min_u32 s27, s80, 15
	s_add_i32 s27, s27, 1
	s_cmp_eq_u32 s80, 2
	s_cbranch_scc1 .LBB47_471
; %bb.466:
	s_and_b32 s26, s27, 28
	s_add_u32 s2, s34, 0xc4
	s_addc_u32 s3, s35, 0
	s_mov_b32 s28, 0
	v_mov_b32_e32 v6, 0
	s_mov_b64 s[24:25], s[34:35]
	v_mov_b32_e32 v0, v9
.LBB47_467:                             ; =>This Inner Loop Header: Depth=1
	s_load_dwordx8 s[4:11], s[24:25], 0x4
	s_load_dwordx4 s[12:15], s[24:25], 0x24
	s_load_dwordx4 s[16:19], s[2:3], 0x0
	s_add_u32 s24, s24, 48
	s_addc_u32 s25, s25, 0
	s_waitcnt lgkmcnt(0)
	v_mul_hi_u32 v1, s5, v0
	s_add_i32 s28, s28, 4
	s_add_u32 s2, s2, 16
	s_addc_u32 s3, s3, 0
	v_add_u32_e32 v1, v0, v1
	v_lshrrev_b32_e32 v1, s6, v1
	v_mul_lo_u32 v2, v1, s4
	v_mul_hi_u32 v3, s8, v1
	s_cmp_lg_u32 s26, s28
	v_sub_u32_e32 v0, v0, v2
	v_add_u32_e32 v2, v1, v3
	v_lshrrev_b32_e32 v2, s9, v2
	v_mul_lo_u32 v3, v0, s16
	v_mul_hi_u32 v0, s11, v2
	v_mul_lo_u32 v5, v2, s7
	v_add_u32_e32 v0, v2, v0
	v_lshrrev_b32_e32 v4, s12, v0
	v_mul_hi_u32 v0, s14, v4
	v_sub_u32_e32 v1, v1, v5
	v_mul_lo_u32 v5, v4, s10
	v_mul_lo_u32 v1, v1, s17
	v_add_u32_e32 v0, v4, v0
	v_lshrrev_b32_e32 v0, s15, v0
	v_mul_lo_u32 v7, v0, s13
	v_sub_u32_e32 v2, v2, v5
	v_mul_lo_u32 v2, v2, s18
	v_add3_u32 v1, v3, v6, v1
	v_sub_u32_e32 v4, v4, v7
	v_mul_lo_u32 v4, v4, s19
	v_add3_u32 v6, v2, v1, v4
	s_cbranch_scc1 .LBB47_467
; %bb.468:
	s_and_b32 s6, s27, 3
	s_cmp_eq_u32 s6, 0
	s_cbranch_scc0 .LBB47_472
	s_branch .LBB47_474
.LBB47_469:
                                        ; implicit-def: $vgpr6
	s_branch .LBB47_475
.LBB47_470:
	v_mov_b32_e32 v6, 0
	s_branch .LBB47_474
.LBB47_471:
	v_mov_b32_e32 v6, 0
	v_mov_b32_e32 v0, v9
	s_and_b32 s6, s27, 3
	s_cmp_eq_u32 s6, 0
	s_cbranch_scc1 .LBB47_474
.LBB47_472:
	s_lshl_b32 s2, s26, 2
	s_add_u32 s2, s34, s2
	s_addc_u32 s3, s35, 0
	s_add_u32 s2, s2, 0xc4
	s_addc_u32 s3, s3, 0
	s_mul_i32 s4, s26, 12
	s_add_u32 s4, s34, s4
	s_addc_u32 s5, s35, 0
.LBB47_473:                             ; =>This Inner Loop Header: Depth=1
	s_load_dwordx2 s[8:9], s[4:5], 0x4
	s_load_dword s7, s[4:5], 0xc
	s_add_u32 s4, s4, 12
	s_addc_u32 s5, s5, 0
	s_waitcnt lgkmcnt(0)
	v_mul_hi_u32 v1, s9, v0
	s_load_dword s9, s[2:3], 0x0
	s_add_u32 s2, s2, 4
	s_addc_u32 s3, s3, 0
	v_add_u32_e32 v1, v0, v1
	v_lshrrev_b32_e32 v1, s7, v1
	v_mul_lo_u32 v2, v1, s8
	s_add_i32 s6, s6, -1
	s_cmp_lg_u32 s6, 0
	v_sub_u32_e32 v0, v0, v2
	s_waitcnt lgkmcnt(0)
	v_mad_u64_u32 v[6:7], s[8:9], v0, s9, v[6:7]
	v_mov_b32_e32 v0, v1
	s_cbranch_scc1 .LBB47_473
.LBB47_474:
	s_cbranch_execnz .LBB47_477
.LBB47_475:
	s_load_dwordx4 s[4:7], s[34:35], 0x4
	s_load_dword s2, s[34:35], 0xc4
	s_cmp_lt_u32 s33, 2
	s_waitcnt lgkmcnt(0)
	v_mul_hi_u32 v0, s5, v9
	v_add_u32_e32 v0, v9, v0
	v_lshrrev_b32_e32 v0, s6, v0
	v_mul_lo_u32 v1, v0, s4
	v_sub_u32_e32 v1, v9, v1
	v_mul_lo_u32 v6, v1, s2
	s_cbranch_scc1 .LBB47_477
; %bb.476:
	s_load_dwordx4 s[4:7], s[34:35], 0x10
	s_load_dword s2, s[34:35], 0xc8
	s_waitcnt lgkmcnt(0)
	v_mul_hi_u32 v1, s5, v0
	v_add_u32_e32 v1, v0, v1
	v_lshrrev_b32_e32 v1, s6, v1
	v_mul_lo_u32 v1, v1, s4
	v_sub_u32_e32 v0, v0, v1
	v_mad_u64_u32 v[6:7], s[2:3], v0, s2, v[6:7]
.LBB47_477:
	s_and_b64 vcc, exec, s[0:1]
	v_add_u32_e32 v0, 0x80, v9
	s_cbranch_vccnz .LBB47_483
; %bb.478:
	s_cmp_lg_u32 s33, 0
	s_mov_b32 s26, 0
	s_cbranch_scc0 .LBB47_484
; %bb.479:
	s_min_u32 s27, s80, 15
	s_add_i32 s27, s27, 1
	s_cmp_eq_u32 s80, 2
	s_cbranch_scc1 .LBB47_485
; %bb.480:
	s_and_b32 s26, s27, 28
	s_add_u32 s2, s34, 0xc4
	s_addc_u32 s3, s35, 0
	s_mov_b32 s28, 0
	v_mov_b32_e32 v4, 0
	s_mov_b64 s[24:25], s[34:35]
	v_mov_b32_e32 v1, v0
.LBB47_481:                             ; =>This Inner Loop Header: Depth=1
	s_load_dwordx8 s[4:11], s[24:25], 0x4
	s_load_dwordx4 s[12:15], s[24:25], 0x24
	s_load_dwordx4 s[16:19], s[2:3], 0x0
	s_add_u32 s24, s24, 48
	s_addc_u32 s25, s25, 0
	s_waitcnt lgkmcnt(0)
	v_mul_hi_u32 v2, s5, v1
	s_add_i32 s28, s28, 4
	s_add_u32 s2, s2, 16
	s_addc_u32 s3, s3, 0
	v_add_u32_e32 v2, v1, v2
	v_lshrrev_b32_e32 v2, s6, v2
	v_mul_lo_u32 v3, v2, s4
	v_mul_hi_u32 v5, s8, v2
	s_cmp_lg_u32 s26, s28
	v_sub_u32_e32 v1, v1, v3
	v_add_u32_e32 v3, v2, v5
	v_lshrrev_b32_e32 v3, s9, v3
	v_mul_lo_u32 v5, v1, s16
	v_mul_hi_u32 v1, s11, v3
	v_mul_lo_u32 v10, v3, s7
	v_add_u32_e32 v1, v3, v1
	v_lshrrev_b32_e32 v7, s12, v1
	v_mul_hi_u32 v1, s14, v7
	v_sub_u32_e32 v2, v2, v10
	v_mul_lo_u32 v10, v7, s10
	v_mul_lo_u32 v2, v2, s17
	v_add_u32_e32 v1, v7, v1
	v_lshrrev_b32_e32 v1, s15, v1
	v_mul_lo_u32 v11, v1, s13
	v_sub_u32_e32 v3, v3, v10
	v_mul_lo_u32 v3, v3, s18
	v_add3_u32 v2, v5, v4, v2
	v_sub_u32_e32 v7, v7, v11
	v_mul_lo_u32 v7, v7, s19
	v_add3_u32 v4, v3, v2, v7
	s_cbranch_scc1 .LBB47_481
; %bb.482:
	s_and_b32 s6, s27, 3
	s_cmp_eq_u32 s6, 0
	s_cbranch_scc0 .LBB47_486
	s_branch .LBB47_488
.LBB47_483:
                                        ; implicit-def: $vgpr4
	s_branch .LBB47_489
.LBB47_484:
	v_mov_b32_e32 v4, 0
	s_branch .LBB47_488
.LBB47_485:
	v_mov_b32_e32 v4, 0
	v_mov_b32_e32 v1, v0
	s_and_b32 s6, s27, 3
	s_cmp_eq_u32 s6, 0
	s_cbranch_scc1 .LBB47_488
.LBB47_486:
	s_lshl_b32 s2, s26, 2
	s_add_u32 s2, s34, s2
	s_addc_u32 s3, s35, 0
	s_add_u32 s2, s2, 0xc4
	s_addc_u32 s3, s3, 0
	s_mul_i32 s4, s26, 12
	s_add_u32 s4, s34, s4
	s_addc_u32 s5, s35, 0
.LBB47_487:                             ; =>This Inner Loop Header: Depth=1
	s_load_dwordx2 s[8:9], s[4:5], 0x4
	s_load_dword s7, s[4:5], 0xc
	s_add_u32 s4, s4, 12
	s_addc_u32 s5, s5, 0
	s_waitcnt lgkmcnt(0)
	v_mul_hi_u32 v2, s9, v1
	s_load_dword s9, s[2:3], 0x0
	s_add_u32 s2, s2, 4
	s_addc_u32 s3, s3, 0
	v_add_u32_e32 v2, v1, v2
	v_lshrrev_b32_e32 v2, s7, v2
	v_mul_lo_u32 v3, v2, s8
	s_add_i32 s6, s6, -1
	s_cmp_lg_u32 s6, 0
	v_sub_u32_e32 v1, v1, v3
	s_waitcnt lgkmcnt(0)
	v_mad_u64_u32 v[4:5], s[8:9], v1, s9, v[4:5]
	v_mov_b32_e32 v1, v2
	s_cbranch_scc1 .LBB47_487
.LBB47_488:
	s_cbranch_execnz .LBB47_491
.LBB47_489:
	s_load_dwordx4 s[4:7], s[34:35], 0x4
	s_load_dword s2, s[34:35], 0xc4
	s_cmp_lt_u32 s33, 2
	s_waitcnt lgkmcnt(0)
	v_mul_hi_u32 v1, s5, v0
	v_add_u32_e32 v1, v0, v1
	v_lshrrev_b32_e32 v1, s6, v1
	v_mul_lo_u32 v2, v1, s4
	v_sub_u32_e32 v0, v0, v2
	v_mul_lo_u32 v4, v0, s2
	s_cbranch_scc1 .LBB47_491
; %bb.490:
	s_load_dwordx4 s[4:7], s[34:35], 0x10
	s_load_dword s2, s[34:35], 0xc8
	s_waitcnt lgkmcnt(0)
	v_mul_hi_u32 v0, s5, v1
	v_add_u32_e32 v0, v1, v0
	v_lshrrev_b32_e32 v0, s6, v0
	v_mul_lo_u32 v0, v0, s4
	v_sub_u32_e32 v0, v1, v0
	v_mad_u64_u32 v[4:5], s[2:3], v0, s2, v[4:5]
.LBB47_491:
	s_and_b64 vcc, exec, s[0:1]
	v_add_u32_e32 v0, 0x100, v9
	s_cbranch_vccnz .LBB47_497
; %bb.492:
	s_cmp_lg_u32 s33, 0
	s_mov_b32 s26, 0
	s_cbranch_scc0 .LBB47_498
; %bb.493:
	s_min_u32 s27, s80, 15
	s_add_i32 s27, s27, 1
	s_cmp_eq_u32 s80, 2
	s_cbranch_scc1 .LBB47_499
; %bb.494:
	s_and_b32 s26, s27, 28
	s_add_u32 s2, s34, 0xc4
	s_addc_u32 s3, s35, 0
	s_mov_b32 s28, 0
	v_mov_b32_e32 v2, 0
	s_mov_b64 s[24:25], s[34:35]
	v_mov_b32_e32 v1, v0
.LBB47_495:                             ; =>This Inner Loop Header: Depth=1
	s_load_dwordx8 s[4:11], s[24:25], 0x4
	s_load_dwordx4 s[12:15], s[24:25], 0x24
	s_load_dwordx4 s[16:19], s[2:3], 0x0
	s_add_u32 s24, s24, 48
	s_addc_u32 s25, s25, 0
	s_waitcnt lgkmcnt(0)
	v_mul_hi_u32 v3, s5, v1
	s_add_i32 s28, s28, 4
	s_add_u32 s2, s2, 16
	s_addc_u32 s3, s3, 0
	v_add_u32_e32 v3, v1, v3
	v_lshrrev_b32_e32 v3, s6, v3
	v_mul_lo_u32 v5, v3, s4
	v_mul_hi_u32 v7, s8, v3
	s_cmp_lg_u32 s26, s28
	v_sub_u32_e32 v1, v1, v5
	v_add_u32_e32 v5, v3, v7
	v_lshrrev_b32_e32 v5, s9, v5
	v_mul_lo_u32 v7, v1, s16
	v_mul_hi_u32 v1, s11, v5
	v_mul_lo_u32 v10, v5, s7
	v_add_u32_e32 v1, v5, v1
	v_lshrrev_b32_e32 v9, s12, v1
	v_mul_hi_u32 v1, s14, v9
	v_sub_u32_e32 v3, v3, v10
	v_mul_lo_u32 v10, v9, s10
	v_mul_lo_u32 v3, v3, s17
	v_add_u32_e32 v1, v9, v1
	v_lshrrev_b32_e32 v1, s15, v1
	v_mul_lo_u32 v11, v1, s13
	v_sub_u32_e32 v5, v5, v10
	v_mul_lo_u32 v5, v5, s18
	v_add3_u32 v2, v7, v2, v3
	v_sub_u32_e32 v9, v9, v11
	v_mul_lo_u32 v9, v9, s19
	v_add3_u32 v2, v5, v2, v9
	s_cbranch_scc1 .LBB47_495
; %bb.496:
	s_and_b32 s6, s27, 3
	s_cmp_eq_u32 s6, 0
	s_cbranch_scc0 .LBB47_500
	s_branch .LBB47_502
.LBB47_497:
                                        ; implicit-def: $vgpr2
	s_branch .LBB47_503
.LBB47_498:
	v_mov_b32_e32 v2, 0
	s_branch .LBB47_502
.LBB47_499:
	v_mov_b32_e32 v2, 0
	v_mov_b32_e32 v1, v0
	s_and_b32 s6, s27, 3
	s_cmp_eq_u32 s6, 0
	s_cbranch_scc1 .LBB47_502
.LBB47_500:
	s_lshl_b32 s2, s26, 2
	s_add_u32 s2, s34, s2
	s_addc_u32 s3, s35, 0
	s_add_u32 s2, s2, 0xc4
	s_addc_u32 s3, s3, 0
	s_mul_i32 s4, s26, 12
	s_add_u32 s4, s34, s4
	s_addc_u32 s5, s35, 0
.LBB47_501:                             ; =>This Inner Loop Header: Depth=1
	s_load_dwordx2 s[8:9], s[4:5], 0x4
	s_load_dword s7, s[4:5], 0xc
	s_add_u32 s4, s4, 12
	s_addc_u32 s5, s5, 0
	s_waitcnt lgkmcnt(0)
	v_mul_hi_u32 v3, s9, v1
	s_load_dword s9, s[2:3], 0x0
	s_add_u32 s2, s2, 4
	s_addc_u32 s3, s3, 0
	v_add_u32_e32 v3, v1, v3
	v_lshrrev_b32_e32 v5, s7, v3
	v_mul_lo_u32 v3, v5, s8
	s_add_i32 s6, s6, -1
	s_cmp_lg_u32 s6, 0
	v_sub_u32_e32 v1, v1, v3
	s_waitcnt lgkmcnt(0)
	v_mad_u64_u32 v[2:3], s[8:9], v1, s9, v[2:3]
	v_mov_b32_e32 v1, v5
	s_cbranch_scc1 .LBB47_501
.LBB47_502:
	s_cbranch_execnz .LBB47_505
.LBB47_503:
	s_load_dwordx4 s[4:7], s[34:35], 0x4
	s_load_dword s2, s[34:35], 0xc4
	s_cmp_lt_u32 s33, 2
	s_waitcnt lgkmcnt(0)
	v_mul_hi_u32 v1, s5, v0
	v_add_u32_e32 v1, v0, v1
	v_lshrrev_b32_e32 v1, s6, v1
	v_mul_lo_u32 v2, v1, s4
	v_sub_u32_e32 v0, v0, v2
	v_mul_lo_u32 v2, v0, s2
	s_cbranch_scc1 .LBB47_505
; %bb.504:
	s_load_dwordx4 s[4:7], s[34:35], 0x10
	s_load_dword s2, s[34:35], 0xc8
	s_waitcnt lgkmcnt(0)
	v_mul_hi_u32 v0, s5, v1
	v_add_u32_e32 v0, v1, v0
	v_lshrrev_b32_e32 v0, s6, v0
	v_mul_lo_u32 v0, v0, s4
	v_sub_u32_e32 v0, v1, v0
	v_mad_u64_u32 v[2:3], s[2:3], v0, s2, v[2:3]
.LBB47_505:
	s_and_b64 vcc, exec, s[0:1]
	s_cbranch_vccnz .LBB47_511
; %bb.506:
	s_cmp_lg_u32 s33, 0
	s_mov_b32 s24, 0
	s_cbranch_scc0 .LBB47_512
; %bb.507:
	s_min_u32 s25, s80, 15
	s_add_i32 s25, s25, 1
	s_cmp_eq_u32 s80, 2
	s_cbranch_scc1 .LBB47_513
; %bb.508:
	s_and_b32 s24, s25, 28
	s_add_u32 s16, s34, 0xc4
	s_addc_u32 s17, s35, 0
	s_mov_b32 s26, 0
	v_mov_b32_e32 v0, 0
	s_mov_b64 s[18:19], s[34:35]
	v_mov_b32_e32 v1, v8
.LBB47_509:                             ; =>This Inner Loop Header: Depth=1
	s_load_dwordx8 s[0:7], s[18:19], 0x4
	s_load_dwordx4 s[8:11], s[18:19], 0x24
	s_load_dwordx4 s[12:15], s[16:17], 0x0
	s_add_u32 s18, s18, 48
	s_addc_u32 s19, s19, 0
	s_waitcnt lgkmcnt(0)
	v_mul_hi_u32 v3, s1, v1
	s_add_i32 s26, s26, 4
	s_add_u32 s16, s16, 16
	s_addc_u32 s17, s17, 0
	v_add_u32_e32 v3, v1, v3
	v_lshrrev_b32_e32 v3, s2, v3
	v_mul_lo_u32 v5, v3, s0
	v_mul_hi_u32 v7, s4, v3
	s_cmp_lg_u32 s24, s26
	v_sub_u32_e32 v1, v1, v5
	v_add_u32_e32 v5, v3, v7
	v_lshrrev_b32_e32 v5, s5, v5
	v_mul_lo_u32 v7, v1, s12
	v_mul_hi_u32 v1, s7, v5
	v_mul_lo_u32 v10, v5, s3
	v_add_u32_e32 v1, v5, v1
	v_lshrrev_b32_e32 v9, s8, v1
	v_mul_hi_u32 v1, s10, v9
	v_sub_u32_e32 v3, v3, v10
	v_mul_lo_u32 v10, v9, s6
	v_mul_lo_u32 v3, v3, s13
	v_add_u32_e32 v1, v9, v1
	v_lshrrev_b32_e32 v1, s11, v1
	v_mul_lo_u32 v11, v1, s9
	v_sub_u32_e32 v5, v5, v10
	v_mul_lo_u32 v5, v5, s14
	v_add3_u32 v0, v7, v0, v3
	v_sub_u32_e32 v9, v9, v11
	v_mul_lo_u32 v9, v9, s15
	v_add3_u32 v0, v5, v0, v9
	s_cbranch_scc1 .LBB47_509
; %bb.510:
	s_and_b32 s4, s25, 3
	s_cmp_eq_u32 s4, 0
	s_cbranch_scc0 .LBB47_514
	s_branch .LBB47_516
.LBB47_511:
                                        ; implicit-def: $vgpr0
	s_branch .LBB47_517
.LBB47_512:
	v_mov_b32_e32 v0, 0
	s_branch .LBB47_516
.LBB47_513:
	v_mov_b32_e32 v0, 0
	v_mov_b32_e32 v1, v8
	s_and_b32 s4, s25, 3
	s_cmp_eq_u32 s4, 0
	s_cbranch_scc1 .LBB47_516
.LBB47_514:
	s_lshl_b32 s0, s24, 2
	s_add_u32 s0, s34, s0
	s_addc_u32 s1, s35, 0
	s_add_u32 s0, s0, 0xc4
	s_addc_u32 s1, s1, 0
	s_mul_i32 s2, s24, 12
	s_add_u32 s2, s34, s2
	s_addc_u32 s3, s35, 0
.LBB47_515:                             ; =>This Inner Loop Header: Depth=1
	s_load_dwordx2 s[6:7], s[2:3], 0x4
	s_load_dword s5, s[2:3], 0xc
	s_add_u32 s2, s2, 12
	s_addc_u32 s3, s3, 0
	s_waitcnt lgkmcnt(0)
	v_mul_hi_u32 v3, s7, v1
	s_load_dword s7, s[0:1], 0x0
	s_add_u32 s0, s0, 4
	s_addc_u32 s1, s1, 0
	v_add_u32_e32 v3, v1, v3
	v_lshrrev_b32_e32 v3, s5, v3
	v_mul_lo_u32 v5, v3, s6
	s_add_i32 s4, s4, -1
	s_cmp_lg_u32 s4, 0
	v_sub_u32_e32 v1, v1, v5
	s_waitcnt lgkmcnt(0)
	v_mad_u64_u32 v[0:1], s[6:7], v1, s7, v[0:1]
	v_mov_b32_e32 v1, v3
	s_cbranch_scc1 .LBB47_515
.LBB47_516:
	s_cbranch_execnz .LBB47_519
.LBB47_517:
	s_load_dwordx4 s[0:3], s[34:35], 0x4
	s_waitcnt lgkmcnt(0)
	s_load_dword s3, s[34:35], 0xc4
	s_cmp_lt_u32 s33, 2
	v_mul_hi_u32 v0, s1, v8
	v_add_u32_e32 v0, v8, v0
	v_lshrrev_b32_e32 v1, s2, v0
	v_mul_lo_u32 v0, v1, s0
	v_sub_u32_e32 v0, v8, v0
	s_waitcnt lgkmcnt(0)
	v_mul_lo_u32 v0, v0, s3
	s_cbranch_scc1 .LBB47_519
; %bb.518:
	s_load_dwordx4 s[0:3], s[34:35], 0x10
	s_waitcnt lgkmcnt(0)
	s_load_dword s3, s[34:35], 0xc8
	v_mul_hi_u32 v3, s1, v1
	v_add_u32_e32 v3, v1, v3
	v_lshrrev_b32_e32 v3, s2, v3
	v_mul_lo_u32 v3, v3, s0
	v_sub_u32_e32 v1, v1, v3
	s_waitcnt lgkmcnt(0)
	v_mad_u64_u32 v[0:1], s[0:1], v1, s3, v[0:1]
.LBB47_519:
	s_load_dwordx4 s[0:3], s[34:35], 0x108
	s_load_dword s4, s[34:35], 0x118
	s_waitcnt lgkmcnt(0)
	v_mov_b32_e32 v1, s1
	s_and_b32 s14, s4, 0xff
	v_add_co_u32_e32 v5, vcc, s0, v6
	s_cmp_lt_i32 s14, 11
	v_addc_co_u32_e32 v6, vcc, 0, v1, vcc
	s_cbranch_scc1 .LBB47_547
; %bb.520:
	s_and_b32 s12, 0xffff, s14
	s_mov_b64 s[10:11], -1
	s_mov_b64 s[6:7], 0
	s_cmp_gt_i32 s12, 25
	s_mov_b64 s[8:9], 0
	s_mov_b64 s[4:5], 0
	s_cbranch_scc0 .LBB47_557
; %bb.521:
	s_cmp_gt_i32 s12, 28
	s_cbranch_scc0 .LBB47_536
; %bb.522:
	s_cmp_gt_i32 s12, 43
	;; [unrolled: 3-line block ×3, first 2 shown]
	s_cbranch_scc0 .LBB47_526
; %bb.524:
	s_mov_b64 s[4:5], -1
	s_mov_b64 s[10:11], 0
	s_cmp_eq_u32 s12, 46
	s_cbranch_scc0 .LBB47_526
; %bb.525:
	v_cvt_f32_f64_e32 v1, s[2:3]
	v_mov_b32_e32 v3, 0x7fc0
	s_mov_b64 s[4:5], 0
	s_mov_b64 s[8:9], -1
	v_bfe_u32 v7, v1, 16, 1
	v_cmp_o_f32_e32 vcc, v1, v1
	v_add_u32_e32 v1, v1, v7
	v_add_u32_e32 v1, 0x7fff, v1
	v_cndmask_b32_sdwa v1, v3, v1, vcc dst_sel:DWORD dst_unused:UNUSED_PAD src0_sel:DWORD src1_sel:WORD_1
	global_store_dword v[5:6], v1, off
.LBB47_526:
	s_and_b64 vcc, exec, s[10:11]
	s_cbranch_vccz .LBB47_531
; %bb.527:
	s_cmp_eq_u32 s12, 44
	s_mov_b64 s[4:5], -1
	s_cbranch_scc0 .LBB47_531
; %bb.528:
	v_cvt_f32_f64_e32 v1, s[2:3]
	v_mov_b32_e32 v3, 0xff
	v_readfirstlane_b32 s4, v1
	s_bfe_u32 s5, s4, 0x80017
	s_cmpk_eq_i32 s5, 0xff
	s_cbranch_scc1 .LBB47_530
; %bb.529:
	s_bitcmp1_b32 s4, 22
	s_cselect_b64 s[8:9], -1, 0
	s_and_b32 s4, s4, 0x3fffff
	s_or_b32 s4, s5, s4
	s_cmp_lg_u32 s4, 0
	s_cselect_b64 s[4:5], -1, 0
	s_and_b64 s[4:5], s[8:9], s[4:5]
	v_lshrrev_b32_e32 v1, 23, v1
	v_cndmask_b32_e64 v3, 0, 1, s[4:5]
	v_add_u32_e32 v3, v1, v3
.LBB47_530:
	s_mov_b64 s[4:5], 0
	s_mov_b64 s[8:9], -1
	global_store_byte v[5:6], v3, off
.LBB47_531:
	s_mov_b64 s[10:11], 0
.LBB47_532:
	s_and_b64 vcc, exec, s[10:11]
	s_cbranch_vccz .LBB47_535
; %bb.533:
	s_cmp_eq_u32 s12, 29
	s_mov_b64 s[4:5], -1
	s_cbranch_scc0 .LBB47_535
; %bb.534:
	v_trunc_f64_e32 v[7:8], s[2:3]
	s_movk_i32 s4, 0xffe0
	s_mov_b64 s[8:9], -1
	v_ldexp_f64 v[9:10], v[7:8], s4
	s_mov_b32 s4, 0
	s_mov_b32 s5, 0xc1f00000
	v_floor_f64_e32 v[9:10], v[9:10]
	v_fma_f64 v[7:8], v[9:10], s[4:5], v[7:8]
	v_cvt_u32_f64_e32 v9, v[9:10]
	s_mov_b64 s[4:5], 0
	v_cvt_u32_f64_e32 v8, v[7:8]
	global_store_dwordx2 v[5:6], v[8:9], off
.LBB47_535:
	s_mov_b64 s[10:11], 0
.LBB47_536:
	s_and_b64 vcc, exec, s[10:11]
	s_cbranch_vccz .LBB47_556
; %bb.537:
	s_cmp_lt_i32 s12, 27
	s_mov_b64 s[8:9], -1
	s_cbranch_scc1 .LBB47_543
; %bb.538:
	s_cmp_gt_i32 s12, 27
	s_cbranch_scc0 .LBB47_540
; %bb.539:
	v_cvt_u32_f64_e32 v1, s[2:3]
	s_mov_b64 s[8:9], 0
	global_store_dword v[5:6], v1, off
.LBB47_540:
	s_andn2_b64 vcc, exec, s[8:9]
	s_cbranch_vccnz .LBB47_542
; %bb.541:
	v_cvt_u32_f64_e32 v1, s[2:3]
	global_store_short v[5:6], v1, off
.LBB47_542:
	s_mov_b64 s[8:9], 0
.LBB47_543:
	s_andn2_b64 vcc, exec, s[8:9]
	s_cbranch_vccnz .LBB47_555
; %bb.544:
	v_cvt_f32_f64_e32 v1, s[2:3]
	v_mov_b32_e32 v3, 0x80
	v_readfirstlane_b32 s13, v1
	s_and_b32 s8, s13, 0x7fffffff
	s_cmp_gt_u32 s8, 0x437fffff
	s_cbranch_scc1 .LBB47_554
; %bb.545:
	s_cmp_gt_u32 s8, 0x3bffffff
	s_cbranch_scc0 .LBB47_549
; %bb.546:
	s_bfe_u32 s8, s13, 0x10014
	s_add_i32 s8, s13, s8
	s_add_i32 s8, s8, 0x487ffff
	s_lshr_b32 s15, s8, 20
	s_mov_b64 s[10:11], 0
	s_mov_b64 s[8:9], -1
	s_branch .LBB47_550
.LBB47_547:
	s_mov_b64 s[8:9], 0
	s_mov_b64 s[4:5], s[20:21]
	s_cbranch_execnz .LBB47_607
.LBB47_548:
	s_andn2_b64 vcc, exec, s[8:9]
	s_cbranch_vccz .LBB47_645
	s_branch .LBB47_943
.LBB47_549:
	s_mov_b64 s[10:11], -1
	s_mov_b64 s[8:9], 0
                                        ; implicit-def: $sgpr15
.LBB47_550:
	s_andn2_b64 vcc, exec, s[10:11]
	v_mov_b32_e32 v1, s15
	s_cbranch_vccnz .LBB47_552
; %bb.551:
	v_mov_b32_e32 v1, 0x46000000
	v_add_f32_e64 v1, |s13|, v1
	v_and_b32_e32 v1, 0xff, v1
	v_cmp_ne_u32_e64 s[8:9], 0, v1
.LBB47_552:
	s_andn2_b64 vcc, exec, s[8:9]
	v_mov_b32_e32 v3, 0
	s_cbranch_vccnz .LBB47_554
; %bb.553:
	s_lshr_b32 s8, s13, 24
	s_and_b32 s8, s8, 0x80
	v_or_b32_e32 v3, s8, v1
.LBB47_554:
	global_store_byte v[5:6], v3, off
.LBB47_555:
	s_mov_b64 s[8:9], -1
.LBB47_556:
	s_mov_b64 s[10:11], 0
.LBB47_557:
	s_and_b64 vcc, exec, s[10:11]
	s_cbranch_vccz .LBB47_603
; %bb.558:
	s_cmp_gt_i32 s12, 22
	s_mov_b64 s[6:7], -1
	s_cbranch_scc0 .LBB47_596
; %bb.559:
	s_cmp_lt_i32 s12, 24
	s_cbranch_scc1 .LBB47_583
; %bb.560:
	s_cmp_gt_i32 s12, 24
	s_cbranch_scc0 .LBB47_570
; %bb.561:
	v_cvt_f32_f64_e32 v1, s[2:3]
	v_mov_b32_e32 v3, 0x80
	v_readfirstlane_b32 s10, v1
	s_and_b32 s6, s10, 0x7fffffff
	s_cmp_gt_u32 s6, 0x477fffff
	s_cbranch_scc1 .LBB47_569
; %bb.562:
	s_cmp_gt_u32 s6, 0x37ffffff
	s_cbranch_scc0 .LBB47_564
; %bb.563:
	s_bfe_u32 s6, s10, 0x10015
	s_add_i32 s6, s10, s6
	s_add_i32 s6, s6, 0x88fffff
	s_lshr_b32 s11, s6, 21
	s_mov_b64 s[8:9], 0
	s_mov_b64 s[6:7], -1
	s_branch .LBB47_565
.LBB47_564:
	s_mov_b64 s[8:9], -1
	s_mov_b64 s[6:7], 0
                                        ; implicit-def: $sgpr11
.LBB47_565:
	s_andn2_b64 vcc, exec, s[8:9]
	v_mov_b32_e32 v1, s11
	s_cbranch_vccnz .LBB47_567
; %bb.566:
	v_mov_b32_e32 v1, 0x42800000
	v_add_f32_e64 v1, |s10|, v1
	v_and_b32_e32 v1, 0xff, v1
	v_cmp_ne_u32_e64 s[6:7], 0, v1
.LBB47_567:
	s_andn2_b64 vcc, exec, s[6:7]
	v_mov_b32_e32 v3, 0
	s_cbranch_vccnz .LBB47_569
; %bb.568:
	s_lshr_b32 s6, s10, 24
	s_and_b32 s6, s6, 0x80
	v_or_b32_e32 v3, s6, v1
.LBB47_569:
	s_mov_b64 s[6:7], 0
	global_store_byte v[5:6], v3, off
.LBB47_570:
	s_and_b64 vcc, exec, s[6:7]
	s_cbranch_vccz .LBB47_582
; %bb.571:
	v_cvt_f32_f64_e32 v1, s[2:3]
	v_readfirstlane_b32 s8, v1
	s_and_b32 s9, s8, 0x7fffffff
	s_cmp_lt_u32 s9, 0x43f00000
	s_cbranch_scc0 .LBB47_574
; %bb.572:
	s_cmp_gt_u32 s9, 0x3c7fffff
	s_cbranch_scc0 .LBB47_575
; %bb.573:
	s_bfe_u32 s6, s8, 0x10014
	s_add_i32 s6, s8, s6
	s_add_i32 s6, s6, 0x407ffff
	s_lshr_b32 s7, s6, 20
	s_and_b32 s6, s6, 0xff00000
	s_cmp_lg_u32 s6, 0x7f00000
	s_cselect_b32 s10, s7, 0x7e
	s_mov_b64 s[6:7], 0
	s_branch .LBB47_576
.LBB47_574:
	s_mov_b64 s[6:7], -1
                                        ; implicit-def: $vgpr3
	s_branch .LBB47_579
.LBB47_575:
	s_mov_b64 s[6:7], -1
                                        ; implicit-def: $sgpr10
.LBB47_576:
	s_andn2_b64 vcc, exec, s[6:7]
	v_mov_b32_e32 v3, s10
	s_cbranch_vccnz .LBB47_578
; %bb.577:
	s_mov_b32 s6, 0x46800000
	v_add_f32_e64 v3, |v1|, s6
.LBB47_578:
	s_mov_b64 s[6:7], 0
.LBB47_579:
	s_andn2_b64 vcc, exec, s[6:7]
	s_cbranch_vccnz .LBB47_581
; %bb.580:
	s_cmp_gt_u32 s9, 0x7f800000
	s_movk_i32 s6, 0x7f
	s_cselect_b32 s6, s6, 0x7e
	v_mov_b32_e32 v3, s6
.LBB47_581:
	s_lshr_b32 s6, s8, 24
	s_and_b32 s6, s6, 0x80
	v_or_b32_e32 v1, s6, v3
	global_store_byte v[5:6], v1, off
.LBB47_582:
	s_mov_b64 s[6:7], 0
.LBB47_583:
	s_andn2_b64 vcc, exec, s[6:7]
	s_cbranch_vccnz .LBB47_595
; %bb.584:
	v_cvt_f32_f64_e32 v1, s[2:3]
	v_readfirstlane_b32 s8, v1
	s_and_b32 s9, s8, 0x7fffffff
	s_cmp_lt_u32 s9, 0x47800000
	s_cbranch_scc0 .LBB47_587
; %bb.585:
	s_cmp_gt_u32 s9, 0x387fffff
	s_cbranch_scc0 .LBB47_588
; %bb.586:
	s_bfe_u32 s6, s8, 0x10015
	s_add_i32 s6, s8, s6
	s_add_i32 s6, s6, 0x80fffff
	s_lshr_b32 s10, s6, 21
	s_mov_b64 s[6:7], 0
	s_branch .LBB47_589
.LBB47_587:
	s_mov_b64 s[6:7], -1
                                        ; implicit-def: $vgpr3
	s_branch .LBB47_592
.LBB47_588:
	s_mov_b64 s[6:7], -1
                                        ; implicit-def: $sgpr10
.LBB47_589:
	s_andn2_b64 vcc, exec, s[6:7]
	v_mov_b32_e32 v3, s10
	s_cbranch_vccnz .LBB47_591
; %bb.590:
	s_mov_b32 s6, 0x43000000
	v_add_f32_e64 v3, |v1|, s6
.LBB47_591:
	s_mov_b64 s[6:7], 0
.LBB47_592:
	s_andn2_b64 vcc, exec, s[6:7]
	s_cbranch_vccnz .LBB47_594
; %bb.593:
	s_cmp_gt_u32 s9, 0x7f800000
	s_movk_i32 s6, 0x7f
	s_cselect_b32 s6, s6, 0x7c
	v_mov_b32_e32 v3, s6
.LBB47_594:
	s_lshr_b32 s6, s8, 24
	s_and_b32 s6, s6, 0x80
	v_or_b32_e32 v1, s6, v3
	global_store_byte v[5:6], v1, off
.LBB47_595:
	s_mov_b64 s[6:7], 0
	s_mov_b64 s[8:9], -1
.LBB47_596:
	s_andn2_b64 vcc, exec, s[6:7]
	s_mov_b64 s[6:7], 0
	s_cbranch_vccnz .LBB47_603
; %bb.597:
	s_cmp_gt_i32 s12, 14
	s_mov_b64 s[10:11], -1
	s_cbranch_scc0 .LBB47_601
; %bb.598:
	s_cmp_eq_u32 s12, 15
	s_mov_b64 s[4:5], -1
	s_cbranch_scc0 .LBB47_600
; %bb.599:
	v_cvt_f32_f64_e32 v1, s[2:3]
	v_mov_b32_e32 v3, 0x7fc0
	s_mov_b64 s[4:5], 0
	s_mov_b64 s[8:9], -1
	v_bfe_u32 v7, v1, 16, 1
	v_cmp_o_f32_e32 vcc, v1, v1
	v_add_u32_e32 v1, v1, v7
	v_add_u32_e32 v1, 0x7fff, v1
	v_cndmask_b32_sdwa v1, v3, v1, vcc dst_sel:DWORD dst_unused:UNUSED_PAD src0_sel:DWORD src1_sel:WORD_1
	global_store_short v[5:6], v1, off
.LBB47_600:
	s_mov_b64 s[10:11], 0
.LBB47_601:
	s_and_b64 vcc, exec, s[10:11]
	s_cbranch_vccz .LBB47_603
; %bb.602:
	s_cmp_lg_u32 s12, 11
	s_mov_b64 s[6:7], -1
	s_cselect_b64 s[4:5], -1, 0
.LBB47_603:
	s_and_b64 vcc, exec, s[4:5]
	s_mov_b64 s[4:5], s[20:21]
	s_cbranch_vccnz .LBB47_675
; %bb.604:
	s_andn2_b64 vcc, exec, s[6:7]
	s_cbranch_vccnz .LBB47_606
.LBB47_605:
	v_cmp_neq_f64_e64 s[6:7], s[2:3], 0
	s_mov_b64 s[8:9], -1
	v_cndmask_b32_e64 v1, 0, 1, s[6:7]
	global_store_byte v[5:6], v1, off
.LBB47_606:
	s_branch .LBB47_548
.LBB47_607:
	s_and_b32 s8, 0xffff, s14
	s_cmp_lt_i32 s8, 5
	s_mov_b64 s[6:7], -1
	s_cbranch_scc1 .LBB47_628
; %bb.608:
	s_cmp_lt_i32 s8, 8
	s_cbranch_scc1 .LBB47_618
; %bb.609:
	s_cmp_lt_i32 s8, 9
	s_cbranch_scc1 .LBB47_615
; %bb.610:
	s_cmp_gt_i32 s8, 9
	s_cbranch_scc0 .LBB47_612
; %bb.611:
	v_mov_b32_e32 v9, 0
	v_mov_b32_e32 v7, s2
	;; [unrolled: 1-line block ×4, first 2 shown]
	global_store_dwordx4 v[5:6], v[7:10], off
	s_mov_b64 s[6:7], 0
.LBB47_612:
	s_andn2_b64 vcc, exec, s[6:7]
	s_cbranch_vccnz .LBB47_614
; %bb.613:
	v_cvt_f32_f64_e32 v7, s[2:3]
	v_mov_b32_e32 v8, 0
	global_store_dwordx2 v[5:6], v[7:8], off
.LBB47_614:
	s_mov_b64 s[6:7], 0
.LBB47_615:
	s_andn2_b64 vcc, exec, s[6:7]
	s_cbranch_vccnz .LBB47_617
; %bb.616:
	s_lshr_b32 s6, s3, 8
	s_and_b32 s9, s6, 0xffe
	s_and_b32 s6, s3, 0x1ff
	s_or_b32 s6, s6, s2
	s_cmp_lg_u32 s6, 0
	s_cselect_b64 s[6:7], -1, 0
	v_cndmask_b32_e64 v1, 0, 1, s[6:7]
	v_readfirstlane_b32 s6, v1
	s_or_b32 s6, s9, s6
	s_bfe_u32 s9, s3, 0xb0014
	s_sub_i32 s10, 0x3f1, s9
	v_med3_i32 v1, s10, 0, 13
	s_or_b32 s7, s6, 0x1000
	v_readfirstlane_b32 s10, v1
	s_lshr_b32 s11, s7, s10
	s_lshl_b32 s10, s11, s10
	s_cmp_lg_u32 s10, s7
	s_cselect_b32 s7, 1, 0
	s_addk_i32 s9, 0xfc10
	s_lshl_b32 s10, s9, 12
	s_or_b32 s7, s11, s7
	s_or_b32 s10, s6, s10
	s_cmp_lt_i32 s9, 1
	s_cselect_b32 s7, s7, s10
	s_and_b32 s10, s7, 7
	s_cmp_gt_i32 s10, 5
	s_cselect_b32 s11, 1, 0
	s_cmp_eq_u32 s10, 3
	s_cselect_b32 s10, 1, 0
	s_or_b32 s10, s10, s11
	s_lshr_b32 s7, s7, 2
	s_add_i32 s7, s7, s10
	s_cmp_lt_i32 s9, 31
	s_cselect_b32 s7, s7, 0x7c00
	s_cmp_lg_u32 s6, 0
	s_movk_i32 s6, 0x7e00
	s_cselect_b32 s6, s6, 0x7c00
	s_cmpk_eq_i32 s9, 0x40f
	s_cselect_b32 s6, s6, s7
	s_lshr_b32 s7, s3, 16
	s_and_b32 s7, s7, 0x8000
	s_or_b32 s6, s7, s6
	s_and_b32 s6, s6, 0xffff
	v_mov_b32_e32 v1, s6
	global_store_dword v[5:6], v1, off
.LBB47_617:
	s_mov_b64 s[6:7], 0
.LBB47_618:
	s_andn2_b64 vcc, exec, s[6:7]
	s_cbranch_vccnz .LBB47_627
; %bb.619:
	s_cmp_lt_i32 s8, 6
	s_mov_b64 s[6:7], -1
	s_cbranch_scc1 .LBB47_625
; %bb.620:
	s_cmp_gt_i32 s8, 6
	s_cbranch_scc0 .LBB47_622
; %bb.621:
	v_mov_b32_e32 v8, s3
	v_mov_b32_e32 v7, s2
	global_store_dwordx2 v[5:6], v[7:8], off
	s_mov_b64 s[6:7], 0
.LBB47_622:
	s_andn2_b64 vcc, exec, s[6:7]
	s_cbranch_vccnz .LBB47_624
; %bb.623:
	v_cvt_f32_f64_e32 v1, s[2:3]
	global_store_dword v[5:6], v1, off
.LBB47_624:
	s_mov_b64 s[6:7], 0
.LBB47_625:
	s_andn2_b64 vcc, exec, s[6:7]
	s_cbranch_vccnz .LBB47_627
; %bb.626:
	s_lshr_b32 s6, s3, 8
	s_and_b32 s9, s6, 0xffe
	s_and_b32 s6, s3, 0x1ff
	s_or_b32 s6, s6, s2
	s_cmp_lg_u32 s6, 0
	s_cselect_b64 s[6:7], -1, 0
	v_cndmask_b32_e64 v1, 0, 1, s[6:7]
	v_readfirstlane_b32 s6, v1
	s_or_b32 s6, s9, s6
	s_bfe_u32 s9, s3, 0xb0014
	s_sub_i32 s10, 0x3f1, s9
	v_med3_i32 v1, s10, 0, 13
	s_or_b32 s7, s6, 0x1000
	v_readfirstlane_b32 s10, v1
	s_lshr_b32 s11, s7, s10
	s_lshl_b32 s10, s11, s10
	s_cmp_lg_u32 s10, s7
	s_cselect_b32 s7, 1, 0
	s_addk_i32 s9, 0xfc10
	s_lshl_b32 s10, s9, 12
	s_or_b32 s7, s11, s7
	s_or_b32 s10, s6, s10
	s_cmp_lt_i32 s9, 1
	s_cselect_b32 s7, s7, s10
	s_and_b32 s10, s7, 7
	s_cmp_gt_i32 s10, 5
	s_cselect_b32 s11, 1, 0
	s_cmp_eq_u32 s10, 3
	s_cselect_b32 s10, 1, 0
	s_or_b32 s10, s10, s11
	s_lshr_b32 s7, s7, 2
	s_add_i32 s7, s7, s10
	s_cmp_lt_i32 s9, 31
	s_cselect_b32 s7, s7, 0x7c00
	s_cmp_lg_u32 s6, 0
	s_movk_i32 s6, 0x7e00
	s_cselect_b32 s6, s6, 0x7c00
	s_cmpk_eq_i32 s9, 0x40f
	s_cselect_b32 s6, s6, s7
	s_lshr_b32 s7, s3, 16
	s_and_b32 s7, s7, 0x8000
	s_or_b32 s6, s7, s6
	v_mov_b32_e32 v1, s6
	global_store_short v[5:6], v1, off
.LBB47_627:
	s_mov_b64 s[6:7], 0
.LBB47_628:
	s_andn2_b64 vcc, exec, s[6:7]
	s_cbranch_vccnz .LBB47_644
; %bb.629:
	s_cmp_lt_i32 s8, 2
	s_mov_b64 s[6:7], -1
	s_cbranch_scc1 .LBB47_639
; %bb.630:
	s_cmp_lt_i32 s8, 3
	s_cbranch_scc1 .LBB47_636
; %bb.631:
	s_cmp_gt_i32 s8, 3
	s_cbranch_scc0 .LBB47_633
; %bb.632:
	v_trunc_f64_e32 v[7:8], s[2:3]
	s_movk_i32 s6, 0xffe0
	v_ldexp_f64 v[9:10], v[7:8], s6
	s_mov_b32 s6, 0
	s_mov_b32 s7, 0xc1f00000
	v_floor_f64_e32 v[9:10], v[9:10]
	v_fma_f64 v[7:8], v[9:10], s[6:7], v[7:8]
	v_cvt_i32_f64_e32 v9, v[9:10]
	s_mov_b64 s[6:7], 0
	v_cvt_u32_f64_e32 v8, v[7:8]
	global_store_dwordx2 v[5:6], v[8:9], off
.LBB47_633:
	s_andn2_b64 vcc, exec, s[6:7]
	s_cbranch_vccnz .LBB47_635
; %bb.634:
	v_cvt_i32_f64_e32 v1, s[2:3]
	global_store_dword v[5:6], v1, off
.LBB47_635:
	s_mov_b64 s[6:7], 0
.LBB47_636:
	s_andn2_b64 vcc, exec, s[6:7]
	s_cbranch_vccnz .LBB47_638
; %bb.637:
	v_cvt_i32_f64_e32 v1, s[2:3]
	global_store_short v[5:6], v1, off
.LBB47_638:
	s_mov_b64 s[6:7], 0
.LBB47_639:
	s_andn2_b64 vcc, exec, s[6:7]
	s_cbranch_vccnz .LBB47_644
; %bb.640:
	s_cmp_gt_i32 s8, 0
	s_mov_b64 s[6:7], -1
	s_cbranch_scc0 .LBB47_642
; %bb.641:
	v_cvt_i32_f64_e32 v1, s[2:3]
	s_mov_b64 s[6:7], 0
	global_store_byte v[5:6], v1, off
.LBB47_642:
	s_andn2_b64 vcc, exec, s[6:7]
	s_cbranch_vccnz .LBB47_644
; %bb.643:
	v_trunc_f64_e32 v[7:8], s[2:3]
	s_movk_i32 s6, 0xffe0
	v_ldexp_f64 v[9:10], v[7:8], s6
	s_mov_b32 s6, 0
	s_mov_b32 s7, 0xc1f00000
	v_floor_f64_e32 v[9:10], v[9:10]
	v_fma_f64 v[7:8], v[9:10], s[6:7], v[7:8]
	v_cvt_u32_f64_e32 v1, v[7:8]
	global_store_byte v[5:6], v1, off
.LBB47_644:
.LBB47_645:
	v_mov_b32_e32 v1, s1
	s_and_b32 s15, 0xffff, s14
	v_add_co_u32_e32 v3, vcc, s0, v4
	s_cmp_lt_i32 s15, 11
	v_addc_co_u32_e32 v4, vcc, 0, v1, vcc
	s_cbranch_scc1 .LBB47_673
; %bb.646:
	s_mov_b64 s[12:13], -1
	s_mov_b64 s[8:9], 0
	s_cmp_gt_i32 s15, 25
	s_mov_b64 s[10:11], 0
	s_mov_b64 s[6:7], 0
	s_cbranch_scc0 .LBB47_684
; %bb.647:
	s_cmp_gt_i32 s15, 28
	s_cbranch_scc0 .LBB47_662
; %bb.648:
	s_cmp_gt_i32 s15, 43
	;; [unrolled: 3-line block ×3, first 2 shown]
	s_cbranch_scc0 .LBB47_652
; %bb.650:
	s_mov_b64 s[6:7], -1
	s_mov_b64 s[12:13], 0
	s_cmp_eq_u32 s15, 46
	s_cbranch_scc0 .LBB47_652
; %bb.651:
	v_cvt_f32_f64_e32 v1, s[2:3]
	v_mov_b32_e32 v5, 0x7fc0
	s_mov_b64 s[6:7], 0
	s_mov_b64 s[10:11], -1
	v_bfe_u32 v6, v1, 16, 1
	v_cmp_o_f32_e32 vcc, v1, v1
	v_add_u32_e32 v1, v1, v6
	v_add_u32_e32 v1, 0x7fff, v1
	v_cndmask_b32_sdwa v1, v5, v1, vcc dst_sel:DWORD dst_unused:UNUSED_PAD src0_sel:DWORD src1_sel:WORD_1
	global_store_dword v[3:4], v1, off
.LBB47_652:
	s_and_b64 vcc, exec, s[12:13]
	s_cbranch_vccz .LBB47_657
; %bb.653:
	s_cmp_eq_u32 s15, 44
	s_mov_b64 s[6:7], -1
	s_cbranch_scc0 .LBB47_657
; %bb.654:
	v_cvt_f32_f64_e32 v1, s[2:3]
	v_mov_b32_e32 v5, 0xff
	v_readfirstlane_b32 s6, v1
	s_bfe_u32 s7, s6, 0x80017
	s_cmpk_eq_i32 s7, 0xff
	s_cbranch_scc1 .LBB47_656
; %bb.655:
	s_bitcmp1_b32 s6, 22
	s_cselect_b64 s[10:11], -1, 0
	s_and_b32 s6, s6, 0x3fffff
	s_or_b32 s6, s7, s6
	s_cmp_lg_u32 s6, 0
	s_cselect_b64 s[6:7], -1, 0
	s_and_b64 s[6:7], s[10:11], s[6:7]
	v_lshrrev_b32_e32 v1, 23, v1
	v_cndmask_b32_e64 v5, 0, 1, s[6:7]
	v_add_u32_e32 v5, v1, v5
.LBB47_656:
	s_mov_b64 s[6:7], 0
	s_mov_b64 s[10:11], -1
	global_store_byte v[3:4], v5, off
.LBB47_657:
	s_mov_b64 s[12:13], 0
.LBB47_658:
	s_and_b64 vcc, exec, s[12:13]
	s_cbranch_vccz .LBB47_661
; %bb.659:
	s_cmp_eq_u32 s15, 29
	s_mov_b64 s[6:7], -1
	s_cbranch_scc0 .LBB47_661
; %bb.660:
	v_trunc_f64_e32 v[5:6], s[2:3]
	s_movk_i32 s6, 0xffe0
	s_mov_b64 s[10:11], -1
	v_ldexp_f64 v[7:8], v[5:6], s6
	s_mov_b32 s6, 0
	s_mov_b32 s7, 0xc1f00000
	v_floor_f64_e32 v[7:8], v[7:8]
	v_fma_f64 v[5:6], v[7:8], s[6:7], v[5:6]
	v_cvt_u32_f64_e32 v7, v[7:8]
	s_mov_b64 s[6:7], 0
	v_cvt_u32_f64_e32 v6, v[5:6]
	global_store_dwordx2 v[3:4], v[6:7], off
.LBB47_661:
	s_mov_b64 s[12:13], 0
.LBB47_662:
	s_and_b64 vcc, exec, s[12:13]
	s_cbranch_vccz .LBB47_683
; %bb.663:
	s_cmp_lt_i32 s15, 27
	s_mov_b64 s[10:11], -1
	s_cbranch_scc1 .LBB47_669
; %bb.664:
	s_cmp_gt_i32 s15, 27
	s_cbranch_scc0 .LBB47_666
; %bb.665:
	v_cvt_u32_f64_e32 v1, s[2:3]
	s_mov_b64 s[10:11], 0
	global_store_dword v[3:4], v1, off
.LBB47_666:
	s_andn2_b64 vcc, exec, s[10:11]
	s_cbranch_vccnz .LBB47_668
; %bb.667:
	v_cvt_u32_f64_e32 v1, s[2:3]
	global_store_short v[3:4], v1, off
.LBB47_668:
	s_mov_b64 s[10:11], 0
.LBB47_669:
	s_andn2_b64 vcc, exec, s[10:11]
	s_cbranch_vccnz .LBB47_682
; %bb.670:
	v_cvt_f32_f64_e32 v1, s[2:3]
	v_mov_b32_e32 v5, 0x80
	v_readfirstlane_b32 s16, v1
	s_and_b32 s10, s16, 0x7fffffff
	s_cmp_gt_u32 s10, 0x437fffff
	s_cbranch_scc1 .LBB47_681
; %bb.671:
	s_cmp_gt_u32 s10, 0x3bffffff
	s_cbranch_scc0 .LBB47_676
; %bb.672:
	s_bfe_u32 s10, s16, 0x10014
	s_add_i32 s10, s16, s10
	s_add_i32 s10, s10, 0x487ffff
	s_lshr_b32 s17, s10, 20
	s_mov_b64 s[12:13], 0
	s_mov_b64 s[10:11], -1
	s_branch .LBB47_677
.LBB47_673:
	s_mov_b64 s[10:11], 0
	s_cbranch_execnz .LBB47_734
.LBB47_674:
	s_andn2_b64 vcc, exec, s[10:11]
	s_cbranch_vccz .LBB47_772
	s_branch .LBB47_943
.LBB47_675:
	s_or_b64 s[4:5], s[20:21], exec
	s_trap 2
	s_cbranch_execz .LBB47_605
	s_branch .LBB47_606
.LBB47_676:
	s_mov_b64 s[12:13], -1
	s_mov_b64 s[10:11], 0
                                        ; implicit-def: $sgpr17
.LBB47_677:
	s_andn2_b64 vcc, exec, s[12:13]
	v_mov_b32_e32 v1, s17
	s_cbranch_vccnz .LBB47_679
; %bb.678:
	v_mov_b32_e32 v1, 0x46000000
	v_add_f32_e64 v1, |s16|, v1
	v_and_b32_e32 v1, 0xff, v1
	v_cmp_ne_u32_e64 s[10:11], 0, v1
.LBB47_679:
	s_andn2_b64 vcc, exec, s[10:11]
	v_mov_b32_e32 v5, 0
	s_cbranch_vccnz .LBB47_681
; %bb.680:
	s_lshr_b32 s10, s16, 24
	s_and_b32 s10, s10, 0x80
	v_or_b32_e32 v5, s10, v1
.LBB47_681:
	global_store_byte v[3:4], v5, off
.LBB47_682:
	s_mov_b64 s[10:11], -1
.LBB47_683:
	s_mov_b64 s[12:13], 0
.LBB47_684:
	s_and_b64 vcc, exec, s[12:13]
	s_cbranch_vccz .LBB47_730
; %bb.685:
	s_cmp_gt_i32 s15, 22
	s_mov_b64 s[8:9], -1
	s_cbranch_scc0 .LBB47_723
; %bb.686:
	s_cmp_lt_i32 s15, 24
	s_cbranch_scc1 .LBB47_710
; %bb.687:
	s_cmp_gt_i32 s15, 24
	s_cbranch_scc0 .LBB47_697
; %bb.688:
	v_cvt_f32_f64_e32 v1, s[2:3]
	v_mov_b32_e32 v5, 0x80
	v_readfirstlane_b32 s12, v1
	s_and_b32 s8, s12, 0x7fffffff
	s_cmp_gt_u32 s8, 0x477fffff
	s_cbranch_scc1 .LBB47_696
; %bb.689:
	s_cmp_gt_u32 s8, 0x37ffffff
	s_cbranch_scc0 .LBB47_691
; %bb.690:
	s_bfe_u32 s8, s12, 0x10015
	s_add_i32 s8, s12, s8
	s_add_i32 s8, s8, 0x88fffff
	s_lshr_b32 s13, s8, 21
	s_mov_b64 s[10:11], 0
	s_mov_b64 s[8:9], -1
	s_branch .LBB47_692
.LBB47_691:
	s_mov_b64 s[10:11], -1
	s_mov_b64 s[8:9], 0
                                        ; implicit-def: $sgpr13
.LBB47_692:
	s_andn2_b64 vcc, exec, s[10:11]
	v_mov_b32_e32 v1, s13
	s_cbranch_vccnz .LBB47_694
; %bb.693:
	v_mov_b32_e32 v1, 0x42800000
	v_add_f32_e64 v1, |s12|, v1
	v_and_b32_e32 v1, 0xff, v1
	v_cmp_ne_u32_e64 s[8:9], 0, v1
.LBB47_694:
	s_andn2_b64 vcc, exec, s[8:9]
	v_mov_b32_e32 v5, 0
	s_cbranch_vccnz .LBB47_696
; %bb.695:
	s_lshr_b32 s8, s12, 24
	s_and_b32 s8, s8, 0x80
	v_or_b32_e32 v5, s8, v1
.LBB47_696:
	s_mov_b64 s[8:9], 0
	global_store_byte v[3:4], v5, off
.LBB47_697:
	s_and_b64 vcc, exec, s[8:9]
	s_cbranch_vccz .LBB47_709
; %bb.698:
	v_cvt_f32_f64_e32 v1, s[2:3]
	v_readfirstlane_b32 s10, v1
	s_and_b32 s11, s10, 0x7fffffff
	s_cmp_lt_u32 s11, 0x43f00000
	s_cbranch_scc0 .LBB47_701
; %bb.699:
	s_cmp_gt_u32 s11, 0x3c7fffff
	s_cbranch_scc0 .LBB47_702
; %bb.700:
	s_bfe_u32 s8, s10, 0x10014
	s_add_i32 s8, s10, s8
	s_add_i32 s8, s8, 0x407ffff
	s_lshr_b32 s9, s8, 20
	s_and_b32 s8, s8, 0xff00000
	s_cmp_lg_u32 s8, 0x7f00000
	s_cselect_b32 s12, s9, 0x7e
	s_mov_b64 s[8:9], 0
	s_branch .LBB47_703
.LBB47_701:
	s_mov_b64 s[8:9], -1
                                        ; implicit-def: $vgpr5
	s_branch .LBB47_706
.LBB47_702:
	s_mov_b64 s[8:9], -1
                                        ; implicit-def: $sgpr12
.LBB47_703:
	s_andn2_b64 vcc, exec, s[8:9]
	v_mov_b32_e32 v5, s12
	s_cbranch_vccnz .LBB47_705
; %bb.704:
	s_mov_b32 s8, 0x46800000
	v_add_f32_e64 v5, |v1|, s8
.LBB47_705:
	s_mov_b64 s[8:9], 0
.LBB47_706:
	s_andn2_b64 vcc, exec, s[8:9]
	s_cbranch_vccnz .LBB47_708
; %bb.707:
	s_cmp_gt_u32 s11, 0x7f800000
	s_movk_i32 s8, 0x7f
	s_cselect_b32 s8, s8, 0x7e
	v_mov_b32_e32 v5, s8
.LBB47_708:
	s_lshr_b32 s8, s10, 24
	s_and_b32 s8, s8, 0x80
	v_or_b32_e32 v1, s8, v5
	global_store_byte v[3:4], v1, off
.LBB47_709:
	s_mov_b64 s[8:9], 0
.LBB47_710:
	s_andn2_b64 vcc, exec, s[8:9]
	s_cbranch_vccnz .LBB47_722
; %bb.711:
	v_cvt_f32_f64_e32 v1, s[2:3]
	v_readfirstlane_b32 s10, v1
	s_and_b32 s11, s10, 0x7fffffff
	s_cmp_lt_u32 s11, 0x47800000
	s_cbranch_scc0 .LBB47_714
; %bb.712:
	s_cmp_gt_u32 s11, 0x387fffff
	s_cbranch_scc0 .LBB47_715
; %bb.713:
	s_bfe_u32 s8, s10, 0x10015
	s_add_i32 s8, s10, s8
	s_add_i32 s8, s8, 0x80fffff
	s_lshr_b32 s12, s8, 21
	s_mov_b64 s[8:9], 0
	s_branch .LBB47_716
.LBB47_714:
	s_mov_b64 s[8:9], -1
                                        ; implicit-def: $vgpr5
	s_branch .LBB47_719
.LBB47_715:
	s_mov_b64 s[8:9], -1
                                        ; implicit-def: $sgpr12
.LBB47_716:
	s_andn2_b64 vcc, exec, s[8:9]
	v_mov_b32_e32 v5, s12
	s_cbranch_vccnz .LBB47_718
; %bb.717:
	s_mov_b32 s8, 0x43000000
	v_add_f32_e64 v5, |v1|, s8
.LBB47_718:
	s_mov_b64 s[8:9], 0
.LBB47_719:
	s_andn2_b64 vcc, exec, s[8:9]
	s_cbranch_vccnz .LBB47_721
; %bb.720:
	s_cmp_gt_u32 s11, 0x7f800000
	s_movk_i32 s8, 0x7f
	s_cselect_b32 s8, s8, 0x7c
	v_mov_b32_e32 v5, s8
.LBB47_721:
	s_lshr_b32 s8, s10, 24
	s_and_b32 s8, s8, 0x80
	v_or_b32_e32 v1, s8, v5
	global_store_byte v[3:4], v1, off
.LBB47_722:
	s_mov_b64 s[8:9], 0
	s_mov_b64 s[10:11], -1
.LBB47_723:
	s_andn2_b64 vcc, exec, s[8:9]
	s_mov_b64 s[8:9], 0
	s_cbranch_vccnz .LBB47_730
; %bb.724:
	s_cmp_gt_i32 s15, 14
	s_mov_b64 s[12:13], -1
	s_cbranch_scc0 .LBB47_728
; %bb.725:
	s_cmp_eq_u32 s15, 15
	s_mov_b64 s[6:7], -1
	s_cbranch_scc0 .LBB47_727
; %bb.726:
	v_cvt_f32_f64_e32 v1, s[2:3]
	v_mov_b32_e32 v5, 0x7fc0
	s_mov_b64 s[6:7], 0
	s_mov_b64 s[10:11], -1
	v_bfe_u32 v6, v1, 16, 1
	v_cmp_o_f32_e32 vcc, v1, v1
	v_add_u32_e32 v1, v1, v6
	v_add_u32_e32 v1, 0x7fff, v1
	v_cndmask_b32_sdwa v1, v5, v1, vcc dst_sel:DWORD dst_unused:UNUSED_PAD src0_sel:DWORD src1_sel:WORD_1
	global_store_short v[3:4], v1, off
.LBB47_727:
	s_mov_b64 s[12:13], 0
.LBB47_728:
	s_and_b64 vcc, exec, s[12:13]
	s_cbranch_vccz .LBB47_730
; %bb.729:
	s_cmp_lg_u32 s15, 11
	s_mov_b64 s[8:9], -1
	s_cselect_b64 s[6:7], -1, 0
.LBB47_730:
	s_and_b64 vcc, exec, s[6:7]
	s_cbranch_vccnz .LBB47_832
; %bb.731:
	s_andn2_b64 vcc, exec, s[8:9]
	s_cbranch_vccnz .LBB47_733
.LBB47_732:
	v_cmp_neq_f64_e64 s[6:7], s[2:3], 0
	s_mov_b64 s[10:11], -1
	v_cndmask_b32_e64 v1, 0, 1, s[6:7]
	global_store_byte v[3:4], v1, off
.LBB47_733:
	s_branch .LBB47_674
.LBB47_734:
	s_cmp_lt_i32 s15, 5
	s_mov_b64 s[6:7], -1
	s_cbranch_scc1 .LBB47_755
; %bb.735:
	s_cmp_lt_i32 s15, 8
	s_cbranch_scc1 .LBB47_745
; %bb.736:
	s_cmp_lt_i32 s15, 9
	s_cbranch_scc1 .LBB47_742
; %bb.737:
	s_cmp_gt_i32 s15, 9
	s_cbranch_scc0 .LBB47_739
; %bb.738:
	v_mov_b32_e32 v7, 0
	v_mov_b32_e32 v5, s2
	;; [unrolled: 1-line block ×4, first 2 shown]
	global_store_dwordx4 v[3:4], v[5:8], off
	s_mov_b64 s[6:7], 0
.LBB47_739:
	s_andn2_b64 vcc, exec, s[6:7]
	s_cbranch_vccnz .LBB47_741
; %bb.740:
	v_cvt_f32_f64_e32 v5, s[2:3]
	v_mov_b32_e32 v6, 0
	global_store_dwordx2 v[3:4], v[5:6], off
.LBB47_741:
	s_mov_b64 s[6:7], 0
.LBB47_742:
	s_andn2_b64 vcc, exec, s[6:7]
	s_cbranch_vccnz .LBB47_744
; %bb.743:
	s_lshr_b32 s6, s3, 8
	s_and_b32 s8, s6, 0xffe
	s_and_b32 s6, s3, 0x1ff
	s_or_b32 s6, s6, s2
	s_cmp_lg_u32 s6, 0
	s_cselect_b64 s[6:7], -1, 0
	v_cndmask_b32_e64 v1, 0, 1, s[6:7]
	v_readfirstlane_b32 s6, v1
	s_or_b32 s6, s8, s6
	s_bfe_u32 s8, s3, 0xb0014
	s_sub_i32 s9, 0x3f1, s8
	v_med3_i32 v1, s9, 0, 13
	s_or_b32 s7, s6, 0x1000
	v_readfirstlane_b32 s9, v1
	s_lshr_b32 s10, s7, s9
	s_lshl_b32 s9, s10, s9
	s_cmp_lg_u32 s9, s7
	s_cselect_b32 s7, 1, 0
	s_addk_i32 s8, 0xfc10
	s_lshl_b32 s9, s8, 12
	s_or_b32 s7, s10, s7
	s_or_b32 s9, s6, s9
	s_cmp_lt_i32 s8, 1
	s_cselect_b32 s7, s7, s9
	s_and_b32 s9, s7, 7
	s_cmp_gt_i32 s9, 5
	s_cselect_b32 s10, 1, 0
	s_cmp_eq_u32 s9, 3
	s_cselect_b32 s9, 1, 0
	s_or_b32 s9, s9, s10
	s_lshr_b32 s7, s7, 2
	s_add_i32 s7, s7, s9
	s_cmp_lt_i32 s8, 31
	s_cselect_b32 s7, s7, 0x7c00
	s_cmp_lg_u32 s6, 0
	s_movk_i32 s6, 0x7e00
	s_cselect_b32 s6, s6, 0x7c00
	s_cmpk_eq_i32 s8, 0x40f
	s_cselect_b32 s6, s6, s7
	s_lshr_b32 s7, s3, 16
	s_and_b32 s7, s7, 0x8000
	s_or_b32 s6, s7, s6
	s_and_b32 s6, s6, 0xffff
	v_mov_b32_e32 v1, s6
	global_store_dword v[3:4], v1, off
.LBB47_744:
	s_mov_b64 s[6:7], 0
.LBB47_745:
	s_andn2_b64 vcc, exec, s[6:7]
	s_cbranch_vccnz .LBB47_754
; %bb.746:
	s_cmp_lt_i32 s15, 6
	s_mov_b64 s[6:7], -1
	s_cbranch_scc1 .LBB47_752
; %bb.747:
	s_cmp_gt_i32 s15, 6
	s_cbranch_scc0 .LBB47_749
; %bb.748:
	v_mov_b32_e32 v6, s3
	v_mov_b32_e32 v5, s2
	global_store_dwordx2 v[3:4], v[5:6], off
	s_mov_b64 s[6:7], 0
.LBB47_749:
	s_andn2_b64 vcc, exec, s[6:7]
	s_cbranch_vccnz .LBB47_751
; %bb.750:
	v_cvt_f32_f64_e32 v1, s[2:3]
	global_store_dword v[3:4], v1, off
.LBB47_751:
	s_mov_b64 s[6:7], 0
.LBB47_752:
	s_andn2_b64 vcc, exec, s[6:7]
	s_cbranch_vccnz .LBB47_754
; %bb.753:
	s_lshr_b32 s6, s3, 8
	s_and_b32 s8, s6, 0xffe
	s_and_b32 s6, s3, 0x1ff
	s_or_b32 s6, s6, s2
	s_cmp_lg_u32 s6, 0
	s_cselect_b64 s[6:7], -1, 0
	v_cndmask_b32_e64 v1, 0, 1, s[6:7]
	v_readfirstlane_b32 s6, v1
	s_or_b32 s6, s8, s6
	s_bfe_u32 s8, s3, 0xb0014
	s_sub_i32 s9, 0x3f1, s8
	v_med3_i32 v1, s9, 0, 13
	s_or_b32 s7, s6, 0x1000
	v_readfirstlane_b32 s9, v1
	s_lshr_b32 s10, s7, s9
	s_lshl_b32 s9, s10, s9
	s_cmp_lg_u32 s9, s7
	s_cselect_b32 s7, 1, 0
	s_addk_i32 s8, 0xfc10
	s_lshl_b32 s9, s8, 12
	s_or_b32 s7, s10, s7
	s_or_b32 s9, s6, s9
	s_cmp_lt_i32 s8, 1
	s_cselect_b32 s7, s7, s9
	s_and_b32 s9, s7, 7
	s_cmp_gt_i32 s9, 5
	s_cselect_b32 s10, 1, 0
	s_cmp_eq_u32 s9, 3
	s_cselect_b32 s9, 1, 0
	s_or_b32 s9, s9, s10
	s_lshr_b32 s7, s7, 2
	s_add_i32 s7, s7, s9
	s_cmp_lt_i32 s8, 31
	s_cselect_b32 s7, s7, 0x7c00
	s_cmp_lg_u32 s6, 0
	s_movk_i32 s6, 0x7e00
	s_cselect_b32 s6, s6, 0x7c00
	s_cmpk_eq_i32 s8, 0x40f
	s_cselect_b32 s6, s6, s7
	s_lshr_b32 s7, s3, 16
	s_and_b32 s7, s7, 0x8000
	s_or_b32 s6, s7, s6
	v_mov_b32_e32 v1, s6
	global_store_short v[3:4], v1, off
.LBB47_754:
	s_mov_b64 s[6:7], 0
.LBB47_755:
	s_andn2_b64 vcc, exec, s[6:7]
	s_cbranch_vccnz .LBB47_771
; %bb.756:
	s_cmp_lt_i32 s15, 2
	s_mov_b64 s[6:7], -1
	s_cbranch_scc1 .LBB47_766
; %bb.757:
	s_cmp_lt_i32 s15, 3
	s_cbranch_scc1 .LBB47_763
; %bb.758:
	s_cmp_gt_i32 s15, 3
	s_cbranch_scc0 .LBB47_760
; %bb.759:
	v_trunc_f64_e32 v[5:6], s[2:3]
	s_movk_i32 s6, 0xffe0
	v_ldexp_f64 v[7:8], v[5:6], s6
	s_mov_b32 s6, 0
	s_mov_b32 s7, 0xc1f00000
	v_floor_f64_e32 v[7:8], v[7:8]
	v_fma_f64 v[5:6], v[7:8], s[6:7], v[5:6]
	v_cvt_i32_f64_e32 v7, v[7:8]
	s_mov_b64 s[6:7], 0
	v_cvt_u32_f64_e32 v6, v[5:6]
	global_store_dwordx2 v[3:4], v[6:7], off
.LBB47_760:
	s_andn2_b64 vcc, exec, s[6:7]
	s_cbranch_vccnz .LBB47_762
; %bb.761:
	v_cvt_i32_f64_e32 v1, s[2:3]
	global_store_dword v[3:4], v1, off
.LBB47_762:
	s_mov_b64 s[6:7], 0
.LBB47_763:
	s_andn2_b64 vcc, exec, s[6:7]
	s_cbranch_vccnz .LBB47_765
; %bb.764:
	v_cvt_i32_f64_e32 v1, s[2:3]
	global_store_short v[3:4], v1, off
.LBB47_765:
	s_mov_b64 s[6:7], 0
.LBB47_766:
	s_andn2_b64 vcc, exec, s[6:7]
	s_cbranch_vccnz .LBB47_771
; %bb.767:
	s_cmp_gt_i32 s15, 0
	s_mov_b64 s[6:7], -1
	s_cbranch_scc0 .LBB47_769
; %bb.768:
	v_cvt_i32_f64_e32 v1, s[2:3]
	s_mov_b64 s[6:7], 0
	global_store_byte v[3:4], v1, off
.LBB47_769:
	s_andn2_b64 vcc, exec, s[6:7]
	s_cbranch_vccnz .LBB47_771
; %bb.770:
	v_trunc_f64_e32 v[5:6], s[2:3]
	s_movk_i32 s6, 0xffe0
	v_ldexp_f64 v[7:8], v[5:6], s6
	s_mov_b32 s6, 0
	s_mov_b32 s7, 0xc1f00000
	v_floor_f64_e32 v[7:8], v[7:8]
	v_fma_f64 v[5:6], v[7:8], s[6:7], v[5:6]
	v_cvt_u32_f64_e32 v1, v[5:6]
	global_store_byte v[3:4], v1, off
.LBB47_771:
.LBB47_772:
	v_mov_b32_e32 v3, s1
	v_add_co_u32_e32 v1, vcc, s0, v2
	s_cmp_lt_i32 s15, 11
	v_addc_co_u32_e32 v2, vcc, 0, v3, vcc
	s_cbranch_scc1 .LBB47_800
; %bb.773:
	s_mov_b64 s[12:13], -1
	s_mov_b64 s[8:9], 0
	s_cmp_gt_i32 s15, 25
	s_mov_b64 s[10:11], 0
	s_mov_b64 s[6:7], 0
	s_cbranch_scc0 .LBB47_841
; %bb.774:
	s_cmp_gt_i32 s15, 28
	s_cbranch_scc0 .LBB47_789
; %bb.775:
	s_cmp_gt_i32 s15, 43
	;; [unrolled: 3-line block ×3, first 2 shown]
	s_cbranch_scc0 .LBB47_779
; %bb.777:
	s_mov_b64 s[6:7], -1
	s_mov_b64 s[12:13], 0
	s_cmp_eq_u32 s15, 46
	s_cbranch_scc0 .LBB47_779
; %bb.778:
	v_cvt_f32_f64_e32 v3, s[2:3]
	v_mov_b32_e32 v4, 0x7fc0
	s_mov_b64 s[6:7], 0
	s_mov_b64 s[10:11], -1
	v_bfe_u32 v5, v3, 16, 1
	v_cmp_o_f32_e32 vcc, v3, v3
	v_add_u32_e32 v3, v3, v5
	v_add_u32_e32 v3, 0x7fff, v3
	v_cndmask_b32_sdwa v3, v4, v3, vcc dst_sel:DWORD dst_unused:UNUSED_PAD src0_sel:DWORD src1_sel:WORD_1
	global_store_dword v[1:2], v3, off
.LBB47_779:
	s_and_b64 vcc, exec, s[12:13]
	s_cbranch_vccz .LBB47_784
; %bb.780:
	s_cmp_eq_u32 s15, 44
	s_mov_b64 s[6:7], -1
	s_cbranch_scc0 .LBB47_784
; %bb.781:
	v_cvt_f32_f64_e32 v3, s[2:3]
	v_mov_b32_e32 v4, 0xff
	v_readfirstlane_b32 s6, v3
	s_bfe_u32 s7, s6, 0x80017
	s_cmpk_eq_i32 s7, 0xff
	s_cbranch_scc1 .LBB47_783
; %bb.782:
	s_bitcmp1_b32 s6, 22
	s_cselect_b64 s[10:11], -1, 0
	s_and_b32 s6, s6, 0x3fffff
	s_or_b32 s6, s7, s6
	s_cmp_lg_u32 s6, 0
	s_cselect_b64 s[6:7], -1, 0
	s_and_b64 s[6:7], s[10:11], s[6:7]
	v_lshrrev_b32_e32 v3, 23, v3
	v_cndmask_b32_e64 v4, 0, 1, s[6:7]
	v_add_u32_e32 v4, v3, v4
.LBB47_783:
	s_mov_b64 s[6:7], 0
	s_mov_b64 s[10:11], -1
	global_store_byte v[1:2], v4, off
.LBB47_784:
	s_mov_b64 s[12:13], 0
.LBB47_785:
	s_and_b64 vcc, exec, s[12:13]
	s_cbranch_vccz .LBB47_788
; %bb.786:
	s_cmp_eq_u32 s15, 29
	s_mov_b64 s[6:7], -1
	s_cbranch_scc0 .LBB47_788
; %bb.787:
	v_trunc_f64_e32 v[3:4], s[2:3]
	s_movk_i32 s6, 0xffe0
	s_mov_b64 s[10:11], -1
	v_ldexp_f64 v[5:6], v[3:4], s6
	s_mov_b32 s6, 0
	s_mov_b32 s7, 0xc1f00000
	v_floor_f64_e32 v[5:6], v[5:6]
	v_fma_f64 v[3:4], v[5:6], s[6:7], v[3:4]
	v_cvt_u32_f64_e32 v5, v[5:6]
	s_mov_b64 s[6:7], 0
	v_cvt_u32_f64_e32 v4, v[3:4]
	global_store_dwordx2 v[1:2], v[4:5], off
.LBB47_788:
	s_mov_b64 s[12:13], 0
.LBB47_789:
	s_and_b64 vcc, exec, s[12:13]
	s_cbranch_vccz .LBB47_840
; %bb.790:
	s_cmp_lt_i32 s15, 27
	s_mov_b64 s[10:11], -1
	s_cbranch_scc1 .LBB47_796
; %bb.791:
	s_cmp_gt_i32 s15, 27
	s_cbranch_scc0 .LBB47_793
; %bb.792:
	v_cvt_u32_f64_e32 v3, s[2:3]
	s_mov_b64 s[10:11], 0
	global_store_dword v[1:2], v3, off
.LBB47_793:
	s_andn2_b64 vcc, exec, s[10:11]
	s_cbranch_vccnz .LBB47_795
; %bb.794:
	v_cvt_u32_f64_e32 v3, s[2:3]
	global_store_short v[1:2], v3, off
.LBB47_795:
	s_mov_b64 s[10:11], 0
.LBB47_796:
	s_andn2_b64 vcc, exec, s[10:11]
	s_cbranch_vccnz .LBB47_839
; %bb.797:
	v_cvt_f32_f64_e32 v3, s[2:3]
	v_mov_b32_e32 v4, 0x80
	v_readfirstlane_b32 s16, v3
	s_and_b32 s10, s16, 0x7fffffff
	s_cmp_gt_u32 s10, 0x437fffff
	s_cbranch_scc1 .LBB47_838
; %bb.798:
	s_cmp_gt_u32 s10, 0x3bffffff
	s_cbranch_scc0 .LBB47_833
; %bb.799:
	s_bfe_u32 s10, s16, 0x10014
	s_add_i32 s10, s16, s10
	s_add_i32 s10, s10, 0x487ffff
	s_lshr_b32 s17, s10, 20
	s_mov_b64 s[12:13], 0
	s_mov_b64 s[10:11], -1
	s_branch .LBB47_834
.LBB47_800:
	s_mov_b64 s[10:11], 0
	s_cbranch_execnz .LBB47_905
.LBB47_801:
	s_andn2_b64 vcc, exec, s[10:11]
	s_cbranch_vccnz .LBB47_943
.LBB47_802:
	v_mov_b32_e32 v1, s1
	v_add_co_u32_e32 v0, vcc, s0, v0
	s_cmp_lt_i32 s15, 11
	v_addc_co_u32_e32 v1, vcc, 0, v1, vcc
	s_cbranch_scc1 .LBB47_831
; %bb.803:
	s_mov_b64 s[8:9], -1
	s_mov_b64 s[6:7], 0
	s_cmp_gt_i32 s15, 25
	s_mov_b64 s[0:1], 0
	s_cbranch_scc0 .LBB47_855
; %bb.804:
	s_cmp_gt_i32 s15, 28
	s_cbranch_scc0 .LBB47_820
; %bb.805:
	s_cmp_gt_i32 s15, 43
	;; [unrolled: 3-line block ×3, first 2 shown]
	s_cbranch_scc0 .LBB47_810
; %bb.807:
	s_cmp_eq_u32 s15, 46
	s_mov_b64 s[0:1], -1
	s_cbranch_scc0 .LBB47_809
; %bb.808:
	v_cvt_f32_f64_e32 v2, s[2:3]
	v_mov_b32_e32 v3, 0x7fc0
	s_mov_b64 s[0:1], 0
	v_bfe_u32 v4, v2, 16, 1
	v_cmp_o_f32_e32 vcc, v2, v2
	v_add_u32_e32 v2, v2, v4
	v_add_u32_e32 v2, 0x7fff, v2
	v_cndmask_b32_sdwa v2, v3, v2, vcc dst_sel:DWORD dst_unused:UNUSED_PAD src0_sel:DWORD src1_sel:WORD_1
	global_store_dword v[0:1], v2, off
.LBB47_809:
	s_mov_b64 s[8:9], 0
.LBB47_810:
	s_and_b64 vcc, exec, s[8:9]
	s_cbranch_vccz .LBB47_815
; %bb.811:
	s_cmp_eq_u32 s15, 44
	s_mov_b64 s[0:1], -1
	s_cbranch_scc0 .LBB47_815
; %bb.812:
	v_cvt_f32_f64_e32 v2, s[2:3]
	v_mov_b32_e32 v3, 0xff
	v_readfirstlane_b32 s0, v2
	s_bfe_u32 s1, s0, 0x80017
	s_cmpk_eq_i32 s1, 0xff
	s_cbranch_scc1 .LBB47_814
; %bb.813:
	s_bitcmp1_b32 s0, 22
	s_cselect_b64 s[8:9], -1, 0
	s_and_b32 s0, s0, 0x3fffff
	s_or_b32 s0, s1, s0
	s_cmp_lg_u32 s0, 0
	s_cselect_b64 s[0:1], -1, 0
	s_and_b64 s[0:1], s[8:9], s[0:1]
	v_lshrrev_b32_e32 v2, 23, v2
	v_cndmask_b32_e64 v3, 0, 1, s[0:1]
	v_add_u32_e32 v3, v2, v3
.LBB47_814:
	s_mov_b64 s[0:1], 0
	global_store_byte v[0:1], v3, off
.LBB47_815:
	s_mov_b64 s[8:9], 0
.LBB47_816:
	s_and_b64 vcc, exec, s[8:9]
	s_cbranch_vccz .LBB47_819
; %bb.817:
	s_cmp_eq_u32 s15, 29
	s_mov_b64 s[0:1], -1
	s_cbranch_scc0 .LBB47_819
; %bb.818:
	v_trunc_f64_e32 v[2:3], s[2:3]
	s_movk_i32 s0, 0xffe0
	v_ldexp_f64 v[4:5], v[2:3], s0
	s_mov_b32 s0, 0
	s_mov_b32 s1, 0xc1f00000
	v_floor_f64_e32 v[4:5], v[4:5]
	v_fma_f64 v[2:3], v[4:5], s[0:1], v[2:3]
	v_cvt_u32_f64_e32 v4, v[4:5]
	s_mov_b64 s[0:1], 0
	v_cvt_u32_f64_e32 v3, v[2:3]
	global_store_dwordx2 v[0:1], v[3:4], off
.LBB47_819:
	s_mov_b64 s[8:9], 0
.LBB47_820:
	s_and_b64 vcc, exec, s[8:9]
	s_cbranch_vccz .LBB47_854
; %bb.821:
	s_cmp_lt_i32 s15, 27
	s_mov_b64 s[8:9], -1
	s_cbranch_scc1 .LBB47_827
; %bb.822:
	v_cvt_u32_f64_e32 v2, s[2:3]
	s_cmp_gt_i32 s15, 27
	s_cbranch_scc0 .LBB47_824
; %bb.823:
	global_store_dword v[0:1], v2, off
	s_mov_b64 s[8:9], 0
.LBB47_824:
	s_andn2_b64 vcc, exec, s[8:9]
	s_cbranch_vccnz .LBB47_826
; %bb.825:
	global_store_short v[0:1], v2, off
.LBB47_826:
	s_mov_b64 s[8:9], 0
.LBB47_827:
	s_andn2_b64 vcc, exec, s[8:9]
	s_cbranch_vccnz .LBB47_854
; %bb.828:
	v_cvt_f32_f64_e32 v2, s[2:3]
	v_mov_b32_e32 v3, 0x80
	v_readfirstlane_b32 s12, v2
	s_and_b32 s8, s12, 0x7fffffff
	s_cmp_gt_u32 s8, 0x437fffff
	s_cbranch_scc1 .LBB47_853
; %bb.829:
	s_cmp_gt_u32 s8, 0x3bffffff
	s_cbranch_scc0 .LBB47_848
; %bb.830:
	s_bfe_u32 s8, s12, 0x10014
	s_add_i32 s8, s12, s8
	s_add_i32 s8, s8, 0x487ffff
	s_lshr_b32 s13, s8, 20
	s_mov_b64 s[10:11], 0
	s_mov_b64 s[8:9], -1
	s_branch .LBB47_849
.LBB47_831:
	s_mov_b64 s[6:7], 0
	s_mov_b64 s[0:1], -1
	s_branch .LBB47_944
.LBB47_832:
	s_trap 2
	s_or_b64 s[4:5], s[4:5], exec
	s_cbranch_execz .LBB47_732
	s_branch .LBB47_733
.LBB47_833:
	s_mov_b64 s[12:13], -1
	s_mov_b64 s[10:11], 0
                                        ; implicit-def: $sgpr17
.LBB47_834:
	s_andn2_b64 vcc, exec, s[12:13]
	v_mov_b32_e32 v3, s17
	s_cbranch_vccnz .LBB47_836
; %bb.835:
	v_mov_b32_e32 v3, 0x46000000
	v_add_f32_e64 v3, |s16|, v3
	v_and_b32_e32 v3, 0xff, v3
	v_cmp_ne_u32_e64 s[10:11], 0, v3
.LBB47_836:
	s_andn2_b64 vcc, exec, s[10:11]
	v_mov_b32_e32 v4, 0
	s_cbranch_vccnz .LBB47_838
; %bb.837:
	s_lshr_b32 s10, s16, 24
	s_and_b32 s10, s10, 0x80
	v_or_b32_e32 v4, s10, v3
.LBB47_838:
	global_store_byte v[1:2], v4, off
.LBB47_839:
	s_mov_b64 s[10:11], -1
.LBB47_840:
	s_mov_b64 s[12:13], 0
.LBB47_841:
	s_and_b64 vcc, exec, s[12:13]
	s_cbranch_vccz .LBB47_901
; %bb.842:
	s_cmp_gt_i32 s15, 22
	s_mov_b64 s[8:9], -1
	s_cbranch_scc0 .LBB47_894
; %bb.843:
	s_cmp_lt_i32 s15, 24
	s_cbranch_scc1 .LBB47_881
; %bb.844:
	s_cmp_gt_i32 s15, 24
	s_cbranch_scc0 .LBB47_868
; %bb.845:
	v_cvt_f32_f64_e32 v3, s[2:3]
	v_mov_b32_e32 v4, 0x80
	v_readfirstlane_b32 s12, v3
	s_and_b32 s8, s12, 0x7fffffff
	s_cmp_gt_u32 s8, 0x477fffff
	s_cbranch_scc1 .LBB47_867
; %bb.846:
	s_cmp_gt_u32 s8, 0x37ffffff
	s_cbranch_scc0 .LBB47_862
; %bb.847:
	s_bfe_u32 s8, s12, 0x10015
	s_add_i32 s8, s12, s8
	s_add_i32 s8, s8, 0x88fffff
	s_lshr_b32 s13, s8, 21
	s_mov_b64 s[10:11], 0
	s_mov_b64 s[8:9], -1
	s_branch .LBB47_863
.LBB47_848:
	s_mov_b64 s[10:11], -1
	s_mov_b64 s[8:9], 0
                                        ; implicit-def: $sgpr13
.LBB47_849:
	s_andn2_b64 vcc, exec, s[10:11]
	v_mov_b32_e32 v2, s13
	s_cbranch_vccnz .LBB47_851
; %bb.850:
	v_mov_b32_e32 v2, 0x46000000
	v_add_f32_e64 v2, |s12|, v2
	v_and_b32_e32 v2, 0xff, v2
	v_cmp_ne_u32_e64 s[8:9], 0, v2
.LBB47_851:
	s_andn2_b64 vcc, exec, s[8:9]
	v_mov_b32_e32 v3, 0
	s_cbranch_vccnz .LBB47_853
; %bb.852:
	s_lshr_b32 s8, s12, 24
	s_and_b32 s8, s8, 0x80
	v_or_b32_e32 v3, s8, v2
.LBB47_853:
	global_store_byte v[0:1], v3, off
.LBB47_854:
	s_mov_b64 s[8:9], 0
.LBB47_855:
	s_and_b64 vcc, exec, s[8:9]
	s_cbranch_vccz .LBB47_1028
; %bb.856:
	s_cmp_gt_i32 s15, 22
	s_mov_b64 s[6:7], -1
	s_cbranch_scc0 .LBB47_1021
; %bb.857:
	s_cmp_lt_i32 s15, 24
	s_cbranch_scc1 .LBB47_1008
; %bb.858:
	s_cmp_gt_i32 s15, 24
	s_cbranch_scc0 .LBB47_995
; %bb.859:
	v_cvt_f32_f64_e32 v2, s[2:3]
	v_mov_b32_e32 v3, 0x80
	v_readfirstlane_b32 s10, v2
	s_and_b32 s6, s10, 0x7fffffff
	s_cmp_gt_u32 s6, 0x477fffff
	s_cbranch_scc1 .LBB47_994
; %bb.860:
	s_cmp_gt_u32 s6, 0x37ffffff
	s_cbranch_scc0 .LBB47_989
; %bb.861:
	s_bfe_u32 s6, s10, 0x10015
	s_add_i32 s6, s10, s6
	s_add_i32 s6, s6, 0x88fffff
	s_lshr_b32 s11, s6, 21
	s_mov_b64 s[8:9], 0
	s_mov_b64 s[6:7], -1
	s_branch .LBB47_990
.LBB47_862:
	s_mov_b64 s[10:11], -1
	s_mov_b64 s[8:9], 0
                                        ; implicit-def: $sgpr13
.LBB47_863:
	s_andn2_b64 vcc, exec, s[10:11]
	v_mov_b32_e32 v3, s13
	s_cbranch_vccnz .LBB47_865
; %bb.864:
	v_mov_b32_e32 v3, 0x42800000
	v_add_f32_e64 v3, |s12|, v3
	v_and_b32_e32 v3, 0xff, v3
	v_cmp_ne_u32_e64 s[8:9], 0, v3
.LBB47_865:
	s_andn2_b64 vcc, exec, s[8:9]
	v_mov_b32_e32 v4, 0
	s_cbranch_vccnz .LBB47_867
; %bb.866:
	s_lshr_b32 s8, s12, 24
	s_and_b32 s8, s8, 0x80
	v_or_b32_e32 v4, s8, v3
.LBB47_867:
	s_mov_b64 s[8:9], 0
	global_store_byte v[1:2], v4, off
.LBB47_868:
	s_and_b64 vcc, exec, s[8:9]
	s_cbranch_vccz .LBB47_880
; %bb.869:
	v_cvt_f32_f64_e32 v3, s[2:3]
	v_readfirstlane_b32 s10, v3
	s_and_b32 s11, s10, 0x7fffffff
	s_cmp_lt_u32 s11, 0x43f00000
	s_cbranch_scc0 .LBB47_872
; %bb.870:
	s_cmp_gt_u32 s11, 0x3c7fffff
	s_cbranch_scc0 .LBB47_873
; %bb.871:
	s_bfe_u32 s8, s10, 0x10014
	s_add_i32 s8, s10, s8
	s_add_i32 s8, s8, 0x407ffff
	s_lshr_b32 s9, s8, 20
	s_and_b32 s8, s8, 0xff00000
	s_cmp_lg_u32 s8, 0x7f00000
	s_cselect_b32 s12, s9, 0x7e
	s_mov_b64 s[8:9], 0
	s_branch .LBB47_874
.LBB47_872:
	s_mov_b64 s[8:9], -1
                                        ; implicit-def: $vgpr4
	s_branch .LBB47_877
.LBB47_873:
	s_mov_b64 s[8:9], -1
                                        ; implicit-def: $sgpr12
.LBB47_874:
	s_andn2_b64 vcc, exec, s[8:9]
	v_mov_b32_e32 v4, s12
	s_cbranch_vccnz .LBB47_876
; %bb.875:
	s_mov_b32 s8, 0x46800000
	v_add_f32_e64 v4, |v3|, s8
.LBB47_876:
	s_mov_b64 s[8:9], 0
.LBB47_877:
	s_andn2_b64 vcc, exec, s[8:9]
	s_cbranch_vccnz .LBB47_879
; %bb.878:
	s_cmp_gt_u32 s11, 0x7f800000
	s_movk_i32 s8, 0x7f
	s_cselect_b32 s8, s8, 0x7e
	v_mov_b32_e32 v4, s8
.LBB47_879:
	s_lshr_b32 s8, s10, 24
	s_and_b32 s8, s8, 0x80
	v_or_b32_e32 v3, s8, v4
	global_store_byte v[1:2], v3, off
.LBB47_880:
	s_mov_b64 s[8:9], 0
.LBB47_881:
	s_andn2_b64 vcc, exec, s[8:9]
	s_cbranch_vccnz .LBB47_893
; %bb.882:
	v_cvt_f32_f64_e32 v3, s[2:3]
	v_readfirstlane_b32 s10, v3
	s_and_b32 s11, s10, 0x7fffffff
	s_cmp_lt_u32 s11, 0x47800000
	s_cbranch_scc0 .LBB47_885
; %bb.883:
	s_cmp_gt_u32 s11, 0x387fffff
	s_cbranch_scc0 .LBB47_886
; %bb.884:
	s_bfe_u32 s8, s10, 0x10015
	s_add_i32 s8, s10, s8
	s_add_i32 s8, s8, 0x80fffff
	s_lshr_b32 s12, s8, 21
	s_mov_b64 s[8:9], 0
	s_branch .LBB47_887
.LBB47_885:
	s_mov_b64 s[8:9], -1
                                        ; implicit-def: $vgpr4
	s_branch .LBB47_890
.LBB47_886:
	s_mov_b64 s[8:9], -1
                                        ; implicit-def: $sgpr12
.LBB47_887:
	s_andn2_b64 vcc, exec, s[8:9]
	v_mov_b32_e32 v4, s12
	s_cbranch_vccnz .LBB47_889
; %bb.888:
	s_mov_b32 s8, 0x43000000
	v_add_f32_e64 v4, |v3|, s8
.LBB47_889:
	s_mov_b64 s[8:9], 0
.LBB47_890:
	s_andn2_b64 vcc, exec, s[8:9]
	s_cbranch_vccnz .LBB47_892
; %bb.891:
	s_cmp_gt_u32 s11, 0x7f800000
	s_movk_i32 s8, 0x7f
	s_cselect_b32 s8, s8, 0x7c
	v_mov_b32_e32 v4, s8
.LBB47_892:
	s_lshr_b32 s8, s10, 24
	s_and_b32 s8, s8, 0x80
	v_or_b32_e32 v3, s8, v4
	global_store_byte v[1:2], v3, off
.LBB47_893:
	s_mov_b64 s[8:9], 0
	s_mov_b64 s[10:11], -1
.LBB47_894:
	s_andn2_b64 vcc, exec, s[8:9]
	s_mov_b64 s[8:9], 0
	s_cbranch_vccnz .LBB47_901
; %bb.895:
	s_cmp_gt_i32 s15, 14
	s_mov_b64 s[12:13], -1
	s_cbranch_scc0 .LBB47_899
; %bb.896:
	s_cmp_eq_u32 s15, 15
	s_mov_b64 s[6:7], -1
	s_cbranch_scc0 .LBB47_898
; %bb.897:
	v_cvt_f32_f64_e32 v3, s[2:3]
	v_mov_b32_e32 v4, 0x7fc0
	s_mov_b64 s[6:7], 0
	s_mov_b64 s[10:11], -1
	v_bfe_u32 v5, v3, 16, 1
	v_cmp_o_f32_e32 vcc, v3, v3
	v_add_u32_e32 v3, v3, v5
	v_add_u32_e32 v3, 0x7fff, v3
	v_cndmask_b32_sdwa v3, v4, v3, vcc dst_sel:DWORD dst_unused:UNUSED_PAD src0_sel:DWORD src1_sel:WORD_1
	global_store_short v[1:2], v3, off
.LBB47_898:
	s_mov_b64 s[12:13], 0
.LBB47_899:
	s_and_b64 vcc, exec, s[12:13]
	s_cbranch_vccz .LBB47_901
; %bb.900:
	s_cmp_lg_u32 s15, 11
	s_mov_b64 s[8:9], -1
	s_cselect_b64 s[6:7], -1, 0
.LBB47_901:
	s_and_b64 vcc, exec, s[6:7]
	s_cbranch_vccnz .LBB47_988
; %bb.902:
	s_andn2_b64 vcc, exec, s[8:9]
	s_cbranch_vccnz .LBB47_904
.LBB47_903:
	v_cmp_neq_f64_e64 s[6:7], s[2:3], 0
	s_mov_b64 s[10:11], -1
	v_cndmask_b32_e64 v3, 0, 1, s[6:7]
	global_store_byte v[1:2], v3, off
.LBB47_904:
	s_branch .LBB47_801
.LBB47_905:
	s_cmp_lt_i32 s15, 5
	s_mov_b64 s[6:7], -1
	s_cbranch_scc1 .LBB47_926
; %bb.906:
	s_cmp_lt_i32 s15, 8
	s_cbranch_scc1 .LBB47_916
; %bb.907:
	s_cmp_lt_i32 s15, 9
	s_cbranch_scc1 .LBB47_913
; %bb.908:
	s_cmp_gt_i32 s15, 9
	s_cbranch_scc0 .LBB47_910
; %bb.909:
	v_mov_b32_e32 v5, 0
	v_mov_b32_e32 v3, s2
	;; [unrolled: 1-line block ×4, first 2 shown]
	global_store_dwordx4 v[1:2], v[3:6], off
	s_mov_b64 s[6:7], 0
.LBB47_910:
	s_andn2_b64 vcc, exec, s[6:7]
	s_cbranch_vccnz .LBB47_912
; %bb.911:
	v_cvt_f32_f64_e32 v3, s[2:3]
	v_mov_b32_e32 v4, 0
	global_store_dwordx2 v[1:2], v[3:4], off
.LBB47_912:
	s_mov_b64 s[6:7], 0
.LBB47_913:
	s_andn2_b64 vcc, exec, s[6:7]
	s_cbranch_vccnz .LBB47_915
; %bb.914:
	s_lshr_b32 s6, s3, 8
	s_and_b32 s8, s6, 0xffe
	s_and_b32 s6, s3, 0x1ff
	s_or_b32 s6, s6, s2
	s_cmp_lg_u32 s6, 0
	s_cselect_b64 s[6:7], -1, 0
	v_cndmask_b32_e64 v3, 0, 1, s[6:7]
	v_readfirstlane_b32 s6, v3
	s_or_b32 s6, s8, s6
	s_bfe_u32 s8, s3, 0xb0014
	s_sub_i32 s9, 0x3f1, s8
	v_med3_i32 v3, s9, 0, 13
	s_or_b32 s7, s6, 0x1000
	v_readfirstlane_b32 s9, v3
	s_lshr_b32 s10, s7, s9
	s_lshl_b32 s9, s10, s9
	s_cmp_lg_u32 s9, s7
	s_cselect_b32 s7, 1, 0
	s_addk_i32 s8, 0xfc10
	s_lshl_b32 s9, s8, 12
	s_or_b32 s7, s10, s7
	s_or_b32 s9, s6, s9
	s_cmp_lt_i32 s8, 1
	s_cselect_b32 s7, s7, s9
	s_and_b32 s9, s7, 7
	s_cmp_gt_i32 s9, 5
	s_cselect_b32 s10, 1, 0
	s_cmp_eq_u32 s9, 3
	s_cselect_b32 s9, 1, 0
	s_or_b32 s9, s9, s10
	s_lshr_b32 s7, s7, 2
	s_add_i32 s7, s7, s9
	s_cmp_lt_i32 s8, 31
	s_cselect_b32 s7, s7, 0x7c00
	s_cmp_lg_u32 s6, 0
	s_movk_i32 s6, 0x7e00
	s_cselect_b32 s6, s6, 0x7c00
	s_cmpk_eq_i32 s8, 0x40f
	s_cselect_b32 s6, s6, s7
	s_lshr_b32 s7, s3, 16
	s_and_b32 s7, s7, 0x8000
	s_or_b32 s6, s7, s6
	s_and_b32 s6, s6, 0xffff
	v_mov_b32_e32 v3, s6
	global_store_dword v[1:2], v3, off
.LBB47_915:
	s_mov_b64 s[6:7], 0
.LBB47_916:
	s_andn2_b64 vcc, exec, s[6:7]
	s_cbranch_vccnz .LBB47_925
; %bb.917:
	s_cmp_lt_i32 s15, 6
	s_mov_b64 s[6:7], -1
	s_cbranch_scc1 .LBB47_923
; %bb.918:
	s_cmp_gt_i32 s15, 6
	s_cbranch_scc0 .LBB47_920
; %bb.919:
	v_mov_b32_e32 v4, s3
	v_mov_b32_e32 v3, s2
	global_store_dwordx2 v[1:2], v[3:4], off
	s_mov_b64 s[6:7], 0
.LBB47_920:
	s_andn2_b64 vcc, exec, s[6:7]
	s_cbranch_vccnz .LBB47_922
; %bb.921:
	v_cvt_f32_f64_e32 v3, s[2:3]
	global_store_dword v[1:2], v3, off
.LBB47_922:
	s_mov_b64 s[6:7], 0
.LBB47_923:
	s_andn2_b64 vcc, exec, s[6:7]
	s_cbranch_vccnz .LBB47_925
; %bb.924:
	s_lshr_b32 s6, s3, 8
	s_and_b32 s8, s6, 0xffe
	s_and_b32 s6, s3, 0x1ff
	s_or_b32 s6, s6, s2
	s_cmp_lg_u32 s6, 0
	s_cselect_b64 s[6:7], -1, 0
	v_cndmask_b32_e64 v3, 0, 1, s[6:7]
	v_readfirstlane_b32 s6, v3
	s_or_b32 s6, s8, s6
	s_bfe_u32 s8, s3, 0xb0014
	s_sub_i32 s9, 0x3f1, s8
	v_med3_i32 v3, s9, 0, 13
	s_or_b32 s7, s6, 0x1000
	v_readfirstlane_b32 s9, v3
	s_lshr_b32 s10, s7, s9
	s_lshl_b32 s9, s10, s9
	s_cmp_lg_u32 s9, s7
	s_cselect_b32 s7, 1, 0
	s_addk_i32 s8, 0xfc10
	s_lshl_b32 s9, s8, 12
	s_or_b32 s7, s10, s7
	s_or_b32 s9, s6, s9
	s_cmp_lt_i32 s8, 1
	s_cselect_b32 s7, s7, s9
	s_and_b32 s9, s7, 7
	s_cmp_gt_i32 s9, 5
	s_cselect_b32 s10, 1, 0
	s_cmp_eq_u32 s9, 3
	s_cselect_b32 s9, 1, 0
	s_or_b32 s9, s9, s10
	s_lshr_b32 s7, s7, 2
	s_add_i32 s7, s7, s9
	s_cmp_lt_i32 s8, 31
	s_cselect_b32 s7, s7, 0x7c00
	s_cmp_lg_u32 s6, 0
	s_movk_i32 s6, 0x7e00
	s_cselect_b32 s6, s6, 0x7c00
	s_cmpk_eq_i32 s8, 0x40f
	s_cselect_b32 s6, s6, s7
	s_lshr_b32 s7, s3, 16
	s_and_b32 s7, s7, 0x8000
	s_or_b32 s6, s7, s6
	v_mov_b32_e32 v3, s6
	global_store_short v[1:2], v3, off
.LBB47_925:
	s_mov_b64 s[6:7], 0
.LBB47_926:
	s_andn2_b64 vcc, exec, s[6:7]
	s_cbranch_vccnz .LBB47_942
; %bb.927:
	s_cmp_lt_i32 s15, 2
	s_mov_b64 s[6:7], -1
	s_cbranch_scc1 .LBB47_937
; %bb.928:
	s_cmp_lt_i32 s15, 3
	s_cbranch_scc1 .LBB47_934
; %bb.929:
	s_cmp_gt_i32 s15, 3
	s_cbranch_scc0 .LBB47_931
; %bb.930:
	v_trunc_f64_e32 v[3:4], s[2:3]
	s_movk_i32 s6, 0xffe0
	v_ldexp_f64 v[5:6], v[3:4], s6
	s_mov_b32 s6, 0
	s_mov_b32 s7, 0xc1f00000
	v_floor_f64_e32 v[5:6], v[5:6]
	v_fma_f64 v[3:4], v[5:6], s[6:7], v[3:4]
	v_cvt_i32_f64_e32 v5, v[5:6]
	s_mov_b64 s[6:7], 0
	v_cvt_u32_f64_e32 v4, v[3:4]
	global_store_dwordx2 v[1:2], v[4:5], off
.LBB47_931:
	s_andn2_b64 vcc, exec, s[6:7]
	s_cbranch_vccnz .LBB47_933
; %bb.932:
	v_cvt_i32_f64_e32 v3, s[2:3]
	global_store_dword v[1:2], v3, off
.LBB47_933:
	s_mov_b64 s[6:7], 0
.LBB47_934:
	s_andn2_b64 vcc, exec, s[6:7]
	s_cbranch_vccnz .LBB47_936
; %bb.935:
	v_cvt_i32_f64_e32 v3, s[2:3]
	global_store_short v[1:2], v3, off
.LBB47_936:
	s_mov_b64 s[6:7], 0
.LBB47_937:
	s_andn2_b64 vcc, exec, s[6:7]
	s_cbranch_vccnz .LBB47_942
; %bb.938:
	s_cmp_gt_i32 s15, 0
	s_mov_b64 s[6:7], -1
	s_cbranch_scc0 .LBB47_940
; %bb.939:
	v_cvt_i32_f64_e32 v3, s[2:3]
	s_mov_b64 s[6:7], 0
	global_store_byte v[1:2], v3, off
.LBB47_940:
	s_andn2_b64 vcc, exec, s[6:7]
	s_cbranch_vccnz .LBB47_942
; %bb.941:
	v_trunc_f64_e32 v[3:4], s[2:3]
	s_movk_i32 s6, 0xffe0
	v_ldexp_f64 v[5:6], v[3:4], s6
	s_mov_b32 s6, 0
	s_mov_b32 s7, 0xc1f00000
	v_floor_f64_e32 v[5:6], v[5:6]
	v_fma_f64 v[3:4], v[5:6], s[6:7], v[3:4]
	v_cvt_u32_f64_e32 v3, v[3:4]
	global_store_byte v[1:2], v3, off
.LBB47_942:
	s_branch .LBB47_802
.LBB47_943:
	s_mov_b64 s[0:1], 0
	s_mov_b64 s[6:7], 0
                                        ; implicit-def: $sgpr14
                                        ; implicit-def: $vgpr0_vgpr1
.LBB47_944:
	s_andn2_b64 s[8:9], s[20:21], exec
	s_and_b64 s[4:5], s[4:5], exec
	s_and_b64 s[0:1], s[0:1], exec
	;; [unrolled: 1-line block ×3, first 2 shown]
	s_or_b64 s[20:21], s[8:9], s[4:5]
.LBB47_945:
	s_or_b64 exec, exec, s[22:23]
	s_and_saveexec_b64 s[4:5], s[20:21]
	s_cbranch_execz .LBB47_948
; %bb.946:
	; divergent unreachable
	s_or_b64 exec, exec, s[4:5]
	s_and_saveexec_b64 s[4:5], s[6:7]
	s_xor_b64 s[4:5], exec, s[4:5]
	s_cbranch_execnz .LBB47_949
.LBB47_947:
	s_or_b64 exec, exec, s[4:5]
	s_and_saveexec_b64 s[4:5], s[0:1]
	s_cbranch_execnz .LBB47_950
	s_branch .LBB47_987
.LBB47_948:
	s_or_b64 exec, exec, s[4:5]
	s_and_saveexec_b64 s[4:5], s[6:7]
	s_xor_b64 s[4:5], exec, s[4:5]
	s_cbranch_execz .LBB47_947
.LBB47_949:
	v_cmp_neq_f64_e64 s[6:7], s[2:3], 0
	v_cndmask_b32_e64 v2, 0, 1, s[6:7]
	global_store_byte v[0:1], v2, off
	s_or_b64 exec, exec, s[4:5]
	s_and_saveexec_b64 s[4:5], s[0:1]
	s_cbranch_execz .LBB47_987
.LBB47_950:
	s_sext_i32_i16 s4, s14
	s_cmp_lt_i32 s4, 5
	s_mov_b64 s[0:1], -1
	s_cbranch_scc1 .LBB47_971
; %bb.951:
	s_cmp_lt_i32 s4, 8
	s_cbranch_scc1 .LBB47_961
; %bb.952:
	s_cmp_lt_i32 s4, 9
	s_cbranch_scc1 .LBB47_958
; %bb.953:
	s_cmp_gt_i32 s4, 9
	s_cbranch_scc0 .LBB47_955
; %bb.954:
	v_mov_b32_e32 v4, 0
	v_mov_b32_e32 v2, s2
	;; [unrolled: 1-line block ×4, first 2 shown]
	global_store_dwordx4 v[0:1], v[2:5], off
	s_mov_b64 s[0:1], 0
.LBB47_955:
	s_andn2_b64 vcc, exec, s[0:1]
	s_cbranch_vccnz .LBB47_957
; %bb.956:
	v_cvt_f32_f64_e32 v2, s[2:3]
	v_mov_b32_e32 v3, 0
	global_store_dwordx2 v[0:1], v[2:3], off
.LBB47_957:
	s_mov_b64 s[0:1], 0
.LBB47_958:
	s_andn2_b64 vcc, exec, s[0:1]
	s_cbranch_vccnz .LBB47_960
; %bb.959:
	s_lshr_b32 s0, s3, 8
	s_and_b32 s4, s0, 0xffe
	s_and_b32 s0, s3, 0x1ff
	s_or_b32 s0, s0, s2
	s_cmp_lg_u32 s0, 0
	s_cselect_b64 s[0:1], -1, 0
	v_cndmask_b32_e64 v2, 0, 1, s[0:1]
	v_readfirstlane_b32 s0, v2
	s_or_b32 s0, s4, s0
	s_bfe_u32 s4, s3, 0xb0014
	s_sub_i32 s5, 0x3f1, s4
	v_med3_i32 v2, s5, 0, 13
	s_or_b32 s1, s0, 0x1000
	v_readfirstlane_b32 s5, v2
	s_lshr_b32 s6, s1, s5
	s_lshl_b32 s5, s6, s5
	s_cmp_lg_u32 s5, s1
	s_cselect_b32 s1, 1, 0
	s_addk_i32 s4, 0xfc10
	s_lshl_b32 s5, s4, 12
	s_or_b32 s1, s6, s1
	s_or_b32 s5, s0, s5
	s_cmp_lt_i32 s4, 1
	s_cselect_b32 s1, s1, s5
	s_and_b32 s5, s1, 7
	s_cmp_gt_i32 s5, 5
	s_cselect_b32 s6, 1, 0
	s_cmp_eq_u32 s5, 3
	s_cselect_b32 s5, 1, 0
	s_or_b32 s5, s5, s6
	s_lshr_b32 s1, s1, 2
	s_add_i32 s1, s1, s5
	s_cmp_lt_i32 s4, 31
	s_cselect_b32 s1, s1, 0x7c00
	s_cmp_lg_u32 s0, 0
	s_movk_i32 s0, 0x7e00
	s_cselect_b32 s0, s0, 0x7c00
	s_cmpk_eq_i32 s4, 0x40f
	s_cselect_b32 s0, s0, s1
	s_lshr_b32 s1, s3, 16
	s_and_b32 s1, s1, 0x8000
	s_or_b32 s0, s1, s0
	s_and_b32 s0, s0, 0xffff
	v_mov_b32_e32 v2, s0
	global_store_dword v[0:1], v2, off
.LBB47_960:
	s_mov_b64 s[0:1], 0
.LBB47_961:
	s_andn2_b64 vcc, exec, s[0:1]
	s_cbranch_vccnz .LBB47_970
; %bb.962:
	s_sext_i32_i16 s4, s14
	s_cmp_lt_i32 s4, 6
	s_mov_b64 s[0:1], -1
	s_cbranch_scc1 .LBB47_968
; %bb.963:
	s_cmp_gt_i32 s4, 6
	s_cbranch_scc0 .LBB47_965
; %bb.964:
	v_mov_b32_e32 v2, s2
	v_mov_b32_e32 v3, s3
	global_store_dwordx2 v[0:1], v[2:3], off
	s_mov_b64 s[0:1], 0
.LBB47_965:
	s_andn2_b64 vcc, exec, s[0:1]
	s_cbranch_vccnz .LBB47_967
; %bb.966:
	v_cvt_f32_f64_e32 v2, s[2:3]
	global_store_dword v[0:1], v2, off
.LBB47_967:
	s_mov_b64 s[0:1], 0
.LBB47_968:
	s_andn2_b64 vcc, exec, s[0:1]
	s_cbranch_vccnz .LBB47_970
; %bb.969:
	s_lshr_b32 s0, s3, 8
	s_and_b32 s4, s0, 0xffe
	s_and_b32 s0, s3, 0x1ff
	s_or_b32 s0, s0, s2
	s_cmp_lg_u32 s0, 0
	s_cselect_b64 s[0:1], -1, 0
	v_cndmask_b32_e64 v2, 0, 1, s[0:1]
	v_readfirstlane_b32 s0, v2
	s_or_b32 s0, s4, s0
	s_bfe_u32 s4, s3, 0xb0014
	s_sub_i32 s5, 0x3f1, s4
	v_med3_i32 v2, s5, 0, 13
	s_or_b32 s1, s0, 0x1000
	v_readfirstlane_b32 s5, v2
	s_lshr_b32 s6, s1, s5
	s_lshl_b32 s5, s6, s5
	s_cmp_lg_u32 s5, s1
	s_cselect_b32 s1, 1, 0
	s_addk_i32 s4, 0xfc10
	s_lshl_b32 s5, s4, 12
	s_or_b32 s1, s6, s1
	s_or_b32 s5, s0, s5
	s_cmp_lt_i32 s4, 1
	s_cselect_b32 s1, s1, s5
	s_and_b32 s5, s1, 7
	s_cmp_gt_i32 s5, 5
	s_cselect_b32 s6, 1, 0
	s_cmp_eq_u32 s5, 3
	s_cselect_b32 s5, 1, 0
	s_or_b32 s5, s5, s6
	s_lshr_b32 s1, s1, 2
	s_add_i32 s1, s1, s5
	s_cmp_lt_i32 s4, 31
	s_cselect_b32 s1, s1, 0x7c00
	s_cmp_lg_u32 s0, 0
	s_movk_i32 s0, 0x7e00
	s_cselect_b32 s0, s0, 0x7c00
	s_cmpk_eq_i32 s4, 0x40f
	s_cselect_b32 s0, s0, s1
	s_lshr_b32 s1, s3, 16
	s_and_b32 s1, s1, 0x8000
	s_or_b32 s0, s1, s0
	v_mov_b32_e32 v2, s0
	global_store_short v[0:1], v2, off
.LBB47_970:
	s_mov_b64 s[0:1], 0
.LBB47_971:
	s_andn2_b64 vcc, exec, s[0:1]
	s_cbranch_vccnz .LBB47_987
; %bb.972:
	s_sext_i32_i16 s4, s14
	s_cmp_lt_i32 s4, 2
	s_mov_b64 s[0:1], -1
	s_cbranch_scc1 .LBB47_982
; %bb.973:
	s_cmp_lt_i32 s4, 3
	s_cbranch_scc1 .LBB47_979
; %bb.974:
	s_cmp_gt_i32 s4, 3
	s_cbranch_scc0 .LBB47_976
; %bb.975:
	v_trunc_f64_e32 v[2:3], s[2:3]
	s_movk_i32 s0, 0xffe0
	v_ldexp_f64 v[4:5], v[2:3], s0
	s_mov_b32 s0, 0
	s_mov_b32 s1, 0xc1f00000
	v_floor_f64_e32 v[4:5], v[4:5]
	v_fma_f64 v[2:3], v[4:5], s[0:1], v[2:3]
	v_cvt_i32_f64_e32 v4, v[4:5]
	s_mov_b64 s[0:1], 0
	v_cvt_u32_f64_e32 v3, v[2:3]
	global_store_dwordx2 v[0:1], v[3:4], off
.LBB47_976:
	s_andn2_b64 vcc, exec, s[0:1]
	s_cbranch_vccnz .LBB47_978
; %bb.977:
	v_cvt_i32_f64_e32 v2, s[2:3]
	global_store_dword v[0:1], v2, off
.LBB47_978:
	s_mov_b64 s[0:1], 0
.LBB47_979:
	s_andn2_b64 vcc, exec, s[0:1]
	s_cbranch_vccnz .LBB47_981
; %bb.980:
	v_cvt_i32_f64_e32 v2, s[2:3]
	global_store_short v[0:1], v2, off
.LBB47_981:
	s_mov_b64 s[0:1], 0
.LBB47_982:
	s_andn2_b64 vcc, exec, s[0:1]
	s_cbranch_vccnz .LBB47_987
; %bb.983:
	s_sext_i32_i16 s0, s14
	s_cmp_gt_i32 s0, 0
	s_mov_b64 s[0:1], -1
	s_cbranch_scc0 .LBB47_985
; %bb.984:
	v_cvt_i32_f64_e32 v2, s[2:3]
	s_mov_b64 s[0:1], 0
	global_store_byte v[0:1], v2, off
.LBB47_985:
	s_andn2_b64 vcc, exec, s[0:1]
	s_cbranch_vccnz .LBB47_987
; %bb.986:
	v_trunc_f64_e32 v[2:3], s[2:3]
	s_movk_i32 s0, 0xffe0
	v_ldexp_f64 v[4:5], v[2:3], s0
	s_mov_b32 s0, 0
	s_mov_b32 s1, 0xc1f00000
	v_floor_f64_e32 v[4:5], v[4:5]
	v_fma_f64 v[2:3], v[4:5], s[0:1], v[2:3]
	v_cvt_u32_f64_e32 v2, v[2:3]
	global_store_byte v[0:1], v2, off
	s_endpgm
.LBB47_987:
	s_endpgm
.LBB47_988:
	s_trap 2
	s_or_b64 s[4:5], s[4:5], exec
	s_cbranch_execz .LBB47_903
	s_branch .LBB47_904
.LBB47_989:
	s_mov_b64 s[8:9], -1
	s_mov_b64 s[6:7], 0
                                        ; implicit-def: $sgpr11
.LBB47_990:
	s_andn2_b64 vcc, exec, s[8:9]
	v_mov_b32_e32 v2, s11
	s_cbranch_vccnz .LBB47_992
; %bb.991:
	v_mov_b32_e32 v2, 0x42800000
	v_add_f32_e64 v2, |s10|, v2
	v_and_b32_e32 v2, 0xff, v2
	v_cmp_ne_u32_e64 s[6:7], 0, v2
.LBB47_992:
	s_andn2_b64 vcc, exec, s[6:7]
	v_mov_b32_e32 v3, 0
	s_cbranch_vccnz .LBB47_994
; %bb.993:
	s_lshr_b32 s6, s10, 24
	s_and_b32 s6, s6, 0x80
	v_or_b32_e32 v3, s6, v2
.LBB47_994:
	s_mov_b64 s[6:7], 0
	global_store_byte v[0:1], v3, off
.LBB47_995:
	s_and_b64 vcc, exec, s[6:7]
	s_cbranch_vccz .LBB47_1007
; %bb.996:
	v_cvt_f32_f64_e32 v2, s[2:3]
	v_readfirstlane_b32 s8, v2
	s_and_b32 s9, s8, 0x7fffffff
	s_cmp_lt_u32 s9, 0x43f00000
	s_cbranch_scc0 .LBB47_999
; %bb.997:
	s_cmp_gt_u32 s9, 0x3c7fffff
	s_cbranch_scc0 .LBB47_1000
; %bb.998:
	s_bfe_u32 s6, s8, 0x10014
	s_add_i32 s6, s8, s6
	s_add_i32 s6, s6, 0x407ffff
	s_lshr_b32 s7, s6, 20
	s_and_b32 s6, s6, 0xff00000
	s_cmp_lg_u32 s6, 0x7f00000
	s_cselect_b32 s10, s7, 0x7e
	s_mov_b64 s[6:7], 0
	s_branch .LBB47_1001
.LBB47_999:
	s_mov_b64 s[6:7], -1
                                        ; implicit-def: $vgpr3
	s_branch .LBB47_1004
.LBB47_1000:
	s_mov_b64 s[6:7], -1
                                        ; implicit-def: $sgpr10
.LBB47_1001:
	s_andn2_b64 vcc, exec, s[6:7]
	v_mov_b32_e32 v3, s10
	s_cbranch_vccnz .LBB47_1003
; %bb.1002:
	s_mov_b32 s6, 0x46800000
	v_add_f32_e64 v3, |v2|, s6
.LBB47_1003:
	s_mov_b64 s[6:7], 0
.LBB47_1004:
	s_andn2_b64 vcc, exec, s[6:7]
	s_cbranch_vccnz .LBB47_1006
; %bb.1005:
	s_cmp_gt_u32 s9, 0x7f800000
	s_movk_i32 s6, 0x7f
	s_cselect_b32 s6, s6, 0x7e
	v_mov_b32_e32 v3, s6
.LBB47_1006:
	s_lshr_b32 s6, s8, 24
	s_and_b32 s6, s6, 0x80
	v_or_b32_e32 v2, s6, v3
	global_store_byte v[0:1], v2, off
.LBB47_1007:
	s_mov_b64 s[6:7], 0
.LBB47_1008:
	s_andn2_b64 vcc, exec, s[6:7]
	s_cbranch_vccnz .LBB47_1020
; %bb.1009:
	v_cvt_f32_f64_e32 v2, s[2:3]
	v_readfirstlane_b32 s8, v2
	s_and_b32 s9, s8, 0x7fffffff
	s_cmp_lt_u32 s9, 0x47800000
	s_cbranch_scc0 .LBB47_1012
; %bb.1010:
	s_cmp_gt_u32 s9, 0x387fffff
	s_cbranch_scc0 .LBB47_1013
; %bb.1011:
	s_bfe_u32 s6, s8, 0x10015
	s_add_i32 s6, s8, s6
	s_add_i32 s6, s6, 0x80fffff
	s_lshr_b32 s10, s6, 21
	s_mov_b64 s[6:7], 0
	s_branch .LBB47_1014
.LBB47_1012:
	s_mov_b64 s[6:7], -1
                                        ; implicit-def: $vgpr3
	s_branch .LBB47_1017
.LBB47_1013:
	s_mov_b64 s[6:7], -1
                                        ; implicit-def: $sgpr10
.LBB47_1014:
	s_andn2_b64 vcc, exec, s[6:7]
	v_mov_b32_e32 v3, s10
	s_cbranch_vccnz .LBB47_1016
; %bb.1015:
	s_mov_b32 s6, 0x43000000
	v_add_f32_e64 v3, |v2|, s6
.LBB47_1016:
	s_mov_b64 s[6:7], 0
.LBB47_1017:
	s_andn2_b64 vcc, exec, s[6:7]
	s_cbranch_vccnz .LBB47_1019
; %bb.1018:
	s_cmp_gt_u32 s9, 0x7f800000
	s_movk_i32 s6, 0x7f
	s_cselect_b32 s6, s6, 0x7c
	v_mov_b32_e32 v3, s6
.LBB47_1019:
	s_lshr_b32 s6, s8, 24
	s_and_b32 s6, s6, 0x80
	v_or_b32_e32 v2, s6, v3
	global_store_byte v[0:1], v2, off
.LBB47_1020:
	s_mov_b64 s[6:7], 0
.LBB47_1021:
	s_andn2_b64 vcc, exec, s[6:7]
	s_mov_b64 s[6:7], 0
	s_cbranch_vccnz .LBB47_1028
; %bb.1022:
	s_cmp_gt_i32 s15, 14
	s_mov_b64 s[8:9], -1
	s_cbranch_scc0 .LBB47_1026
; %bb.1023:
	s_cmp_eq_u32 s15, 15
	s_mov_b64 s[0:1], -1
	s_cbranch_scc0 .LBB47_1025
; %bb.1024:
	v_cvt_f32_f64_e32 v2, s[2:3]
	v_mov_b32_e32 v3, 0x7fc0
	s_mov_b64 s[0:1], 0
	v_bfe_u32 v4, v2, 16, 1
	v_cmp_o_f32_e32 vcc, v2, v2
	v_add_u32_e32 v2, v2, v4
	v_add_u32_e32 v2, 0x7fff, v2
	v_cndmask_b32_sdwa v2, v3, v2, vcc dst_sel:DWORD dst_unused:UNUSED_PAD src0_sel:DWORD src1_sel:WORD_1
	global_store_short v[0:1], v2, off
.LBB47_1025:
	s_mov_b64 s[8:9], 0
.LBB47_1026:
	s_and_b64 vcc, exec, s[8:9]
	s_cbranch_vccz .LBB47_1028
; %bb.1027:
	s_cmp_lg_u32 s15, 11
	s_mov_b64 s[6:7], -1
	s_cselect_b64 s[0:1], -1, 0
.LBB47_1028:
	s_and_b64 vcc, exec, s[0:1]
	s_cbranch_vccnz .LBB47_1030
.LBB47_1029:
	s_mov_b64 s[0:1], 0
	s_branch .LBB47_944
.LBB47_1030:
	s_mov_b64 s[6:7], 0
	s_or_b64 s[4:5], s[4:5], exec
	s_trap 2
	s_branch .LBB47_1029
	.section	.rodata,"a",@progbits
	.p2align	6, 0x0
	.amdhsa_kernel _ZN2at6native32elementwise_kernel_manual_unrollILi128ELi4EZNS0_15gpu_kernel_implINS0_11FillFunctorIdEEEEvRNS_18TensorIteratorBaseERKT_EUlibE0_EEviT1_
		.amdhsa_group_segment_fixed_size 0
		.amdhsa_private_segment_fixed_size 0
		.amdhsa_kernarg_size 296
		.amdhsa_user_sgpr_count 6
		.amdhsa_user_sgpr_private_segment_buffer 1
		.amdhsa_user_sgpr_dispatch_ptr 0
		.amdhsa_user_sgpr_queue_ptr 0
		.amdhsa_user_sgpr_kernarg_segment_ptr 1
		.amdhsa_user_sgpr_dispatch_id 0
		.amdhsa_user_sgpr_flat_scratch_init 0
		.amdhsa_user_sgpr_private_segment_size 0
		.amdhsa_uses_dynamic_stack 0
		.amdhsa_system_sgpr_private_segment_wavefront_offset 0
		.amdhsa_system_sgpr_workgroup_id_x 1
		.amdhsa_system_sgpr_workgroup_id_y 0
		.amdhsa_system_sgpr_workgroup_id_z 0
		.amdhsa_system_sgpr_workgroup_info 0
		.amdhsa_system_vgpr_workitem_id 0
		.amdhsa_next_free_vgpr 22
		.amdhsa_next_free_sgpr 96
		.amdhsa_reserve_vcc 1
		.amdhsa_reserve_flat_scratch 0
		.amdhsa_float_round_mode_32 0
		.amdhsa_float_round_mode_16_64 0
		.amdhsa_float_denorm_mode_32 3
		.amdhsa_float_denorm_mode_16_64 3
		.amdhsa_dx10_clamp 1
		.amdhsa_ieee_mode 1
		.amdhsa_fp16_overflow 0
		.amdhsa_exception_fp_ieee_invalid_op 0
		.amdhsa_exception_fp_denorm_src 0
		.amdhsa_exception_fp_ieee_div_zero 0
		.amdhsa_exception_fp_ieee_overflow 0
		.amdhsa_exception_fp_ieee_underflow 0
		.amdhsa_exception_fp_ieee_inexact 0
		.amdhsa_exception_int_div_zero 0
	.end_amdhsa_kernel
	.section	.text._ZN2at6native32elementwise_kernel_manual_unrollILi128ELi4EZNS0_15gpu_kernel_implINS0_11FillFunctorIdEEEEvRNS_18TensorIteratorBaseERKT_EUlibE0_EEviT1_,"axG",@progbits,_ZN2at6native32elementwise_kernel_manual_unrollILi128ELi4EZNS0_15gpu_kernel_implINS0_11FillFunctorIdEEEEvRNS_18TensorIteratorBaseERKT_EUlibE0_EEviT1_,comdat
.Lfunc_end47:
	.size	_ZN2at6native32elementwise_kernel_manual_unrollILi128ELi4EZNS0_15gpu_kernel_implINS0_11FillFunctorIdEEEEvRNS_18TensorIteratorBaseERKT_EUlibE0_EEviT1_, .Lfunc_end47-_ZN2at6native32elementwise_kernel_manual_unrollILi128ELi4EZNS0_15gpu_kernel_implINS0_11FillFunctorIdEEEEvRNS_18TensorIteratorBaseERKT_EUlibE0_EEviT1_
                                        ; -- End function
	.set _ZN2at6native32elementwise_kernel_manual_unrollILi128ELi4EZNS0_15gpu_kernel_implINS0_11FillFunctorIdEEEEvRNS_18TensorIteratorBaseERKT_EUlibE0_EEviT1_.num_vgpr, 22
	.set _ZN2at6native32elementwise_kernel_manual_unrollILi128ELi4EZNS0_15gpu_kernel_implINS0_11FillFunctorIdEEEEvRNS_18TensorIteratorBaseERKT_EUlibE0_EEviT1_.num_agpr, 0
	.set _ZN2at6native32elementwise_kernel_manual_unrollILi128ELi4EZNS0_15gpu_kernel_implINS0_11FillFunctorIdEEEEvRNS_18TensorIteratorBaseERKT_EUlibE0_EEviT1_.numbered_sgpr, 96
	.set _ZN2at6native32elementwise_kernel_manual_unrollILi128ELi4EZNS0_15gpu_kernel_implINS0_11FillFunctorIdEEEEvRNS_18TensorIteratorBaseERKT_EUlibE0_EEviT1_.num_named_barrier, 0
	.set _ZN2at6native32elementwise_kernel_manual_unrollILi128ELi4EZNS0_15gpu_kernel_implINS0_11FillFunctorIdEEEEvRNS_18TensorIteratorBaseERKT_EUlibE0_EEviT1_.private_seg_size, 0
	.set _ZN2at6native32elementwise_kernel_manual_unrollILi128ELi4EZNS0_15gpu_kernel_implINS0_11FillFunctorIdEEEEvRNS_18TensorIteratorBaseERKT_EUlibE0_EEviT1_.uses_vcc, 1
	.set _ZN2at6native32elementwise_kernel_manual_unrollILi128ELi4EZNS0_15gpu_kernel_implINS0_11FillFunctorIdEEEEvRNS_18TensorIteratorBaseERKT_EUlibE0_EEviT1_.uses_flat_scratch, 0
	.set _ZN2at6native32elementwise_kernel_manual_unrollILi128ELi4EZNS0_15gpu_kernel_implINS0_11FillFunctorIdEEEEvRNS_18TensorIteratorBaseERKT_EUlibE0_EEviT1_.has_dyn_sized_stack, 0
	.set _ZN2at6native32elementwise_kernel_manual_unrollILi128ELi4EZNS0_15gpu_kernel_implINS0_11FillFunctorIdEEEEvRNS_18TensorIteratorBaseERKT_EUlibE0_EEviT1_.has_recursion, 0
	.set _ZN2at6native32elementwise_kernel_manual_unrollILi128ELi4EZNS0_15gpu_kernel_implINS0_11FillFunctorIdEEEEvRNS_18TensorIteratorBaseERKT_EUlibE0_EEviT1_.has_indirect_call, 0
	.section	.AMDGPU.csdata,"",@progbits
; Kernel info:
; codeLenInByte = 19420
; TotalNumSgprs: 100
; NumVgprs: 22
; ScratchSize: 0
; MemoryBound: 0
; FloatMode: 240
; IeeeMode: 1
; LDSByteSize: 0 bytes/workgroup (compile time only)
; SGPRBlocks: 12
; VGPRBlocks: 5
; NumSGPRsForWavesPerEU: 100
; NumVGPRsForWavesPerEU: 22
; Occupancy: 8
; WaveLimiterHint : 1
; COMPUTE_PGM_RSRC2:SCRATCH_EN: 0
; COMPUTE_PGM_RSRC2:USER_SGPR: 6
; COMPUTE_PGM_RSRC2:TRAP_HANDLER: 0
; COMPUTE_PGM_RSRC2:TGID_X_EN: 1
; COMPUTE_PGM_RSRC2:TGID_Y_EN: 0
; COMPUTE_PGM_RSRC2:TGID_Z_EN: 0
; COMPUTE_PGM_RSRC2:TIDIG_COMP_CNT: 0
	.section	.text._ZN2at6native29vectorized_elementwise_kernelILi16ENS0_11FillFunctorIfEESt5arrayIPcLm1EEEEviT0_T1_,"axG",@progbits,_ZN2at6native29vectorized_elementwise_kernelILi16ENS0_11FillFunctorIfEESt5arrayIPcLm1EEEEviT0_T1_,comdat
	.protected	_ZN2at6native29vectorized_elementwise_kernelILi16ENS0_11FillFunctorIfEESt5arrayIPcLm1EEEEviT0_T1_ ; -- Begin function _ZN2at6native29vectorized_elementwise_kernelILi16ENS0_11FillFunctorIfEESt5arrayIPcLm1EEEEviT0_T1_
	.globl	_ZN2at6native29vectorized_elementwise_kernelILi16ENS0_11FillFunctorIfEESt5arrayIPcLm1EEEEviT0_T1_
	.p2align	8
	.type	_ZN2at6native29vectorized_elementwise_kernelILi16ENS0_11FillFunctorIfEESt5arrayIPcLm1EEEEviT0_T1_,@function
_ZN2at6native29vectorized_elementwise_kernelILi16ENS0_11FillFunctorIfEESt5arrayIPcLm1EEEEviT0_T1_: ; @_ZN2at6native29vectorized_elementwise_kernelILi16ENS0_11FillFunctorIfEESt5arrayIPcLm1EEEEviT0_T1_
; %bb.0:
	s_load_dwordx4 s[0:3], s[4:5], 0x0
	s_lshl_b32 s4, s6, 10
	s_mov_b64 s[6:7], -1
	s_waitcnt lgkmcnt(0)
	s_sub_i32 s8, s0, s4
	s_cmpk_gt_i32 s8, 0x3ff
	s_cbranch_scc0 .LBB48_2
; %bb.1:
	s_ashr_i32 s5, s4, 31
	s_lshl_b64 s[6:7], s[4:5], 2
	s_add_u32 s6, s2, s6
	s_addc_u32 s7, s3, s7
	v_lshlrev_b32_e32 v5, 4, v0
	v_mov_b32_e32 v1, s1
	v_mov_b32_e32 v2, s1
	;; [unrolled: 1-line block ×4, first 2 shown]
	global_store_dwordx4 v5, v[1:4], s[6:7]
	s_mov_b64 s[6:7], 0
.LBB48_2:
	s_andn2_b64 vcc, exec, s[6:7]
	s_cbranch_vccnz .LBB48_8
; %bb.3:
	v_or_b32_e32 v4, 0x100, v0
	v_mov_b32_e32 v1, s1
	v_cmp_gt_i32_e64 s[0:1], s8, v4
	v_or_b32_e32 v2, 0x200, v0
	v_cndmask_b32_e64 v3, 0, v1, s[0:1]
	v_cmp_gt_i32_e64 s[0:1], s8, v2
	v_or_b32_e32 v6, 0x300, v0
	v_cmp_gt_i32_e32 vcc, s8, v0
	v_cndmask_b32_e64 v2, 0, v1, s[0:1]
	v_cmp_gt_i32_e64 s[0:1], s8, v6
	v_cndmask_b32_e32 v5, 0, v1, vcc
	v_cndmask_b32_e64 v1, 0, v1, s[0:1]
	s_and_saveexec_b64 s[0:1], vcc
	s_cbranch_execnz .LBB48_9
; %bb.4:
	s_or_b64 exec, exec, s[0:1]
	v_cmp_gt_i32_e32 vcc, s8, v0
	s_and_saveexec_b64 s[0:1], vcc
	s_cbranch_execnz .LBB48_10
.LBB48_5:
	s_or_b64 exec, exec, s[0:1]
	v_cmp_gt_i32_e32 vcc, s8, v0
	s_and_saveexec_b64 s[0:1], vcc
	s_cbranch_execnz .LBB48_11
.LBB48_6:
	s_or_b64 exec, exec, s[0:1]
	v_cmp_gt_i32_e32 vcc, s8, v0
	s_and_saveexec_b64 s[0:1], vcc
	s_cbranch_execz .LBB48_8
.LBB48_7:
	v_add_u32_e32 v2, s4, v0
	v_mov_b32_e32 v3, 0
	v_lshlrev_b64 v[2:3], 2, v[2:3]
	v_mov_b32_e32 v0, s3
	v_add_co_u32_e32 v2, vcc, s2, v2
	v_addc_co_u32_e32 v3, vcc, v0, v3, vcc
	global_store_dword v[2:3], v1, off
.LBB48_8:
	s_endpgm
.LBB48_9:
	v_or_b32_e32 v6, s4, v0
	v_mov_b32_e32 v7, 0
	v_lshlrev_b64 v[6:7], 2, v[6:7]
	v_mov_b32_e32 v0, s3
	v_add_co_u32_e32 v6, vcc, s2, v6
	v_addc_co_u32_e32 v7, vcc, v0, v7, vcc
	v_mov_b32_e32 v0, v4
	global_store_dword v[6:7], v5, off
	s_or_b64 exec, exec, s[0:1]
	v_cmp_gt_i32_e32 vcc, s8, v0
	s_and_saveexec_b64 s[0:1], vcc
	s_cbranch_execz .LBB48_5
.LBB48_10:
	v_add_u32_e32 v4, s4, v0
	v_mov_b32_e32 v5, 0
	v_lshlrev_b64 v[4:5], 2, v[4:5]
	v_mov_b32_e32 v6, s3
	v_add_co_u32_e32 v4, vcc, s2, v4
	v_addc_co_u32_e32 v5, vcc, v6, v5, vcc
	v_add_u32_e32 v0, 0x100, v0
	global_store_dword v[4:5], v3, off
	s_or_b64 exec, exec, s[0:1]
	v_cmp_gt_i32_e32 vcc, s8, v0
	s_and_saveexec_b64 s[0:1], vcc
	s_cbranch_execz .LBB48_6
.LBB48_11:
	v_add_u32_e32 v3, s4, v0
	v_mov_b32_e32 v4, 0
	v_lshlrev_b64 v[3:4], 2, v[3:4]
	v_mov_b32_e32 v5, s3
	v_add_co_u32_e32 v3, vcc, s2, v3
	v_addc_co_u32_e32 v4, vcc, v5, v4, vcc
	v_add_u32_e32 v0, 0x100, v0
	global_store_dword v[3:4], v2, off
	s_or_b64 exec, exec, s[0:1]
	v_cmp_gt_i32_e32 vcc, s8, v0
	s_and_saveexec_b64 s[0:1], vcc
	s_cbranch_execnz .LBB48_7
	s_branch .LBB48_8
	.section	.rodata,"a",@progbits
	.p2align	6, 0x0
	.amdhsa_kernel _ZN2at6native29vectorized_elementwise_kernelILi16ENS0_11FillFunctorIfEESt5arrayIPcLm1EEEEviT0_T1_
		.amdhsa_group_segment_fixed_size 0
		.amdhsa_private_segment_fixed_size 0
		.amdhsa_kernarg_size 16
		.amdhsa_user_sgpr_count 6
		.amdhsa_user_sgpr_private_segment_buffer 1
		.amdhsa_user_sgpr_dispatch_ptr 0
		.amdhsa_user_sgpr_queue_ptr 0
		.amdhsa_user_sgpr_kernarg_segment_ptr 1
		.amdhsa_user_sgpr_dispatch_id 0
		.amdhsa_user_sgpr_flat_scratch_init 0
		.amdhsa_user_sgpr_private_segment_size 0
		.amdhsa_uses_dynamic_stack 0
		.amdhsa_system_sgpr_private_segment_wavefront_offset 0
		.amdhsa_system_sgpr_workgroup_id_x 1
		.amdhsa_system_sgpr_workgroup_id_y 0
		.amdhsa_system_sgpr_workgroup_id_z 0
		.amdhsa_system_sgpr_workgroup_info 0
		.amdhsa_system_vgpr_workitem_id 0
		.amdhsa_next_free_vgpr 8
		.amdhsa_next_free_sgpr 9
		.amdhsa_reserve_vcc 1
		.amdhsa_reserve_flat_scratch 0
		.amdhsa_float_round_mode_32 0
		.amdhsa_float_round_mode_16_64 0
		.amdhsa_float_denorm_mode_32 3
		.amdhsa_float_denorm_mode_16_64 3
		.amdhsa_dx10_clamp 1
		.amdhsa_ieee_mode 1
		.amdhsa_fp16_overflow 0
		.amdhsa_exception_fp_ieee_invalid_op 0
		.amdhsa_exception_fp_denorm_src 0
		.amdhsa_exception_fp_ieee_div_zero 0
		.amdhsa_exception_fp_ieee_overflow 0
		.amdhsa_exception_fp_ieee_underflow 0
		.amdhsa_exception_fp_ieee_inexact 0
		.amdhsa_exception_int_div_zero 0
	.end_amdhsa_kernel
	.section	.text._ZN2at6native29vectorized_elementwise_kernelILi16ENS0_11FillFunctorIfEESt5arrayIPcLm1EEEEviT0_T1_,"axG",@progbits,_ZN2at6native29vectorized_elementwise_kernelILi16ENS0_11FillFunctorIfEESt5arrayIPcLm1EEEEviT0_T1_,comdat
.Lfunc_end48:
	.size	_ZN2at6native29vectorized_elementwise_kernelILi16ENS0_11FillFunctorIfEESt5arrayIPcLm1EEEEviT0_T1_, .Lfunc_end48-_ZN2at6native29vectorized_elementwise_kernelILi16ENS0_11FillFunctorIfEESt5arrayIPcLm1EEEEviT0_T1_
                                        ; -- End function
	.set _ZN2at6native29vectorized_elementwise_kernelILi16ENS0_11FillFunctorIfEESt5arrayIPcLm1EEEEviT0_T1_.num_vgpr, 8
	.set _ZN2at6native29vectorized_elementwise_kernelILi16ENS0_11FillFunctorIfEESt5arrayIPcLm1EEEEviT0_T1_.num_agpr, 0
	.set _ZN2at6native29vectorized_elementwise_kernelILi16ENS0_11FillFunctorIfEESt5arrayIPcLm1EEEEviT0_T1_.numbered_sgpr, 9
	.set _ZN2at6native29vectorized_elementwise_kernelILi16ENS0_11FillFunctorIfEESt5arrayIPcLm1EEEEviT0_T1_.num_named_barrier, 0
	.set _ZN2at6native29vectorized_elementwise_kernelILi16ENS0_11FillFunctorIfEESt5arrayIPcLm1EEEEviT0_T1_.private_seg_size, 0
	.set _ZN2at6native29vectorized_elementwise_kernelILi16ENS0_11FillFunctorIfEESt5arrayIPcLm1EEEEviT0_T1_.uses_vcc, 1
	.set _ZN2at6native29vectorized_elementwise_kernelILi16ENS0_11FillFunctorIfEESt5arrayIPcLm1EEEEviT0_T1_.uses_flat_scratch, 0
	.set _ZN2at6native29vectorized_elementwise_kernelILi16ENS0_11FillFunctorIfEESt5arrayIPcLm1EEEEviT0_T1_.has_dyn_sized_stack, 0
	.set _ZN2at6native29vectorized_elementwise_kernelILi16ENS0_11FillFunctorIfEESt5arrayIPcLm1EEEEviT0_T1_.has_recursion, 0
	.set _ZN2at6native29vectorized_elementwise_kernelILi16ENS0_11FillFunctorIfEESt5arrayIPcLm1EEEEviT0_T1_.has_indirect_call, 0
	.section	.AMDGPU.csdata,"",@progbits
; Kernel info:
; codeLenInByte = 448
; TotalNumSgprs: 13
; NumVgprs: 8
; ScratchSize: 0
; MemoryBound: 0
; FloatMode: 240
; IeeeMode: 1
; LDSByteSize: 0 bytes/workgroup (compile time only)
; SGPRBlocks: 1
; VGPRBlocks: 1
; NumSGPRsForWavesPerEU: 13
; NumVGPRsForWavesPerEU: 8
; Occupancy: 10
; WaveLimiterHint : 0
; COMPUTE_PGM_RSRC2:SCRATCH_EN: 0
; COMPUTE_PGM_RSRC2:USER_SGPR: 6
; COMPUTE_PGM_RSRC2:TRAP_HANDLER: 0
; COMPUTE_PGM_RSRC2:TGID_X_EN: 1
; COMPUTE_PGM_RSRC2:TGID_Y_EN: 0
; COMPUTE_PGM_RSRC2:TGID_Z_EN: 0
; COMPUTE_PGM_RSRC2:TIDIG_COMP_CNT: 0
	.section	.text._ZN2at6native29vectorized_elementwise_kernelILi8ENS0_11FillFunctorIfEESt5arrayIPcLm1EEEEviT0_T1_,"axG",@progbits,_ZN2at6native29vectorized_elementwise_kernelILi8ENS0_11FillFunctorIfEESt5arrayIPcLm1EEEEviT0_T1_,comdat
	.protected	_ZN2at6native29vectorized_elementwise_kernelILi8ENS0_11FillFunctorIfEESt5arrayIPcLm1EEEEviT0_T1_ ; -- Begin function _ZN2at6native29vectorized_elementwise_kernelILi8ENS0_11FillFunctorIfEESt5arrayIPcLm1EEEEviT0_T1_
	.globl	_ZN2at6native29vectorized_elementwise_kernelILi8ENS0_11FillFunctorIfEESt5arrayIPcLm1EEEEviT0_T1_
	.p2align	8
	.type	_ZN2at6native29vectorized_elementwise_kernelILi8ENS0_11FillFunctorIfEESt5arrayIPcLm1EEEEviT0_T1_,@function
_ZN2at6native29vectorized_elementwise_kernelILi8ENS0_11FillFunctorIfEESt5arrayIPcLm1EEEEviT0_T1_: ; @_ZN2at6native29vectorized_elementwise_kernelILi8ENS0_11FillFunctorIfEESt5arrayIPcLm1EEEEviT0_T1_
; %bb.0:
	s_load_dwordx4 s[0:3], s[4:5], 0x0
	s_lshl_b32 s4, s6, 10
	s_mov_b64 s[6:7], -1
	s_waitcnt lgkmcnt(0)
	s_sub_i32 s8, s0, s4
	s_cmpk_gt_i32 s8, 0x3ff
	s_cbranch_scc0 .LBB49_2
; %bb.1:
	s_ashr_i32 s5, s4, 31
	s_lshl_b64 s[6:7], s[4:5], 2
	s_add_u32 s6, s2, s6
	s_addc_u32 s7, s3, s7
	v_lshlrev_b32_e32 v5, 4, v0
	v_mov_b32_e32 v1, s1
	v_mov_b32_e32 v2, s1
	;; [unrolled: 1-line block ×4, first 2 shown]
	global_store_dwordx4 v5, v[1:4], s[6:7]
	s_mov_b64 s[6:7], 0
.LBB49_2:
	s_andn2_b64 vcc, exec, s[6:7]
	s_cbranch_vccnz .LBB49_8
; %bb.3:
	v_or_b32_e32 v4, 0x100, v0
	v_mov_b32_e32 v1, s1
	v_cmp_gt_i32_e64 s[0:1], s8, v4
	v_or_b32_e32 v2, 0x200, v0
	v_cndmask_b32_e64 v3, 0, v1, s[0:1]
	v_cmp_gt_i32_e64 s[0:1], s8, v2
	v_or_b32_e32 v6, 0x300, v0
	v_cmp_gt_i32_e32 vcc, s8, v0
	v_cndmask_b32_e64 v2, 0, v1, s[0:1]
	v_cmp_gt_i32_e64 s[0:1], s8, v6
	v_cndmask_b32_e32 v5, 0, v1, vcc
	v_cndmask_b32_e64 v1, 0, v1, s[0:1]
	s_and_saveexec_b64 s[0:1], vcc
	s_cbranch_execnz .LBB49_9
; %bb.4:
	s_or_b64 exec, exec, s[0:1]
	v_cmp_gt_i32_e32 vcc, s8, v0
	s_and_saveexec_b64 s[0:1], vcc
	s_cbranch_execnz .LBB49_10
.LBB49_5:
	s_or_b64 exec, exec, s[0:1]
	v_cmp_gt_i32_e32 vcc, s8, v0
	s_and_saveexec_b64 s[0:1], vcc
	s_cbranch_execnz .LBB49_11
.LBB49_6:
	s_or_b64 exec, exec, s[0:1]
	v_cmp_gt_i32_e32 vcc, s8, v0
	s_and_saveexec_b64 s[0:1], vcc
	s_cbranch_execz .LBB49_8
.LBB49_7:
	v_add_u32_e32 v2, s4, v0
	v_mov_b32_e32 v3, 0
	v_lshlrev_b64 v[2:3], 2, v[2:3]
	v_mov_b32_e32 v0, s3
	v_add_co_u32_e32 v2, vcc, s2, v2
	v_addc_co_u32_e32 v3, vcc, v0, v3, vcc
	global_store_dword v[2:3], v1, off
.LBB49_8:
	s_endpgm
.LBB49_9:
	v_or_b32_e32 v6, s4, v0
	v_mov_b32_e32 v7, 0
	v_lshlrev_b64 v[6:7], 2, v[6:7]
	v_mov_b32_e32 v0, s3
	v_add_co_u32_e32 v6, vcc, s2, v6
	v_addc_co_u32_e32 v7, vcc, v0, v7, vcc
	v_mov_b32_e32 v0, v4
	global_store_dword v[6:7], v5, off
	s_or_b64 exec, exec, s[0:1]
	v_cmp_gt_i32_e32 vcc, s8, v0
	s_and_saveexec_b64 s[0:1], vcc
	s_cbranch_execz .LBB49_5
.LBB49_10:
	v_add_u32_e32 v4, s4, v0
	v_mov_b32_e32 v5, 0
	v_lshlrev_b64 v[4:5], 2, v[4:5]
	v_mov_b32_e32 v6, s3
	v_add_co_u32_e32 v4, vcc, s2, v4
	v_addc_co_u32_e32 v5, vcc, v6, v5, vcc
	v_add_u32_e32 v0, 0x100, v0
	global_store_dword v[4:5], v3, off
	s_or_b64 exec, exec, s[0:1]
	v_cmp_gt_i32_e32 vcc, s8, v0
	s_and_saveexec_b64 s[0:1], vcc
	s_cbranch_execz .LBB49_6
.LBB49_11:
	v_add_u32_e32 v3, s4, v0
	v_mov_b32_e32 v4, 0
	v_lshlrev_b64 v[3:4], 2, v[3:4]
	v_mov_b32_e32 v5, s3
	v_add_co_u32_e32 v3, vcc, s2, v3
	v_addc_co_u32_e32 v4, vcc, v5, v4, vcc
	v_add_u32_e32 v0, 0x100, v0
	global_store_dword v[3:4], v2, off
	s_or_b64 exec, exec, s[0:1]
	v_cmp_gt_i32_e32 vcc, s8, v0
	s_and_saveexec_b64 s[0:1], vcc
	s_cbranch_execnz .LBB49_7
	s_branch .LBB49_8
	.section	.rodata,"a",@progbits
	.p2align	6, 0x0
	.amdhsa_kernel _ZN2at6native29vectorized_elementwise_kernelILi8ENS0_11FillFunctorIfEESt5arrayIPcLm1EEEEviT0_T1_
		.amdhsa_group_segment_fixed_size 0
		.amdhsa_private_segment_fixed_size 0
		.amdhsa_kernarg_size 16
		.amdhsa_user_sgpr_count 6
		.amdhsa_user_sgpr_private_segment_buffer 1
		.amdhsa_user_sgpr_dispatch_ptr 0
		.amdhsa_user_sgpr_queue_ptr 0
		.amdhsa_user_sgpr_kernarg_segment_ptr 1
		.amdhsa_user_sgpr_dispatch_id 0
		.amdhsa_user_sgpr_flat_scratch_init 0
		.amdhsa_user_sgpr_private_segment_size 0
		.amdhsa_uses_dynamic_stack 0
		.amdhsa_system_sgpr_private_segment_wavefront_offset 0
		.amdhsa_system_sgpr_workgroup_id_x 1
		.amdhsa_system_sgpr_workgroup_id_y 0
		.amdhsa_system_sgpr_workgroup_id_z 0
		.amdhsa_system_sgpr_workgroup_info 0
		.amdhsa_system_vgpr_workitem_id 0
		.amdhsa_next_free_vgpr 8
		.amdhsa_next_free_sgpr 9
		.amdhsa_reserve_vcc 1
		.amdhsa_reserve_flat_scratch 0
		.amdhsa_float_round_mode_32 0
		.amdhsa_float_round_mode_16_64 0
		.amdhsa_float_denorm_mode_32 3
		.amdhsa_float_denorm_mode_16_64 3
		.amdhsa_dx10_clamp 1
		.amdhsa_ieee_mode 1
		.amdhsa_fp16_overflow 0
		.amdhsa_exception_fp_ieee_invalid_op 0
		.amdhsa_exception_fp_denorm_src 0
		.amdhsa_exception_fp_ieee_div_zero 0
		.amdhsa_exception_fp_ieee_overflow 0
		.amdhsa_exception_fp_ieee_underflow 0
		.amdhsa_exception_fp_ieee_inexact 0
		.amdhsa_exception_int_div_zero 0
	.end_amdhsa_kernel
	.section	.text._ZN2at6native29vectorized_elementwise_kernelILi8ENS0_11FillFunctorIfEESt5arrayIPcLm1EEEEviT0_T1_,"axG",@progbits,_ZN2at6native29vectorized_elementwise_kernelILi8ENS0_11FillFunctorIfEESt5arrayIPcLm1EEEEviT0_T1_,comdat
.Lfunc_end49:
	.size	_ZN2at6native29vectorized_elementwise_kernelILi8ENS0_11FillFunctorIfEESt5arrayIPcLm1EEEEviT0_T1_, .Lfunc_end49-_ZN2at6native29vectorized_elementwise_kernelILi8ENS0_11FillFunctorIfEESt5arrayIPcLm1EEEEviT0_T1_
                                        ; -- End function
	.set _ZN2at6native29vectorized_elementwise_kernelILi8ENS0_11FillFunctorIfEESt5arrayIPcLm1EEEEviT0_T1_.num_vgpr, 8
	.set _ZN2at6native29vectorized_elementwise_kernelILi8ENS0_11FillFunctorIfEESt5arrayIPcLm1EEEEviT0_T1_.num_agpr, 0
	.set _ZN2at6native29vectorized_elementwise_kernelILi8ENS0_11FillFunctorIfEESt5arrayIPcLm1EEEEviT0_T1_.numbered_sgpr, 9
	.set _ZN2at6native29vectorized_elementwise_kernelILi8ENS0_11FillFunctorIfEESt5arrayIPcLm1EEEEviT0_T1_.num_named_barrier, 0
	.set _ZN2at6native29vectorized_elementwise_kernelILi8ENS0_11FillFunctorIfEESt5arrayIPcLm1EEEEviT0_T1_.private_seg_size, 0
	.set _ZN2at6native29vectorized_elementwise_kernelILi8ENS0_11FillFunctorIfEESt5arrayIPcLm1EEEEviT0_T1_.uses_vcc, 1
	.set _ZN2at6native29vectorized_elementwise_kernelILi8ENS0_11FillFunctorIfEESt5arrayIPcLm1EEEEviT0_T1_.uses_flat_scratch, 0
	.set _ZN2at6native29vectorized_elementwise_kernelILi8ENS0_11FillFunctorIfEESt5arrayIPcLm1EEEEviT0_T1_.has_dyn_sized_stack, 0
	.set _ZN2at6native29vectorized_elementwise_kernelILi8ENS0_11FillFunctorIfEESt5arrayIPcLm1EEEEviT0_T1_.has_recursion, 0
	.set _ZN2at6native29vectorized_elementwise_kernelILi8ENS0_11FillFunctorIfEESt5arrayIPcLm1EEEEviT0_T1_.has_indirect_call, 0
	.section	.AMDGPU.csdata,"",@progbits
; Kernel info:
; codeLenInByte = 448
; TotalNumSgprs: 13
; NumVgprs: 8
; ScratchSize: 0
; MemoryBound: 0
; FloatMode: 240
; IeeeMode: 1
; LDSByteSize: 0 bytes/workgroup (compile time only)
; SGPRBlocks: 1
; VGPRBlocks: 1
; NumSGPRsForWavesPerEU: 13
; NumVGPRsForWavesPerEU: 8
; Occupancy: 10
; WaveLimiterHint : 0
; COMPUTE_PGM_RSRC2:SCRATCH_EN: 0
; COMPUTE_PGM_RSRC2:USER_SGPR: 6
; COMPUTE_PGM_RSRC2:TRAP_HANDLER: 0
; COMPUTE_PGM_RSRC2:TGID_X_EN: 1
; COMPUTE_PGM_RSRC2:TGID_Y_EN: 0
; COMPUTE_PGM_RSRC2:TGID_Z_EN: 0
; COMPUTE_PGM_RSRC2:TIDIG_COMP_CNT: 0
	.section	.text._ZN2at6native29vectorized_elementwise_kernelILi4ENS0_11FillFunctorIfEESt5arrayIPcLm1EEEEviT0_T1_,"axG",@progbits,_ZN2at6native29vectorized_elementwise_kernelILi4ENS0_11FillFunctorIfEESt5arrayIPcLm1EEEEviT0_T1_,comdat
	.protected	_ZN2at6native29vectorized_elementwise_kernelILi4ENS0_11FillFunctorIfEESt5arrayIPcLm1EEEEviT0_T1_ ; -- Begin function _ZN2at6native29vectorized_elementwise_kernelILi4ENS0_11FillFunctorIfEESt5arrayIPcLm1EEEEviT0_T1_
	.globl	_ZN2at6native29vectorized_elementwise_kernelILi4ENS0_11FillFunctorIfEESt5arrayIPcLm1EEEEviT0_T1_
	.p2align	8
	.type	_ZN2at6native29vectorized_elementwise_kernelILi4ENS0_11FillFunctorIfEESt5arrayIPcLm1EEEEviT0_T1_,@function
_ZN2at6native29vectorized_elementwise_kernelILi4ENS0_11FillFunctorIfEESt5arrayIPcLm1EEEEviT0_T1_: ; @_ZN2at6native29vectorized_elementwise_kernelILi4ENS0_11FillFunctorIfEESt5arrayIPcLm1EEEEviT0_T1_
; %bb.0:
	s_load_dwordx4 s[0:3], s[4:5], 0x0
	s_lshl_b32 s4, s6, 10
	s_mov_b64 s[6:7], -1
	s_waitcnt lgkmcnt(0)
	s_sub_i32 s8, s0, s4
	s_cmpk_gt_i32 s8, 0x3ff
	s_cbranch_scc0 .LBB50_2
; %bb.1:
	s_ashr_i32 s5, s4, 31
	s_lshl_b64 s[6:7], s[4:5], 2
	s_add_u32 s6, s2, s6
	s_addc_u32 s7, s3, s7
	v_lshlrev_b32_e32 v5, 4, v0
	v_mov_b32_e32 v1, s1
	v_mov_b32_e32 v2, s1
	;; [unrolled: 1-line block ×4, first 2 shown]
	global_store_dwordx4 v5, v[1:4], s[6:7]
	s_mov_b64 s[6:7], 0
.LBB50_2:
	s_andn2_b64 vcc, exec, s[6:7]
	s_cbranch_vccnz .LBB50_8
; %bb.3:
	v_or_b32_e32 v4, 0x100, v0
	v_mov_b32_e32 v1, s1
	v_cmp_gt_i32_e64 s[0:1], s8, v4
	v_or_b32_e32 v2, 0x200, v0
	v_cndmask_b32_e64 v3, 0, v1, s[0:1]
	v_cmp_gt_i32_e64 s[0:1], s8, v2
	v_or_b32_e32 v6, 0x300, v0
	v_cmp_gt_i32_e32 vcc, s8, v0
	v_cndmask_b32_e64 v2, 0, v1, s[0:1]
	v_cmp_gt_i32_e64 s[0:1], s8, v6
	v_cndmask_b32_e32 v5, 0, v1, vcc
	v_cndmask_b32_e64 v1, 0, v1, s[0:1]
	s_and_saveexec_b64 s[0:1], vcc
	s_cbranch_execnz .LBB50_9
; %bb.4:
	s_or_b64 exec, exec, s[0:1]
	v_cmp_gt_i32_e32 vcc, s8, v0
	s_and_saveexec_b64 s[0:1], vcc
	s_cbranch_execnz .LBB50_10
.LBB50_5:
	s_or_b64 exec, exec, s[0:1]
	v_cmp_gt_i32_e32 vcc, s8, v0
	s_and_saveexec_b64 s[0:1], vcc
	s_cbranch_execnz .LBB50_11
.LBB50_6:
	s_or_b64 exec, exec, s[0:1]
	v_cmp_gt_i32_e32 vcc, s8, v0
	s_and_saveexec_b64 s[0:1], vcc
	s_cbranch_execz .LBB50_8
.LBB50_7:
	v_add_u32_e32 v2, s4, v0
	v_mov_b32_e32 v3, 0
	v_lshlrev_b64 v[2:3], 2, v[2:3]
	v_mov_b32_e32 v0, s3
	v_add_co_u32_e32 v2, vcc, s2, v2
	v_addc_co_u32_e32 v3, vcc, v0, v3, vcc
	global_store_dword v[2:3], v1, off
.LBB50_8:
	s_endpgm
.LBB50_9:
	v_or_b32_e32 v6, s4, v0
	v_mov_b32_e32 v7, 0
	v_lshlrev_b64 v[6:7], 2, v[6:7]
	v_mov_b32_e32 v0, s3
	v_add_co_u32_e32 v6, vcc, s2, v6
	v_addc_co_u32_e32 v7, vcc, v0, v7, vcc
	v_mov_b32_e32 v0, v4
	global_store_dword v[6:7], v5, off
	s_or_b64 exec, exec, s[0:1]
	v_cmp_gt_i32_e32 vcc, s8, v0
	s_and_saveexec_b64 s[0:1], vcc
	s_cbranch_execz .LBB50_5
.LBB50_10:
	v_add_u32_e32 v4, s4, v0
	v_mov_b32_e32 v5, 0
	v_lshlrev_b64 v[4:5], 2, v[4:5]
	v_mov_b32_e32 v6, s3
	v_add_co_u32_e32 v4, vcc, s2, v4
	v_addc_co_u32_e32 v5, vcc, v6, v5, vcc
	v_add_u32_e32 v0, 0x100, v0
	global_store_dword v[4:5], v3, off
	s_or_b64 exec, exec, s[0:1]
	v_cmp_gt_i32_e32 vcc, s8, v0
	s_and_saveexec_b64 s[0:1], vcc
	s_cbranch_execz .LBB50_6
.LBB50_11:
	v_add_u32_e32 v3, s4, v0
	v_mov_b32_e32 v4, 0
	v_lshlrev_b64 v[3:4], 2, v[3:4]
	v_mov_b32_e32 v5, s3
	v_add_co_u32_e32 v3, vcc, s2, v3
	v_addc_co_u32_e32 v4, vcc, v5, v4, vcc
	v_add_u32_e32 v0, 0x100, v0
	global_store_dword v[3:4], v2, off
	s_or_b64 exec, exec, s[0:1]
	v_cmp_gt_i32_e32 vcc, s8, v0
	s_and_saveexec_b64 s[0:1], vcc
	s_cbranch_execnz .LBB50_7
	s_branch .LBB50_8
	.section	.rodata,"a",@progbits
	.p2align	6, 0x0
	.amdhsa_kernel _ZN2at6native29vectorized_elementwise_kernelILi4ENS0_11FillFunctorIfEESt5arrayIPcLm1EEEEviT0_T1_
		.amdhsa_group_segment_fixed_size 0
		.amdhsa_private_segment_fixed_size 0
		.amdhsa_kernarg_size 16
		.amdhsa_user_sgpr_count 6
		.amdhsa_user_sgpr_private_segment_buffer 1
		.amdhsa_user_sgpr_dispatch_ptr 0
		.amdhsa_user_sgpr_queue_ptr 0
		.amdhsa_user_sgpr_kernarg_segment_ptr 1
		.amdhsa_user_sgpr_dispatch_id 0
		.amdhsa_user_sgpr_flat_scratch_init 0
		.amdhsa_user_sgpr_private_segment_size 0
		.amdhsa_uses_dynamic_stack 0
		.amdhsa_system_sgpr_private_segment_wavefront_offset 0
		.amdhsa_system_sgpr_workgroup_id_x 1
		.amdhsa_system_sgpr_workgroup_id_y 0
		.amdhsa_system_sgpr_workgroup_id_z 0
		.amdhsa_system_sgpr_workgroup_info 0
		.amdhsa_system_vgpr_workitem_id 0
		.amdhsa_next_free_vgpr 8
		.amdhsa_next_free_sgpr 9
		.amdhsa_reserve_vcc 1
		.amdhsa_reserve_flat_scratch 0
		.amdhsa_float_round_mode_32 0
		.amdhsa_float_round_mode_16_64 0
		.amdhsa_float_denorm_mode_32 3
		.amdhsa_float_denorm_mode_16_64 3
		.amdhsa_dx10_clamp 1
		.amdhsa_ieee_mode 1
		.amdhsa_fp16_overflow 0
		.amdhsa_exception_fp_ieee_invalid_op 0
		.amdhsa_exception_fp_denorm_src 0
		.amdhsa_exception_fp_ieee_div_zero 0
		.amdhsa_exception_fp_ieee_overflow 0
		.amdhsa_exception_fp_ieee_underflow 0
		.amdhsa_exception_fp_ieee_inexact 0
		.amdhsa_exception_int_div_zero 0
	.end_amdhsa_kernel
	.section	.text._ZN2at6native29vectorized_elementwise_kernelILi4ENS0_11FillFunctorIfEESt5arrayIPcLm1EEEEviT0_T1_,"axG",@progbits,_ZN2at6native29vectorized_elementwise_kernelILi4ENS0_11FillFunctorIfEESt5arrayIPcLm1EEEEviT0_T1_,comdat
.Lfunc_end50:
	.size	_ZN2at6native29vectorized_elementwise_kernelILi4ENS0_11FillFunctorIfEESt5arrayIPcLm1EEEEviT0_T1_, .Lfunc_end50-_ZN2at6native29vectorized_elementwise_kernelILi4ENS0_11FillFunctorIfEESt5arrayIPcLm1EEEEviT0_T1_
                                        ; -- End function
	.set _ZN2at6native29vectorized_elementwise_kernelILi4ENS0_11FillFunctorIfEESt5arrayIPcLm1EEEEviT0_T1_.num_vgpr, 8
	.set _ZN2at6native29vectorized_elementwise_kernelILi4ENS0_11FillFunctorIfEESt5arrayIPcLm1EEEEviT0_T1_.num_agpr, 0
	.set _ZN2at6native29vectorized_elementwise_kernelILi4ENS0_11FillFunctorIfEESt5arrayIPcLm1EEEEviT0_T1_.numbered_sgpr, 9
	.set _ZN2at6native29vectorized_elementwise_kernelILi4ENS0_11FillFunctorIfEESt5arrayIPcLm1EEEEviT0_T1_.num_named_barrier, 0
	.set _ZN2at6native29vectorized_elementwise_kernelILi4ENS0_11FillFunctorIfEESt5arrayIPcLm1EEEEviT0_T1_.private_seg_size, 0
	.set _ZN2at6native29vectorized_elementwise_kernelILi4ENS0_11FillFunctorIfEESt5arrayIPcLm1EEEEviT0_T1_.uses_vcc, 1
	.set _ZN2at6native29vectorized_elementwise_kernelILi4ENS0_11FillFunctorIfEESt5arrayIPcLm1EEEEviT0_T1_.uses_flat_scratch, 0
	.set _ZN2at6native29vectorized_elementwise_kernelILi4ENS0_11FillFunctorIfEESt5arrayIPcLm1EEEEviT0_T1_.has_dyn_sized_stack, 0
	.set _ZN2at6native29vectorized_elementwise_kernelILi4ENS0_11FillFunctorIfEESt5arrayIPcLm1EEEEviT0_T1_.has_recursion, 0
	.set _ZN2at6native29vectorized_elementwise_kernelILi4ENS0_11FillFunctorIfEESt5arrayIPcLm1EEEEviT0_T1_.has_indirect_call, 0
	.section	.AMDGPU.csdata,"",@progbits
; Kernel info:
; codeLenInByte = 448
; TotalNumSgprs: 13
; NumVgprs: 8
; ScratchSize: 0
; MemoryBound: 0
; FloatMode: 240
; IeeeMode: 1
; LDSByteSize: 0 bytes/workgroup (compile time only)
; SGPRBlocks: 1
; VGPRBlocks: 1
; NumSGPRsForWavesPerEU: 13
; NumVGPRsForWavesPerEU: 8
; Occupancy: 10
; WaveLimiterHint : 0
; COMPUTE_PGM_RSRC2:SCRATCH_EN: 0
; COMPUTE_PGM_RSRC2:USER_SGPR: 6
; COMPUTE_PGM_RSRC2:TRAP_HANDLER: 0
; COMPUTE_PGM_RSRC2:TGID_X_EN: 1
; COMPUTE_PGM_RSRC2:TGID_Y_EN: 0
; COMPUTE_PGM_RSRC2:TGID_Z_EN: 0
; COMPUTE_PGM_RSRC2:TIDIG_COMP_CNT: 0
	.section	.text._ZN2at6native29vectorized_elementwise_kernelILi2ENS0_11FillFunctorIfEESt5arrayIPcLm1EEEEviT0_T1_,"axG",@progbits,_ZN2at6native29vectorized_elementwise_kernelILi2ENS0_11FillFunctorIfEESt5arrayIPcLm1EEEEviT0_T1_,comdat
	.protected	_ZN2at6native29vectorized_elementwise_kernelILi2ENS0_11FillFunctorIfEESt5arrayIPcLm1EEEEviT0_T1_ ; -- Begin function _ZN2at6native29vectorized_elementwise_kernelILi2ENS0_11FillFunctorIfEESt5arrayIPcLm1EEEEviT0_T1_
	.globl	_ZN2at6native29vectorized_elementwise_kernelILi2ENS0_11FillFunctorIfEESt5arrayIPcLm1EEEEviT0_T1_
	.p2align	8
	.type	_ZN2at6native29vectorized_elementwise_kernelILi2ENS0_11FillFunctorIfEESt5arrayIPcLm1EEEEviT0_T1_,@function
_ZN2at6native29vectorized_elementwise_kernelILi2ENS0_11FillFunctorIfEESt5arrayIPcLm1EEEEviT0_T1_: ; @_ZN2at6native29vectorized_elementwise_kernelILi2ENS0_11FillFunctorIfEESt5arrayIPcLm1EEEEviT0_T1_
; %bb.0:
	s_load_dwordx4 s[0:3], s[4:5], 0x0
	s_lshl_b32 s4, s6, 10
	s_mov_b64 s[6:7], -1
	s_waitcnt lgkmcnt(0)
	s_sub_i32 s8, s0, s4
	s_cmpk_gt_i32 s8, 0x3ff
	s_cbranch_scc0 .LBB51_2
; %bb.1:
	s_ashr_i32 s5, s4, 31
	s_lshl_b64 s[6:7], s[4:5], 2
	s_add_u32 s6, s2, s6
	s_mov_b32 s0, s1
	v_mov_b32_e32 v2, s1
	s_addc_u32 s7, s3, s7
	v_lshlrev_b32_e32 v3, 3, v0
	v_mov_b32_e32 v1, s0
	global_store_dwordx2 v3, v[1:2], s[6:7]
	global_store_dwordx2 v3, v[1:2], s[6:7] offset:2048
	s_mov_b64 s[6:7], 0
.LBB51_2:
	s_andn2_b64 vcc, exec, s[6:7]
	s_cbranch_vccnz .LBB51_8
; %bb.3:
	v_or_b32_e32 v4, 0x100, v0
	v_mov_b32_e32 v1, s1
	v_cmp_gt_i32_e64 s[0:1], s8, v4
	v_or_b32_e32 v2, 0x200, v0
	v_cndmask_b32_e64 v3, 0, v1, s[0:1]
	v_cmp_gt_i32_e64 s[0:1], s8, v2
	v_or_b32_e32 v6, 0x300, v0
	v_cmp_gt_i32_e32 vcc, s8, v0
	v_cndmask_b32_e64 v2, 0, v1, s[0:1]
	v_cmp_gt_i32_e64 s[0:1], s8, v6
	v_cndmask_b32_e32 v5, 0, v1, vcc
	v_cndmask_b32_e64 v1, 0, v1, s[0:1]
	s_and_saveexec_b64 s[0:1], vcc
	s_cbranch_execnz .LBB51_9
; %bb.4:
	s_or_b64 exec, exec, s[0:1]
	v_cmp_gt_i32_e32 vcc, s8, v0
	s_and_saveexec_b64 s[0:1], vcc
	s_cbranch_execnz .LBB51_10
.LBB51_5:
	s_or_b64 exec, exec, s[0:1]
	v_cmp_gt_i32_e32 vcc, s8, v0
	s_and_saveexec_b64 s[0:1], vcc
	s_cbranch_execnz .LBB51_11
.LBB51_6:
	s_or_b64 exec, exec, s[0:1]
	v_cmp_gt_i32_e32 vcc, s8, v0
	s_and_saveexec_b64 s[0:1], vcc
	s_cbranch_execz .LBB51_8
.LBB51_7:
	v_add_u32_e32 v2, s4, v0
	v_mov_b32_e32 v3, 0
	v_lshlrev_b64 v[2:3], 2, v[2:3]
	v_mov_b32_e32 v0, s3
	v_add_co_u32_e32 v2, vcc, s2, v2
	v_addc_co_u32_e32 v3, vcc, v0, v3, vcc
	global_store_dword v[2:3], v1, off
.LBB51_8:
	s_endpgm
.LBB51_9:
	v_or_b32_e32 v6, s4, v0
	v_mov_b32_e32 v7, 0
	v_lshlrev_b64 v[6:7], 2, v[6:7]
	v_mov_b32_e32 v0, s3
	v_add_co_u32_e32 v6, vcc, s2, v6
	v_addc_co_u32_e32 v7, vcc, v0, v7, vcc
	v_mov_b32_e32 v0, v4
	global_store_dword v[6:7], v5, off
	s_or_b64 exec, exec, s[0:1]
	v_cmp_gt_i32_e32 vcc, s8, v0
	s_and_saveexec_b64 s[0:1], vcc
	s_cbranch_execz .LBB51_5
.LBB51_10:
	v_add_u32_e32 v4, s4, v0
	v_mov_b32_e32 v5, 0
	v_lshlrev_b64 v[4:5], 2, v[4:5]
	v_mov_b32_e32 v6, s3
	v_add_co_u32_e32 v4, vcc, s2, v4
	v_addc_co_u32_e32 v5, vcc, v6, v5, vcc
	v_add_u32_e32 v0, 0x100, v0
	global_store_dword v[4:5], v3, off
	s_or_b64 exec, exec, s[0:1]
	v_cmp_gt_i32_e32 vcc, s8, v0
	s_and_saveexec_b64 s[0:1], vcc
	s_cbranch_execz .LBB51_6
.LBB51_11:
	v_add_u32_e32 v3, s4, v0
	v_mov_b32_e32 v4, 0
	v_lshlrev_b64 v[3:4], 2, v[3:4]
	v_mov_b32_e32 v5, s3
	v_add_co_u32_e32 v3, vcc, s2, v3
	v_addc_co_u32_e32 v4, vcc, v5, v4, vcc
	v_add_u32_e32 v0, 0x100, v0
	global_store_dword v[3:4], v2, off
	s_or_b64 exec, exec, s[0:1]
	v_cmp_gt_i32_e32 vcc, s8, v0
	s_and_saveexec_b64 s[0:1], vcc
	s_cbranch_execnz .LBB51_7
	s_branch .LBB51_8
	.section	.rodata,"a",@progbits
	.p2align	6, 0x0
	.amdhsa_kernel _ZN2at6native29vectorized_elementwise_kernelILi2ENS0_11FillFunctorIfEESt5arrayIPcLm1EEEEviT0_T1_
		.amdhsa_group_segment_fixed_size 0
		.amdhsa_private_segment_fixed_size 0
		.amdhsa_kernarg_size 16
		.amdhsa_user_sgpr_count 6
		.amdhsa_user_sgpr_private_segment_buffer 1
		.amdhsa_user_sgpr_dispatch_ptr 0
		.amdhsa_user_sgpr_queue_ptr 0
		.amdhsa_user_sgpr_kernarg_segment_ptr 1
		.amdhsa_user_sgpr_dispatch_id 0
		.amdhsa_user_sgpr_flat_scratch_init 0
		.amdhsa_user_sgpr_private_segment_size 0
		.amdhsa_uses_dynamic_stack 0
		.amdhsa_system_sgpr_private_segment_wavefront_offset 0
		.amdhsa_system_sgpr_workgroup_id_x 1
		.amdhsa_system_sgpr_workgroup_id_y 0
		.amdhsa_system_sgpr_workgroup_id_z 0
		.amdhsa_system_sgpr_workgroup_info 0
		.amdhsa_system_vgpr_workitem_id 0
		.amdhsa_next_free_vgpr 8
		.amdhsa_next_free_sgpr 9
		.amdhsa_reserve_vcc 1
		.amdhsa_reserve_flat_scratch 0
		.amdhsa_float_round_mode_32 0
		.amdhsa_float_round_mode_16_64 0
		.amdhsa_float_denorm_mode_32 3
		.amdhsa_float_denorm_mode_16_64 3
		.amdhsa_dx10_clamp 1
		.amdhsa_ieee_mode 1
		.amdhsa_fp16_overflow 0
		.amdhsa_exception_fp_ieee_invalid_op 0
		.amdhsa_exception_fp_denorm_src 0
		.amdhsa_exception_fp_ieee_div_zero 0
		.amdhsa_exception_fp_ieee_overflow 0
		.amdhsa_exception_fp_ieee_underflow 0
		.amdhsa_exception_fp_ieee_inexact 0
		.amdhsa_exception_int_div_zero 0
	.end_amdhsa_kernel
	.section	.text._ZN2at6native29vectorized_elementwise_kernelILi2ENS0_11FillFunctorIfEESt5arrayIPcLm1EEEEviT0_T1_,"axG",@progbits,_ZN2at6native29vectorized_elementwise_kernelILi2ENS0_11FillFunctorIfEESt5arrayIPcLm1EEEEviT0_T1_,comdat
.Lfunc_end51:
	.size	_ZN2at6native29vectorized_elementwise_kernelILi2ENS0_11FillFunctorIfEESt5arrayIPcLm1EEEEviT0_T1_, .Lfunc_end51-_ZN2at6native29vectorized_elementwise_kernelILi2ENS0_11FillFunctorIfEESt5arrayIPcLm1EEEEviT0_T1_
                                        ; -- End function
	.set _ZN2at6native29vectorized_elementwise_kernelILi2ENS0_11FillFunctorIfEESt5arrayIPcLm1EEEEviT0_T1_.num_vgpr, 8
	.set _ZN2at6native29vectorized_elementwise_kernelILi2ENS0_11FillFunctorIfEESt5arrayIPcLm1EEEEviT0_T1_.num_agpr, 0
	.set _ZN2at6native29vectorized_elementwise_kernelILi2ENS0_11FillFunctorIfEESt5arrayIPcLm1EEEEviT0_T1_.numbered_sgpr, 9
	.set _ZN2at6native29vectorized_elementwise_kernelILi2ENS0_11FillFunctorIfEESt5arrayIPcLm1EEEEviT0_T1_.num_named_barrier, 0
	.set _ZN2at6native29vectorized_elementwise_kernelILi2ENS0_11FillFunctorIfEESt5arrayIPcLm1EEEEviT0_T1_.private_seg_size, 0
	.set _ZN2at6native29vectorized_elementwise_kernelILi2ENS0_11FillFunctorIfEESt5arrayIPcLm1EEEEviT0_T1_.uses_vcc, 1
	.set _ZN2at6native29vectorized_elementwise_kernelILi2ENS0_11FillFunctorIfEESt5arrayIPcLm1EEEEviT0_T1_.uses_flat_scratch, 0
	.set _ZN2at6native29vectorized_elementwise_kernelILi2ENS0_11FillFunctorIfEESt5arrayIPcLm1EEEEviT0_T1_.has_dyn_sized_stack, 0
	.set _ZN2at6native29vectorized_elementwise_kernelILi2ENS0_11FillFunctorIfEESt5arrayIPcLm1EEEEviT0_T1_.has_recursion, 0
	.set _ZN2at6native29vectorized_elementwise_kernelILi2ENS0_11FillFunctorIfEESt5arrayIPcLm1EEEEviT0_T1_.has_indirect_call, 0
	.section	.AMDGPU.csdata,"",@progbits
; Kernel info:
; codeLenInByte = 452
; TotalNumSgprs: 13
; NumVgprs: 8
; ScratchSize: 0
; MemoryBound: 0
; FloatMode: 240
; IeeeMode: 1
; LDSByteSize: 0 bytes/workgroup (compile time only)
; SGPRBlocks: 1
; VGPRBlocks: 1
; NumSGPRsForWavesPerEU: 13
; NumVGPRsForWavesPerEU: 8
; Occupancy: 10
; WaveLimiterHint : 1
; COMPUTE_PGM_RSRC2:SCRATCH_EN: 0
; COMPUTE_PGM_RSRC2:USER_SGPR: 6
; COMPUTE_PGM_RSRC2:TRAP_HANDLER: 0
; COMPUTE_PGM_RSRC2:TGID_X_EN: 1
; COMPUTE_PGM_RSRC2:TGID_Y_EN: 0
; COMPUTE_PGM_RSRC2:TGID_Z_EN: 0
; COMPUTE_PGM_RSRC2:TIDIG_COMP_CNT: 0
	.section	.text._ZN2at6native27unrolled_elementwise_kernelINS0_11FillFunctorIfEESt5arrayIPcLm1EELi4E23TrivialOffsetCalculatorILi0EjES7_ILi1EjENS0_6memory15LoadWithoutCastENSA_16StoreWithoutCastEEEviT_T0_T2_T3_T4_T5_,"axG",@progbits,_ZN2at6native27unrolled_elementwise_kernelINS0_11FillFunctorIfEESt5arrayIPcLm1EELi4E23TrivialOffsetCalculatorILi0EjES7_ILi1EjENS0_6memory15LoadWithoutCastENSA_16StoreWithoutCastEEEviT_T0_T2_T3_T4_T5_,comdat
	.protected	_ZN2at6native27unrolled_elementwise_kernelINS0_11FillFunctorIfEESt5arrayIPcLm1EELi4E23TrivialOffsetCalculatorILi0EjES7_ILi1EjENS0_6memory15LoadWithoutCastENSA_16StoreWithoutCastEEEviT_T0_T2_T3_T4_T5_ ; -- Begin function _ZN2at6native27unrolled_elementwise_kernelINS0_11FillFunctorIfEESt5arrayIPcLm1EELi4E23TrivialOffsetCalculatorILi0EjES7_ILi1EjENS0_6memory15LoadWithoutCastENSA_16StoreWithoutCastEEEviT_T0_T2_T3_T4_T5_
	.globl	_ZN2at6native27unrolled_elementwise_kernelINS0_11FillFunctorIfEESt5arrayIPcLm1EELi4E23TrivialOffsetCalculatorILi0EjES7_ILi1EjENS0_6memory15LoadWithoutCastENSA_16StoreWithoutCastEEEviT_T0_T2_T3_T4_T5_
	.p2align	8
	.type	_ZN2at6native27unrolled_elementwise_kernelINS0_11FillFunctorIfEESt5arrayIPcLm1EELi4E23TrivialOffsetCalculatorILi0EjES7_ILi1EjENS0_6memory15LoadWithoutCastENSA_16StoreWithoutCastEEEviT_T0_T2_T3_T4_T5_,@function
_ZN2at6native27unrolled_elementwise_kernelINS0_11FillFunctorIfEESt5arrayIPcLm1EELi4E23TrivialOffsetCalculatorILi0EjES7_ILi1EjENS0_6memory15LoadWithoutCastENSA_16StoreWithoutCastEEEviT_T0_T2_T3_T4_T5_: ; @_ZN2at6native27unrolled_elementwise_kernelINS0_11FillFunctorIfEESt5arrayIPcLm1EELi4E23TrivialOffsetCalculatorILi0EjES7_ILi1EjENS0_6memory15LoadWithoutCastENSA_16StoreWithoutCastEEEviT_T0_T2_T3_T4_T5_
; %bb.0:
	s_load_dwordx4 s[0:3], s[4:5], 0x0
	s_lshl_b32 s4, s6, 10
	v_or_b32_e32 v4, 0x100, v0
	v_or_b32_e32 v2, 0x200, v0
	;; [unrolled: 1-line block ×3, first 2 shown]
	s_waitcnt lgkmcnt(0)
	s_sub_i32 s5, s0, s4
	v_mov_b32_e32 v1, s1
	v_cmp_gt_i32_e64 s[0:1], s5, v4
	v_cndmask_b32_e64 v3, 0, v1, s[0:1]
	v_cmp_gt_i32_e64 s[0:1], s5, v2
	v_cmp_gt_i32_e32 vcc, s5, v0
	v_cndmask_b32_e64 v2, 0, v1, s[0:1]
	v_cmp_gt_i32_e64 s[0:1], s5, v6
	v_cndmask_b32_e32 v5, 0, v1, vcc
	v_cndmask_b32_e64 v1, 0, v1, s[0:1]
	s_and_saveexec_b64 s[0:1], vcc
	s_cbranch_execnz .LBB52_5
; %bb.1:
	s_or_b64 exec, exec, s[0:1]
	v_cmp_gt_i32_e32 vcc, s5, v0
	s_and_saveexec_b64 s[0:1], vcc
	s_cbranch_execnz .LBB52_6
.LBB52_2:
	s_or_b64 exec, exec, s[0:1]
	v_cmp_gt_i32_e32 vcc, s5, v0
	s_and_saveexec_b64 s[0:1], vcc
	s_cbranch_execnz .LBB52_7
.LBB52_3:
	s_or_b64 exec, exec, s[0:1]
	v_cmp_gt_i32_e32 vcc, s5, v0
	s_and_saveexec_b64 s[0:1], vcc
	s_cbranch_execnz .LBB52_8
.LBB52_4:
	s_endpgm
.LBB52_5:
	v_or_b32_e32 v6, s4, v0
	v_mov_b32_e32 v7, 0
	v_lshlrev_b64 v[6:7], 2, v[6:7]
	v_mov_b32_e32 v0, s3
	v_add_co_u32_e32 v6, vcc, s2, v6
	v_addc_co_u32_e32 v7, vcc, v0, v7, vcc
	v_mov_b32_e32 v0, v4
	global_store_dword v[6:7], v5, off
	s_or_b64 exec, exec, s[0:1]
	v_cmp_gt_i32_e32 vcc, s5, v0
	s_and_saveexec_b64 s[0:1], vcc
	s_cbranch_execz .LBB52_2
.LBB52_6:
	v_add_u32_e32 v4, s4, v0
	v_mov_b32_e32 v5, 0
	v_lshlrev_b64 v[4:5], 2, v[4:5]
	v_add_u32_e32 v6, 0x100, v0
	v_mov_b32_e32 v0, s3
	v_add_co_u32_e32 v4, vcc, s2, v4
	v_addc_co_u32_e32 v5, vcc, v0, v5, vcc
	v_mov_b32_e32 v0, v6
	global_store_dword v[4:5], v3, off
	s_or_b64 exec, exec, s[0:1]
	v_cmp_gt_i32_e32 vcc, s5, v0
	s_and_saveexec_b64 s[0:1], vcc
	s_cbranch_execz .LBB52_3
.LBB52_7:
	v_add_u32_e32 v3, s4, v0
	v_mov_b32_e32 v4, 0
	v_lshlrev_b64 v[3:4], 2, v[3:4]
	v_add_u32_e32 v5, 0x100, v0
	v_mov_b32_e32 v0, s3
	v_add_co_u32_e32 v3, vcc, s2, v3
	v_addc_co_u32_e32 v4, vcc, v0, v4, vcc
	v_mov_b32_e32 v0, v5
	global_store_dword v[3:4], v2, off
	s_or_b64 exec, exec, s[0:1]
	v_cmp_gt_i32_e32 vcc, s5, v0
	s_and_saveexec_b64 s[0:1], vcc
	s_cbranch_execz .LBB52_4
.LBB52_8:
	v_add_u32_e32 v2, s4, v0
	v_mov_b32_e32 v3, 0
	v_lshlrev_b64 v[2:3], 2, v[2:3]
	v_mov_b32_e32 v0, s3
	v_add_co_u32_e32 v2, vcc, s2, v2
	v_addc_co_u32_e32 v3, vcc, v0, v3, vcc
	global_store_dword v[2:3], v1, off
	s_endpgm
	.section	.rodata,"a",@progbits
	.p2align	6, 0x0
	.amdhsa_kernel _ZN2at6native27unrolled_elementwise_kernelINS0_11FillFunctorIfEESt5arrayIPcLm1EELi4E23TrivialOffsetCalculatorILi0EjES7_ILi1EjENS0_6memory15LoadWithoutCastENSA_16StoreWithoutCastEEEviT_T0_T2_T3_T4_T5_
		.amdhsa_group_segment_fixed_size 0
		.amdhsa_private_segment_fixed_size 0
		.amdhsa_kernarg_size 20
		.amdhsa_user_sgpr_count 6
		.amdhsa_user_sgpr_private_segment_buffer 1
		.amdhsa_user_sgpr_dispatch_ptr 0
		.amdhsa_user_sgpr_queue_ptr 0
		.amdhsa_user_sgpr_kernarg_segment_ptr 1
		.amdhsa_user_sgpr_dispatch_id 0
		.amdhsa_user_sgpr_flat_scratch_init 0
		.amdhsa_user_sgpr_private_segment_size 0
		.amdhsa_uses_dynamic_stack 0
		.amdhsa_system_sgpr_private_segment_wavefront_offset 0
		.amdhsa_system_sgpr_workgroup_id_x 1
		.amdhsa_system_sgpr_workgroup_id_y 0
		.amdhsa_system_sgpr_workgroup_id_z 0
		.amdhsa_system_sgpr_workgroup_info 0
		.amdhsa_system_vgpr_workitem_id 0
		.amdhsa_next_free_vgpr 8
		.amdhsa_next_free_sgpr 7
		.amdhsa_reserve_vcc 1
		.amdhsa_reserve_flat_scratch 0
		.amdhsa_float_round_mode_32 0
		.amdhsa_float_round_mode_16_64 0
		.amdhsa_float_denorm_mode_32 3
		.amdhsa_float_denorm_mode_16_64 3
		.amdhsa_dx10_clamp 1
		.amdhsa_ieee_mode 1
		.amdhsa_fp16_overflow 0
		.amdhsa_exception_fp_ieee_invalid_op 0
		.amdhsa_exception_fp_denorm_src 0
		.amdhsa_exception_fp_ieee_div_zero 0
		.amdhsa_exception_fp_ieee_overflow 0
		.amdhsa_exception_fp_ieee_underflow 0
		.amdhsa_exception_fp_ieee_inexact 0
		.amdhsa_exception_int_div_zero 0
	.end_amdhsa_kernel
	.section	.text._ZN2at6native27unrolled_elementwise_kernelINS0_11FillFunctorIfEESt5arrayIPcLm1EELi4E23TrivialOffsetCalculatorILi0EjES7_ILi1EjENS0_6memory15LoadWithoutCastENSA_16StoreWithoutCastEEEviT_T0_T2_T3_T4_T5_,"axG",@progbits,_ZN2at6native27unrolled_elementwise_kernelINS0_11FillFunctorIfEESt5arrayIPcLm1EELi4E23TrivialOffsetCalculatorILi0EjES7_ILi1EjENS0_6memory15LoadWithoutCastENSA_16StoreWithoutCastEEEviT_T0_T2_T3_T4_T5_,comdat
.Lfunc_end52:
	.size	_ZN2at6native27unrolled_elementwise_kernelINS0_11FillFunctorIfEESt5arrayIPcLm1EELi4E23TrivialOffsetCalculatorILi0EjES7_ILi1EjENS0_6memory15LoadWithoutCastENSA_16StoreWithoutCastEEEviT_T0_T2_T3_T4_T5_, .Lfunc_end52-_ZN2at6native27unrolled_elementwise_kernelINS0_11FillFunctorIfEESt5arrayIPcLm1EELi4E23TrivialOffsetCalculatorILi0EjES7_ILi1EjENS0_6memory15LoadWithoutCastENSA_16StoreWithoutCastEEEviT_T0_T2_T3_T4_T5_
                                        ; -- End function
	.set _ZN2at6native27unrolled_elementwise_kernelINS0_11FillFunctorIfEESt5arrayIPcLm1EELi4E23TrivialOffsetCalculatorILi0EjES7_ILi1EjENS0_6memory15LoadWithoutCastENSA_16StoreWithoutCastEEEviT_T0_T2_T3_T4_T5_.num_vgpr, 8
	.set _ZN2at6native27unrolled_elementwise_kernelINS0_11FillFunctorIfEESt5arrayIPcLm1EELi4E23TrivialOffsetCalculatorILi0EjES7_ILi1EjENS0_6memory15LoadWithoutCastENSA_16StoreWithoutCastEEEviT_T0_T2_T3_T4_T5_.num_agpr, 0
	.set _ZN2at6native27unrolled_elementwise_kernelINS0_11FillFunctorIfEESt5arrayIPcLm1EELi4E23TrivialOffsetCalculatorILi0EjES7_ILi1EjENS0_6memory15LoadWithoutCastENSA_16StoreWithoutCastEEEviT_T0_T2_T3_T4_T5_.numbered_sgpr, 7
	.set _ZN2at6native27unrolled_elementwise_kernelINS0_11FillFunctorIfEESt5arrayIPcLm1EELi4E23TrivialOffsetCalculatorILi0EjES7_ILi1EjENS0_6memory15LoadWithoutCastENSA_16StoreWithoutCastEEEviT_T0_T2_T3_T4_T5_.num_named_barrier, 0
	.set _ZN2at6native27unrolled_elementwise_kernelINS0_11FillFunctorIfEESt5arrayIPcLm1EELi4E23TrivialOffsetCalculatorILi0EjES7_ILi1EjENS0_6memory15LoadWithoutCastENSA_16StoreWithoutCastEEEviT_T0_T2_T3_T4_T5_.private_seg_size, 0
	.set _ZN2at6native27unrolled_elementwise_kernelINS0_11FillFunctorIfEESt5arrayIPcLm1EELi4E23TrivialOffsetCalculatorILi0EjES7_ILi1EjENS0_6memory15LoadWithoutCastENSA_16StoreWithoutCastEEEviT_T0_T2_T3_T4_T5_.uses_vcc, 1
	.set _ZN2at6native27unrolled_elementwise_kernelINS0_11FillFunctorIfEESt5arrayIPcLm1EELi4E23TrivialOffsetCalculatorILi0EjES7_ILi1EjENS0_6memory15LoadWithoutCastENSA_16StoreWithoutCastEEEviT_T0_T2_T3_T4_T5_.uses_flat_scratch, 0
	.set _ZN2at6native27unrolled_elementwise_kernelINS0_11FillFunctorIfEESt5arrayIPcLm1EELi4E23TrivialOffsetCalculatorILi0EjES7_ILi1EjENS0_6memory15LoadWithoutCastENSA_16StoreWithoutCastEEEviT_T0_T2_T3_T4_T5_.has_dyn_sized_stack, 0
	.set _ZN2at6native27unrolled_elementwise_kernelINS0_11FillFunctorIfEESt5arrayIPcLm1EELi4E23TrivialOffsetCalculatorILi0EjES7_ILi1EjENS0_6memory15LoadWithoutCastENSA_16StoreWithoutCastEEEviT_T0_T2_T3_T4_T5_.has_recursion, 0
	.set _ZN2at6native27unrolled_elementwise_kernelINS0_11FillFunctorIfEESt5arrayIPcLm1EELi4E23TrivialOffsetCalculatorILi0EjES7_ILi1EjENS0_6memory15LoadWithoutCastENSA_16StoreWithoutCastEEEviT_T0_T2_T3_T4_T5_.has_indirect_call, 0
	.section	.AMDGPU.csdata,"",@progbits
; Kernel info:
; codeLenInByte = 388
; TotalNumSgprs: 11
; NumVgprs: 8
; ScratchSize: 0
; MemoryBound: 0
; FloatMode: 240
; IeeeMode: 1
; LDSByteSize: 0 bytes/workgroup (compile time only)
; SGPRBlocks: 1
; VGPRBlocks: 1
; NumSGPRsForWavesPerEU: 11
; NumVGPRsForWavesPerEU: 8
; Occupancy: 10
; WaveLimiterHint : 0
; COMPUTE_PGM_RSRC2:SCRATCH_EN: 0
; COMPUTE_PGM_RSRC2:USER_SGPR: 6
; COMPUTE_PGM_RSRC2:TRAP_HANDLER: 0
; COMPUTE_PGM_RSRC2:TGID_X_EN: 1
; COMPUTE_PGM_RSRC2:TGID_Y_EN: 0
; COMPUTE_PGM_RSRC2:TGID_Z_EN: 0
; COMPUTE_PGM_RSRC2:TIDIG_COMP_CNT: 0
	.section	.text._ZN2at6native32elementwise_kernel_manual_unrollILi128ELi4EZNS0_22gpu_kernel_impl_nocastINS0_11FillFunctorIfEEEEvRNS_18TensorIteratorBaseERKT_EUlibE_EEviT1_,"axG",@progbits,_ZN2at6native32elementwise_kernel_manual_unrollILi128ELi4EZNS0_22gpu_kernel_impl_nocastINS0_11FillFunctorIfEEEEvRNS_18TensorIteratorBaseERKT_EUlibE_EEviT1_,comdat
	.protected	_ZN2at6native32elementwise_kernel_manual_unrollILi128ELi4EZNS0_22gpu_kernel_impl_nocastINS0_11FillFunctorIfEEEEvRNS_18TensorIteratorBaseERKT_EUlibE_EEviT1_ ; -- Begin function _ZN2at6native32elementwise_kernel_manual_unrollILi128ELi4EZNS0_22gpu_kernel_impl_nocastINS0_11FillFunctorIfEEEEvRNS_18TensorIteratorBaseERKT_EUlibE_EEviT1_
	.globl	_ZN2at6native32elementwise_kernel_manual_unrollILi128ELi4EZNS0_22gpu_kernel_impl_nocastINS0_11FillFunctorIfEEEEvRNS_18TensorIteratorBaseERKT_EUlibE_EEviT1_
	.p2align	8
	.type	_ZN2at6native32elementwise_kernel_manual_unrollILi128ELi4EZNS0_22gpu_kernel_impl_nocastINS0_11FillFunctorIfEEEEvRNS_18TensorIteratorBaseERKT_EUlibE_EEviT1_,@function
_ZN2at6native32elementwise_kernel_manual_unrollILi128ELi4EZNS0_22gpu_kernel_impl_nocastINS0_11FillFunctorIfEEEEvRNS_18TensorIteratorBaseERKT_EUlibE_EEviT1_: ; @_ZN2at6native32elementwise_kernel_manual_unrollILi128ELi4EZNS0_22gpu_kernel_impl_nocastINS0_11FillFunctorIfEEEEvRNS_18TensorIteratorBaseERKT_EUlibE_EEviT1_
; %bb.0:
	s_load_dword s48, s[4:5], 0x0
	s_load_dword s33, s[4:5], 0x8
	s_add_u32 s20, s4, 8
	s_addc_u32 s21, s5, 0
	v_lshl_or_b32 v3, s6, 9, v0
	v_or_b32_e32 v5, 0x180, v3
	s_waitcnt lgkmcnt(0)
	s_add_i32 s46, s33, -1
	s_cmp_gt_u32 s46, 1
	v_cmp_le_i32_e32 vcc, s48, v5
	s_cselect_b64 s[22:23], -1, 0
	s_and_saveexec_b64 s[0:1], vcc
	s_xor_b64 s[24:25], exec, s[0:1]
	s_cbranch_execz .LBB53_7
; %bb.1:
	s_load_dwordx4 s[8:11], s[20:21], 0x4
	s_load_dwordx2 s[30:31], s[20:21], 0x14
	s_load_dwordx2 s[28:29], s[20:21], 0xc4
	;; [unrolled: 1-line block ×3, first 2 shown]
	s_load_dword s47, s[20:21], 0x110
	s_cmp_lg_u32 s33, 0
	s_cselect_b64 s[38:39], -1, 0
	s_add_u32 s36, s20, 0xc4
	s_addc_u32 s37, s21, 0
	s_min_u32 s49, s46, 15
	s_cmp_gt_u32 s33, 1
	s_cselect_b64 s[34:35], -1, 0
	v_cmp_gt_i32_e32 vcc, s48, v3
	s_and_saveexec_b64 s[40:41], vcc
	s_cbranch_execz .LBB53_14
; %bb.2:
	s_andn2_b64 vcc, exec, s[22:23]
	s_cbranch_vccnz .LBB53_21
; %bb.3:
	s_andn2_b64 vcc, exec, s[38:39]
	s_cbranch_vccnz .LBB53_73
; %bb.4:
	s_add_i32 s51, s49, 1
	s_cmp_eq_u32 s46, 2
	s_cbranch_scc1 .LBB53_75
; %bb.5:
	s_and_b32 s50, s51, 28
	s_mov_b32 s52, 0
	v_mov_b32_e32 v0, 0
	s_mov_b64 s[42:43], s[20:21]
	s_mov_b64 s[44:45], s[36:37]
	v_mov_b32_e32 v1, v3
.LBB53_6:                               ; =>This Inner Loop Header: Depth=1
	s_load_dwordx8 s[0:7], s[42:43], 0x4
	s_load_dwordx4 s[12:15], s[42:43], 0x24
	s_load_dwordx4 s[16:19], s[44:45], 0x0
	s_add_u32 s42, s42, 48
	s_addc_u32 s43, s43, 0
	s_waitcnt lgkmcnt(0)
	v_mul_hi_u32 v2, s1, v1
	s_add_i32 s52, s52, 4
	s_add_u32 s44, s44, 16
	s_addc_u32 s45, s45, 0
	v_add_u32_e32 v2, v1, v2
	v_lshrrev_b32_e32 v2, s2, v2
	v_mul_lo_u32 v4, v2, s0
	v_mul_hi_u32 v5, s4, v2
	s_cmp_lg_u32 s50, s52
	v_sub_u32_e32 v1, v1, v4
	v_add_u32_e32 v4, v2, v5
	v_lshrrev_b32_e32 v4, s5, v4
	v_mul_lo_u32 v5, v1, s16
	v_mul_hi_u32 v1, s7, v4
	v_mul_lo_u32 v7, v4, s3
	v_add_u32_e32 v1, v4, v1
	v_lshrrev_b32_e32 v6, s12, v1
	v_mul_hi_u32 v1, s14, v6
	v_sub_u32_e32 v2, v2, v7
	v_mul_lo_u32 v7, v6, s6
	v_mul_lo_u32 v2, v2, s17
	v_add_u32_e32 v1, v6, v1
	v_lshrrev_b32_e32 v1, s15, v1
	v_mul_lo_u32 v8, v1, s13
	v_sub_u32_e32 v4, v4, v7
	v_mul_lo_u32 v4, v4, s18
	v_add3_u32 v0, v5, v0, v2
	v_sub_u32_e32 v6, v6, v8
	v_mul_lo_u32 v6, v6, s19
	v_add3_u32 v0, v4, v0, v6
	s_cbranch_scc1 .LBB53_6
	s_branch .LBB53_76
.LBB53_7:
	s_andn2_saveexec_b64 s[0:1], s[24:25]
	s_cbranch_execz .LBB53_101
.LBB53_8:
	v_cndmask_b32_e64 v0, 0, 1, s[22:23]
	v_cmp_ne_u32_e64 s[0:1], 1, v0
	s_andn2_b64 vcc, exec, s[22:23]
	s_cbranch_vccnz .LBB53_20
; %bb.9:
	s_cmp_lg_u32 s33, 0
	s_mov_b32 s24, 0
	s_cbranch_scc0 .LBB53_23
; %bb.10:
	s_min_u32 s25, s46, 15
	s_add_i32 s25, s25, 1
	s_cmp_eq_u32 s46, 2
	s_cbranch_scc1 .LBB53_24
; %bb.11:
	s_and_b32 s24, s25, 28
	s_add_u32 s2, s20, 0xc4
	s_addc_u32 s3, s21, 0
	s_waitcnt lgkmcnt(0)
	s_mov_b32 s26, 0
	v_mov_b32_e32 v0, 0
	s_mov_b64 s[22:23], s[20:21]
	v_mov_b32_e32 v1, v3
.LBB53_12:                              ; =>This Inner Loop Header: Depth=1
	s_load_dwordx8 s[4:11], s[22:23], 0x4
	s_load_dwordx4 s[12:15], s[22:23], 0x24
	s_load_dwordx4 s[16:19], s[2:3], 0x0
	s_add_u32 s22, s22, 48
	s_addc_u32 s23, s23, 0
	s_waitcnt lgkmcnt(0)
	v_mul_hi_u32 v2, s5, v1
	s_add_i32 s26, s26, 4
	s_add_u32 s2, s2, 16
	s_addc_u32 s3, s3, 0
	v_add_u32_e32 v2, v1, v2
	v_lshrrev_b32_e32 v2, s6, v2
	v_mul_lo_u32 v4, v2, s4
	v_mul_hi_u32 v6, s8, v2
	s_cmp_lg_u32 s24, s26
	v_sub_u32_e32 v1, v1, v4
	v_add_u32_e32 v4, v2, v6
	v_lshrrev_b32_e32 v4, s9, v4
	v_mul_lo_u32 v6, v1, s16
	v_mul_hi_u32 v1, s11, v4
	v_mul_lo_u32 v8, v4, s7
	v_add_u32_e32 v1, v4, v1
	v_lshrrev_b32_e32 v7, s12, v1
	v_mul_hi_u32 v1, s14, v7
	v_sub_u32_e32 v2, v2, v8
	v_mul_lo_u32 v8, v7, s10
	v_mul_lo_u32 v2, v2, s17
	v_add_u32_e32 v1, v7, v1
	v_lshrrev_b32_e32 v1, s15, v1
	v_mul_lo_u32 v9, v1, s13
	v_sub_u32_e32 v4, v4, v8
	v_mul_lo_u32 v4, v4, s18
	v_add3_u32 v0, v6, v0, v2
	v_sub_u32_e32 v7, v7, v9
	v_mul_lo_u32 v7, v7, s19
	v_add3_u32 v0, v4, v0, v7
	s_cbranch_scc1 .LBB53_12
; %bb.13:
	s_and_b32 s6, s25, 3
	s_cmp_eq_u32 s6, 0
	s_cbranch_scc0 .LBB53_25
	s_branch .LBB53_27
.LBB53_14:
	s_or_b64 exec, exec, s[40:41]
	v_cmp_gt_i32_e32 vcc, s48, v3
	s_and_saveexec_b64 s[40:41], vcc
	s_cbranch_execz .LBB53_83
.LBB53_15:
	s_andn2_b64 vcc, exec, s[22:23]
	s_cbranch_vccnz .LBB53_22
; %bb.16:
	s_andn2_b64 vcc, exec, s[38:39]
	s_cbranch_vccnz .LBB53_74
; %bb.17:
	s_add_i32 s51, s49, 1
	s_cmp_eq_u32 s46, 2
	s_cbranch_scc1 .LBB53_91
; %bb.18:
	s_and_b32 s50, s51, 28
	s_mov_b32 s52, 0
	v_mov_b32_e32 v0, 0
	s_mov_b64 s[42:43], s[20:21]
	s_mov_b64 s[44:45], s[36:37]
	v_mov_b32_e32 v1, v3
.LBB53_19:                              ; =>This Inner Loop Header: Depth=1
	s_load_dwordx8 s[0:7], s[42:43], 0x4
	s_load_dwordx4 s[12:15], s[42:43], 0x24
	s_load_dwordx4 s[16:19], s[44:45], 0x0
	s_add_u32 s42, s42, 48
	s_addc_u32 s43, s43, 0
	s_waitcnt lgkmcnt(0)
	v_mul_hi_u32 v2, s1, v1
	s_add_i32 s52, s52, 4
	s_add_u32 s44, s44, 16
	s_addc_u32 s45, s45, 0
	v_add_u32_e32 v2, v1, v2
	v_lshrrev_b32_e32 v2, s2, v2
	v_mul_lo_u32 v4, v2, s0
	v_mul_hi_u32 v5, s4, v2
	s_cmp_eq_u32 s50, s52
	v_sub_u32_e32 v1, v1, v4
	v_add_u32_e32 v4, v2, v5
	v_lshrrev_b32_e32 v4, s5, v4
	v_mul_lo_u32 v5, v1, s16
	v_mul_hi_u32 v1, s7, v4
	v_mul_lo_u32 v7, v4, s3
	v_add_u32_e32 v1, v4, v1
	v_lshrrev_b32_e32 v6, s12, v1
	v_mul_hi_u32 v1, s14, v6
	v_sub_u32_e32 v2, v2, v7
	v_mul_lo_u32 v7, v6, s6
	v_mul_lo_u32 v2, v2, s17
	v_add_u32_e32 v1, v6, v1
	v_lshrrev_b32_e32 v1, s15, v1
	v_mul_lo_u32 v8, v1, s13
	v_sub_u32_e32 v4, v4, v7
	v_mul_lo_u32 v4, v4, s18
	v_add3_u32 v0, v5, v0, v2
	v_sub_u32_e32 v6, v6, v8
	v_mul_lo_u32 v6, v6, s19
	v_add3_u32 v0, v4, v0, v6
	s_cbranch_scc0 .LBB53_19
	s_branch .LBB53_92
.LBB53_20:
                                        ; implicit-def: $vgpr0
	s_branch .LBB53_28
.LBB53_21:
                                        ; implicit-def: $vgpr0
	s_branch .LBB53_80
.LBB53_22:
                                        ; implicit-def: $vgpr0
	s_branch .LBB53_96
.LBB53_23:
	v_mov_b32_e32 v0, 0
	s_branch .LBB53_27
.LBB53_24:
	v_mov_b32_e32 v0, 0
	v_mov_b32_e32 v1, v3
	s_and_b32 s6, s25, 3
	s_cmp_eq_u32 s6, 0
	s_cbranch_scc1 .LBB53_27
.LBB53_25:
	s_lshl_b32 s2, s24, 2
	s_add_u32 s2, s20, s2
	s_addc_u32 s3, s21, 0
	s_add_u32 s2, s2, 0xc4
	s_addc_u32 s3, s3, 0
	s_mul_i32 s4, s24, 12
	s_add_u32 s4, s20, s4
	s_addc_u32 s5, s21, 0
.LBB53_26:                              ; =>This Inner Loop Header: Depth=1
	s_waitcnt lgkmcnt(0)
	s_load_dwordx2 s[8:9], s[4:5], 0x4
	s_load_dword s7, s[4:5], 0xc
	s_add_u32 s4, s4, 12
	s_addc_u32 s5, s5, 0
	s_waitcnt lgkmcnt(0)
	v_mul_hi_u32 v2, s9, v1
	s_load_dword s9, s[2:3], 0x0
	s_add_u32 s2, s2, 4
	s_addc_u32 s3, s3, 0
	v_add_u32_e32 v2, v1, v2
	v_lshrrev_b32_e32 v2, s7, v2
	v_mul_lo_u32 v4, v2, s8
	s_add_i32 s6, s6, -1
	s_cmp_lg_u32 s6, 0
	v_sub_u32_e32 v1, v1, v4
	s_waitcnt lgkmcnt(0)
	v_mad_u64_u32 v[0:1], s[8:9], v1, s9, v[0:1]
	v_mov_b32_e32 v1, v2
	s_cbranch_scc1 .LBB53_26
.LBB53_27:
	s_cbranch_execnz .LBB53_30
.LBB53_28:
	s_load_dwordx4 s[4:7], s[20:21], 0x4
	s_load_dword s2, s[20:21], 0xc4
	s_cmp_lt_u32 s33, 2
	s_waitcnt lgkmcnt(0)
	v_mul_hi_u32 v0, s5, v3
	v_add_u32_e32 v0, v3, v0
	v_lshrrev_b32_e32 v1, s6, v0
	v_mul_lo_u32 v0, v1, s4
	v_sub_u32_e32 v0, v3, v0
	v_mul_lo_u32 v0, v0, s2
	s_cbranch_scc1 .LBB53_30
; %bb.29:
	s_load_dwordx4 s[4:7], s[20:21], 0x10
	s_load_dword s2, s[20:21], 0xc8
	s_waitcnt lgkmcnt(0)
	v_mul_hi_u32 v2, s5, v1
	v_add_u32_e32 v2, v1, v2
	v_lshrrev_b32_e32 v2, s6, v2
	v_mul_lo_u32 v2, v2, s4
	v_sub_u32_e32 v1, v1, v2
	v_mad_u64_u32 v[0:1], s[2:3], v1, s2, v[0:1]
.LBB53_30:
	s_and_b64 vcc, exec, s[0:1]
	v_add_u32_e32 v4, 0x80, v3
	s_cbranch_vccnz .LBB53_36
; %bb.31:
	s_cmp_lg_u32 s33, 0
	s_mov_b32 s24, 0
	s_cbranch_scc0 .LBB53_37
; %bb.32:
	s_min_u32 s25, s46, 15
	s_add_i32 s25, s25, 1
	s_cmp_eq_u32 s46, 2
	s_cbranch_scc1 .LBB53_38
; %bb.33:
	s_and_b32 s24, s25, 28
	s_add_u32 s2, s20, 0xc4
	s_addc_u32 s3, s21, 0
	s_waitcnt lgkmcnt(0)
	s_mov_b32 s26, 0
	v_mov_b32_e32 v1, 0
	s_mov_b64 s[22:23], s[20:21]
	v_mov_b32_e32 v2, v4
.LBB53_34:                              ; =>This Inner Loop Header: Depth=1
	s_load_dwordx8 s[4:11], s[22:23], 0x4
	s_load_dwordx4 s[12:15], s[22:23], 0x24
	s_load_dwordx4 s[16:19], s[2:3], 0x0
	s_add_u32 s22, s22, 48
	s_addc_u32 s23, s23, 0
	s_waitcnt lgkmcnt(0)
	v_mul_hi_u32 v6, s5, v2
	s_add_i32 s26, s26, 4
	s_add_u32 s2, s2, 16
	s_addc_u32 s3, s3, 0
	v_add_u32_e32 v6, v2, v6
	v_lshrrev_b32_e32 v6, s6, v6
	v_mul_lo_u32 v7, v6, s4
	v_mul_hi_u32 v8, s8, v6
	s_cmp_lg_u32 s24, s26
	v_sub_u32_e32 v2, v2, v7
	v_add_u32_e32 v7, v6, v8
	v_lshrrev_b32_e32 v7, s9, v7
	v_mul_lo_u32 v8, v2, s16
	v_mul_hi_u32 v2, s11, v7
	v_mul_lo_u32 v10, v7, s7
	v_add_u32_e32 v2, v7, v2
	v_lshrrev_b32_e32 v9, s12, v2
	v_mul_hi_u32 v2, s14, v9
	v_sub_u32_e32 v6, v6, v10
	v_mul_lo_u32 v10, v9, s10
	v_mul_lo_u32 v6, v6, s17
	v_add_u32_e32 v2, v9, v2
	v_lshrrev_b32_e32 v2, s15, v2
	v_mul_lo_u32 v11, v2, s13
	v_sub_u32_e32 v7, v7, v10
	v_mul_lo_u32 v7, v7, s18
	v_add3_u32 v1, v8, v1, v6
	v_sub_u32_e32 v9, v9, v11
	v_mul_lo_u32 v9, v9, s19
	v_add3_u32 v1, v7, v1, v9
	s_cbranch_scc1 .LBB53_34
; %bb.35:
	s_and_b32 s6, s25, 3
	s_cmp_eq_u32 s6, 0
	s_cbranch_scc0 .LBB53_39
	s_branch .LBB53_41
.LBB53_36:
                                        ; implicit-def: $vgpr1
	s_branch .LBB53_42
.LBB53_37:
	v_mov_b32_e32 v1, 0
	s_branch .LBB53_41
.LBB53_38:
	v_mov_b32_e32 v1, 0
	v_mov_b32_e32 v2, v4
	s_and_b32 s6, s25, 3
	s_cmp_eq_u32 s6, 0
	s_cbranch_scc1 .LBB53_41
.LBB53_39:
	s_lshl_b32 s2, s24, 2
	s_add_u32 s2, s20, s2
	s_addc_u32 s3, s21, 0
	s_add_u32 s2, s2, 0xc4
	s_addc_u32 s3, s3, 0
	s_mul_i32 s4, s24, 12
	s_add_u32 s4, s20, s4
	s_addc_u32 s5, s21, 0
.LBB53_40:                              ; =>This Inner Loop Header: Depth=1
	s_waitcnt lgkmcnt(0)
	s_load_dwordx2 s[8:9], s[4:5], 0x4
	s_load_dword s7, s[4:5], 0xc
	s_add_u32 s4, s4, 12
	s_addc_u32 s5, s5, 0
	s_waitcnt lgkmcnt(0)
	v_mul_hi_u32 v6, s9, v2
	s_load_dword s9, s[2:3], 0x0
	s_add_u32 s2, s2, 4
	s_addc_u32 s3, s3, 0
	v_add_u32_e32 v6, v2, v6
	v_lshrrev_b32_e32 v6, s7, v6
	v_mul_lo_u32 v7, v6, s8
	s_add_i32 s6, s6, -1
	s_cmp_lg_u32 s6, 0
	v_sub_u32_e32 v2, v2, v7
	s_waitcnt lgkmcnt(0)
	v_mad_u64_u32 v[1:2], s[8:9], v2, s9, v[1:2]
	v_mov_b32_e32 v2, v6
	s_cbranch_scc1 .LBB53_40
.LBB53_41:
	s_cbranch_execnz .LBB53_44
.LBB53_42:
	s_load_dwordx4 s[4:7], s[20:21], 0x4
	s_load_dword s2, s[20:21], 0xc4
	s_cmp_lt_u32 s33, 2
	s_waitcnt lgkmcnt(0)
	v_mul_hi_u32 v1, s5, v4
	v_add_u32_e32 v1, v4, v1
	v_lshrrev_b32_e32 v2, s6, v1
	v_mul_lo_u32 v1, v2, s4
	v_sub_u32_e32 v1, v4, v1
	v_mul_lo_u32 v1, v1, s2
	s_cbranch_scc1 .LBB53_44
; %bb.43:
	s_load_dwordx4 s[4:7], s[20:21], 0x10
	s_load_dword s2, s[20:21], 0xc8
	s_waitcnt lgkmcnt(0)
	v_mul_hi_u32 v4, s5, v2
	v_add_u32_e32 v4, v2, v4
	v_lshrrev_b32_e32 v4, s6, v4
	v_mul_lo_u32 v4, v4, s4
	v_sub_u32_e32 v2, v2, v4
	v_mad_u64_u32 v[1:2], s[2:3], v2, s2, v[1:2]
.LBB53_44:
	s_and_b64 vcc, exec, s[0:1]
	v_add_u32_e32 v4, 0x100, v3
	s_cbranch_vccnz .LBB53_50
; %bb.45:
	s_cmp_lg_u32 s33, 0
	s_mov_b32 s24, 0
	s_cbranch_scc0 .LBB53_51
; %bb.46:
	s_min_u32 s25, s46, 15
	s_add_i32 s25, s25, 1
	s_cmp_eq_u32 s46, 2
	s_cbranch_scc1 .LBB53_52
; %bb.47:
	s_and_b32 s24, s25, 28
	s_add_u32 s2, s20, 0xc4
	s_addc_u32 s3, s21, 0
	s_waitcnt lgkmcnt(0)
	s_mov_b32 s26, 0
	v_mov_b32_e32 v2, 0
	s_mov_b64 s[22:23], s[20:21]
	v_mov_b32_e32 v3, v4
.LBB53_48:                              ; =>This Inner Loop Header: Depth=1
	s_load_dwordx8 s[4:11], s[22:23], 0x4
	s_load_dwordx4 s[12:15], s[22:23], 0x24
	s_load_dwordx4 s[16:19], s[2:3], 0x0
	s_add_u32 s22, s22, 48
	s_addc_u32 s23, s23, 0
	s_waitcnt lgkmcnt(0)
	v_mul_hi_u32 v6, s5, v3
	s_add_i32 s26, s26, 4
	s_add_u32 s2, s2, 16
	s_addc_u32 s3, s3, 0
	v_add_u32_e32 v6, v3, v6
	v_lshrrev_b32_e32 v6, s6, v6
	v_mul_lo_u32 v7, v6, s4
	v_mul_hi_u32 v8, s8, v6
	s_cmp_lg_u32 s24, s26
	v_sub_u32_e32 v3, v3, v7
	v_add_u32_e32 v7, v6, v8
	v_lshrrev_b32_e32 v7, s9, v7
	v_mul_lo_u32 v8, v3, s16
	v_mul_hi_u32 v3, s11, v7
	v_mul_lo_u32 v10, v7, s7
	v_add_u32_e32 v3, v7, v3
	v_lshrrev_b32_e32 v9, s12, v3
	v_mul_hi_u32 v3, s14, v9
	v_sub_u32_e32 v6, v6, v10
	v_mul_lo_u32 v10, v9, s10
	v_mul_lo_u32 v6, v6, s17
	v_add_u32_e32 v3, v9, v3
	v_lshrrev_b32_e32 v3, s15, v3
	v_mul_lo_u32 v11, v3, s13
	v_sub_u32_e32 v7, v7, v10
	v_mul_lo_u32 v7, v7, s18
	v_add3_u32 v2, v8, v2, v6
	v_sub_u32_e32 v9, v9, v11
	v_mul_lo_u32 v9, v9, s19
	v_add3_u32 v2, v7, v2, v9
	s_cbranch_scc1 .LBB53_48
; %bb.49:
	s_and_b32 s6, s25, 3
	s_cmp_eq_u32 s6, 0
	s_cbranch_scc0 .LBB53_53
	s_branch .LBB53_55
.LBB53_50:
                                        ; implicit-def: $vgpr2
	s_branch .LBB53_56
.LBB53_51:
	v_mov_b32_e32 v2, 0
	s_branch .LBB53_55
.LBB53_52:
	v_mov_b32_e32 v2, 0
	v_mov_b32_e32 v3, v4
	s_and_b32 s6, s25, 3
	s_cmp_eq_u32 s6, 0
	s_cbranch_scc1 .LBB53_55
.LBB53_53:
	s_lshl_b32 s2, s24, 2
	s_add_u32 s2, s20, s2
	s_addc_u32 s3, s21, 0
	s_add_u32 s2, s2, 0xc4
	s_addc_u32 s3, s3, 0
	s_mul_i32 s4, s24, 12
	s_add_u32 s4, s20, s4
	s_addc_u32 s5, s21, 0
.LBB53_54:                              ; =>This Inner Loop Header: Depth=1
	s_waitcnt lgkmcnt(0)
	s_load_dwordx2 s[8:9], s[4:5], 0x4
	s_load_dword s7, s[4:5], 0xc
	s_add_u32 s4, s4, 12
	s_addc_u32 s5, s5, 0
	s_waitcnt lgkmcnt(0)
	v_mul_hi_u32 v6, s9, v3
	s_load_dword s9, s[2:3], 0x0
	s_add_u32 s2, s2, 4
	s_addc_u32 s3, s3, 0
	v_add_u32_e32 v6, v3, v6
	v_lshrrev_b32_e32 v6, s7, v6
	v_mul_lo_u32 v7, v6, s8
	s_add_i32 s6, s6, -1
	s_cmp_lg_u32 s6, 0
	v_sub_u32_e32 v3, v3, v7
	s_waitcnt lgkmcnt(0)
	v_mad_u64_u32 v[2:3], s[8:9], v3, s9, v[2:3]
	v_mov_b32_e32 v3, v6
	s_cbranch_scc1 .LBB53_54
.LBB53_55:
	s_cbranch_execnz .LBB53_58
.LBB53_56:
	s_load_dwordx4 s[4:7], s[20:21], 0x4
	s_load_dword s2, s[20:21], 0xc4
	s_cmp_lt_u32 s33, 2
	s_waitcnt lgkmcnt(0)
	v_mul_hi_u32 v2, s5, v4
	v_add_u32_e32 v2, v4, v2
	v_lshrrev_b32_e32 v3, s6, v2
	v_mul_lo_u32 v2, v3, s4
	v_sub_u32_e32 v2, v4, v2
	v_mul_lo_u32 v2, v2, s2
	s_cbranch_scc1 .LBB53_58
; %bb.57:
	s_load_dwordx4 s[4:7], s[20:21], 0x10
	s_load_dword s2, s[20:21], 0xc8
	s_waitcnt lgkmcnt(0)
	v_mul_hi_u32 v4, s5, v3
	v_add_u32_e32 v4, v3, v4
	v_lshrrev_b32_e32 v4, s6, v4
	v_mul_lo_u32 v4, v4, s4
	v_sub_u32_e32 v3, v3, v4
	v_mad_u64_u32 v[2:3], s[2:3], v3, s2, v[2:3]
.LBB53_58:
	s_and_b64 vcc, exec, s[0:1]
	s_cbranch_vccnz .LBB53_64
; %bb.59:
	s_cmp_lg_u32 s33, 0
	s_mov_b32 s22, 0
	s_cbranch_scc0 .LBB53_65
; %bb.60:
	s_min_u32 s23, s46, 15
	s_add_i32 s23, s23, 1
	s_cmp_eq_u32 s46, 2
	s_cbranch_scc1 .LBB53_66
; %bb.61:
	s_and_b32 s22, s23, 28
	s_add_u32 s16, s20, 0xc4
	s_addc_u32 s17, s21, 0
	s_mov_b32 s24, 0
	v_mov_b32_e32 v3, 0
	s_mov_b64 s[18:19], s[20:21]
	v_mov_b32_e32 v4, v5
.LBB53_62:                              ; =>This Inner Loop Header: Depth=1
	s_load_dwordx8 s[0:7], s[18:19], 0x4
	s_waitcnt lgkmcnt(0)
	s_load_dwordx4 s[8:11], s[18:19], 0x24
	s_load_dwordx4 s[12:15], s[16:17], 0x0
	s_add_u32 s18, s18, 48
	s_addc_u32 s19, s19, 0
	v_mul_hi_u32 v6, s1, v4
	s_add_i32 s24, s24, 4
	s_add_u32 s16, s16, 16
	s_addc_u32 s17, s17, 0
	v_add_u32_e32 v6, v4, v6
	v_lshrrev_b32_e32 v6, s2, v6
	v_mul_lo_u32 v7, v6, s0
	v_mul_hi_u32 v8, s4, v6
	s_cmp_lg_u32 s22, s24
	v_sub_u32_e32 v4, v4, v7
	v_add_u32_e32 v7, v6, v8
	v_lshrrev_b32_e32 v7, s5, v7
	s_waitcnt lgkmcnt(0)
	v_mul_lo_u32 v8, v4, s12
	v_mul_hi_u32 v4, s7, v7
	v_mul_lo_u32 v10, v7, s3
	v_add_u32_e32 v4, v7, v4
	v_lshrrev_b32_e32 v9, s8, v4
	v_mul_hi_u32 v4, s10, v9
	v_sub_u32_e32 v6, v6, v10
	v_mul_lo_u32 v10, v9, s6
	v_mul_lo_u32 v6, v6, s13
	v_add_u32_e32 v4, v9, v4
	v_lshrrev_b32_e32 v4, s11, v4
	v_mul_lo_u32 v11, v4, s9
	v_sub_u32_e32 v7, v7, v10
	v_mul_lo_u32 v7, v7, s14
	v_add3_u32 v3, v8, v3, v6
	v_sub_u32_e32 v9, v9, v11
	v_mul_lo_u32 v9, v9, s15
	v_add3_u32 v3, v7, v3, v9
	s_cbranch_scc1 .LBB53_62
; %bb.63:
	s_and_b32 s4, s23, 3
	s_cmp_eq_u32 s4, 0
	s_cbranch_scc0 .LBB53_67
	s_branch .LBB53_69
.LBB53_64:
                                        ; implicit-def: $vgpr3
	s_branch .LBB53_70
.LBB53_65:
	v_mov_b32_e32 v3, 0
	s_branch .LBB53_69
.LBB53_66:
	v_mov_b32_e32 v3, 0
	v_mov_b32_e32 v4, v5
	s_and_b32 s4, s23, 3
	s_cmp_eq_u32 s4, 0
	s_cbranch_scc1 .LBB53_69
.LBB53_67:
	s_lshl_b32 s0, s22, 2
	s_add_u32 s0, s20, s0
	s_addc_u32 s1, s21, 0
	s_add_u32 s0, s0, 0xc4
	s_addc_u32 s1, s1, 0
	s_mul_i32 s2, s22, 12
	s_add_u32 s2, s20, s2
	s_addc_u32 s3, s21, 0
.LBB53_68:                              ; =>This Inner Loop Header: Depth=1
	s_load_dwordx2 s[6:7], s[2:3], 0x4
	s_load_dword s5, s[2:3], 0xc
	s_add_u32 s2, s2, 12
	s_addc_u32 s3, s3, 0
	s_waitcnt lgkmcnt(0)
	v_mul_hi_u32 v6, s7, v4
	s_load_dword s7, s[0:1], 0x0
	s_add_u32 s0, s0, 4
	s_addc_u32 s1, s1, 0
	v_add_u32_e32 v6, v4, v6
	v_lshrrev_b32_e32 v6, s5, v6
	v_mul_lo_u32 v7, v6, s6
	s_add_i32 s4, s4, -1
	s_cmp_lg_u32 s4, 0
	v_sub_u32_e32 v4, v4, v7
	s_waitcnt lgkmcnt(0)
	v_mad_u64_u32 v[3:4], s[6:7], v4, s7, v[3:4]
	v_mov_b32_e32 v4, v6
	s_cbranch_scc1 .LBB53_68
.LBB53_69:
	s_cbranch_execnz .LBB53_72
.LBB53_70:
	s_load_dwordx4 s[0:3], s[20:21], 0x4
	s_waitcnt lgkmcnt(0)
	s_load_dword s3, s[20:21], 0xc4
	s_cmp_lt_u32 s33, 2
	v_mul_hi_u32 v3, s1, v5
	v_add_u32_e32 v3, v5, v3
	v_lshrrev_b32_e32 v4, s2, v3
	v_mul_lo_u32 v3, v4, s0
	v_sub_u32_e32 v3, v5, v3
	s_waitcnt lgkmcnt(0)
	v_mul_lo_u32 v3, v3, s3
	s_cbranch_scc1 .LBB53_72
; %bb.71:
	s_load_dwordx4 s[0:3], s[20:21], 0x10
	s_waitcnt lgkmcnt(0)
	s_load_dword s3, s[20:21], 0xc8
	v_mul_hi_u32 v5, s1, v4
	v_add_u32_e32 v5, v4, v5
	v_lshrrev_b32_e32 v5, s2, v5
	v_mul_lo_u32 v5, v5, s0
	v_sub_u32_e32 v4, v4, v5
	s_waitcnt lgkmcnt(0)
	v_mad_u64_u32 v[3:4], s[0:1], v4, s3, v[3:4]
.LBB53_72:
	s_load_dword s2, s[20:21], 0x110
	s_load_dwordx2 s[0:1], s[20:21], 0x108
	s_waitcnt lgkmcnt(0)
	v_mov_b32_e32 v4, s2
	s_nop 0
	global_store_dword v0, v4, s[0:1]
	global_store_dword v1, v4, s[0:1]
	;; [unrolled: 1-line block ×4, first 2 shown]
	s_endpgm
.LBB53_73:
	v_mov_b32_e32 v0, 0
	s_branch .LBB53_79
.LBB53_74:
	v_mov_b32_e32 v0, 0
	s_branch .LBB53_95
.LBB53_75:
	v_mov_b32_e32 v0, 0
	s_mov_b32 s50, 0
	v_mov_b32_e32 v1, v3
.LBB53_76:
	s_and_b32 s4, s51, 3
	s_cmp_eq_u32 s4, 0
	s_cbranch_scc1 .LBB53_79
; %bb.77:
	s_lshl_b32 s0, s50, 2
	s_add_u32 s0, s20, s0
	s_addc_u32 s1, s21, 0
	s_add_u32 s0, s0, 0xc4
	s_addc_u32 s1, s1, 0
	s_mul_i32 s2, s50, 12
	s_add_u32 s2, s20, s2
	s_addc_u32 s3, s21, 0
.LBB53_78:                              ; =>This Inner Loop Header: Depth=1
	s_load_dwordx2 s[6:7], s[2:3], 0x4
	s_load_dword s5, s[2:3], 0xc
	s_add_u32 s2, s2, 12
	s_addc_u32 s3, s3, 0
	s_waitcnt lgkmcnt(0)
	v_mul_hi_u32 v2, s7, v1
	s_load_dword s7, s[0:1], 0x0
	s_add_u32 s0, s0, 4
	s_addc_u32 s1, s1, 0
	v_add_u32_e32 v2, v1, v2
	v_lshrrev_b32_e32 v2, s5, v2
	v_mul_lo_u32 v4, v2, s6
	s_add_i32 s4, s4, -1
	s_cmp_lg_u32 s4, 0
	v_sub_u32_e32 v1, v1, v4
	s_waitcnt lgkmcnt(0)
	v_mad_u64_u32 v[0:1], s[6:7], v1, s7, v[0:1]
	v_mov_b32_e32 v1, v2
	s_cbranch_scc1 .LBB53_78
.LBB53_79:
	s_cbranch_execnz .LBB53_82
.LBB53_80:
	s_waitcnt lgkmcnt(0)
	v_mul_hi_u32 v0, s9, v3
	s_andn2_b64 vcc, exec, s[34:35]
	v_add_u32_e32 v0, v3, v0
	v_lshrrev_b32_e32 v1, s10, v0
	v_mul_lo_u32 v0, v1, s8
	v_sub_u32_e32 v0, v3, v0
	v_mul_lo_u32 v0, v0, s28
	s_cbranch_vccnz .LBB53_82
; %bb.81:
	v_mul_hi_u32 v2, s30, v1
	v_add_u32_e32 v2, v1, v2
	v_lshrrev_b32_e32 v2, s31, v2
	v_mul_lo_u32 v2, v2, s11
	v_sub_u32_e32 v1, v1, v2
	v_mad_u64_u32 v[0:1], s[0:1], v1, s29, v[0:1]
.LBB53_82:
	s_waitcnt lgkmcnt(0)
	v_mov_b32_e32 v1, s47
	v_add_u32_e32 v3, 0x80, v3
	global_store_dword v0, v1, s[26:27]
	s_or_b64 exec, exec, s[40:41]
	v_cmp_gt_i32_e32 vcc, s48, v3
	s_and_saveexec_b64 s[40:41], vcc
	s_cbranch_execnz .LBB53_15
.LBB53_83:
	s_or_b64 exec, exec, s[40:41]
	v_cmp_gt_i32_e32 vcc, s48, v3
	s_and_saveexec_b64 s[40:41], vcc
	s_cbranch_execz .LBB53_99
.LBB53_84:
	s_andn2_b64 vcc, exec, s[22:23]
	s_cbranch_vccnz .LBB53_89
; %bb.85:
	s_andn2_b64 vcc, exec, s[38:39]
	s_cbranch_vccnz .LBB53_90
; %bb.86:
	s_add_i32 s51, s49, 1
	s_cmp_eq_u32 s46, 2
	s_cbranch_scc1 .LBB53_102
; %bb.87:
	s_and_b32 s50, s51, 28
	s_mov_b32 s52, 0
	v_mov_b32_e32 v0, 0
	s_mov_b64 s[42:43], s[20:21]
	s_mov_b64 s[44:45], s[36:37]
	v_mov_b32_e32 v1, v3
.LBB53_88:                              ; =>This Inner Loop Header: Depth=1
	s_load_dwordx8 s[0:7], s[42:43], 0x4
	s_load_dwordx4 s[12:15], s[42:43], 0x24
	s_load_dwordx4 s[16:19], s[44:45], 0x0
	s_add_u32 s42, s42, 48
	s_addc_u32 s43, s43, 0
	s_waitcnt lgkmcnt(0)
	v_mul_hi_u32 v2, s1, v1
	s_add_i32 s52, s52, 4
	s_add_u32 s44, s44, 16
	s_addc_u32 s45, s45, 0
	v_add_u32_e32 v2, v1, v2
	v_lshrrev_b32_e32 v2, s2, v2
	v_mul_lo_u32 v4, v2, s0
	v_mul_hi_u32 v5, s4, v2
	s_cmp_eq_u32 s50, s52
	v_sub_u32_e32 v1, v1, v4
	v_add_u32_e32 v4, v2, v5
	v_lshrrev_b32_e32 v4, s5, v4
	v_mul_lo_u32 v5, v1, s16
	v_mul_hi_u32 v1, s7, v4
	v_mul_lo_u32 v7, v4, s3
	v_add_u32_e32 v1, v4, v1
	v_lshrrev_b32_e32 v6, s12, v1
	v_mul_hi_u32 v1, s14, v6
	v_sub_u32_e32 v2, v2, v7
	v_mul_lo_u32 v7, v6, s6
	v_mul_lo_u32 v2, v2, s17
	v_add_u32_e32 v1, v6, v1
	v_lshrrev_b32_e32 v1, s15, v1
	v_mul_lo_u32 v8, v1, s13
	v_sub_u32_e32 v4, v4, v7
	v_mul_lo_u32 v4, v4, s18
	v_add3_u32 v0, v5, v0, v2
	v_sub_u32_e32 v6, v6, v8
	v_mul_lo_u32 v6, v6, s19
	v_add3_u32 v0, v4, v0, v6
	s_cbranch_scc0 .LBB53_88
	s_branch .LBB53_103
.LBB53_89:
                                        ; implicit-def: $vgpr0
	s_branch .LBB53_107
.LBB53_90:
	v_mov_b32_e32 v0, 0
	s_branch .LBB53_106
.LBB53_91:
	v_mov_b32_e32 v0, 0
	s_mov_b32 s50, 0
	v_mov_b32_e32 v1, v3
.LBB53_92:
	s_and_b32 s4, s51, 3
	s_cmp_eq_u32 s4, 0
	s_cbranch_scc1 .LBB53_95
; %bb.93:
	s_lshl_b32 s0, s50, 2
	s_add_u32 s0, s20, s0
	s_addc_u32 s1, s21, 0
	s_add_u32 s0, s0, 0xc4
	s_addc_u32 s1, s1, 0
	s_mul_i32 s2, s50, 12
	s_add_u32 s2, s20, s2
	s_addc_u32 s3, s21, 0
.LBB53_94:                              ; =>This Inner Loop Header: Depth=1
	s_load_dwordx2 s[6:7], s[2:3], 0x4
	s_load_dword s5, s[2:3], 0xc
	s_add_u32 s2, s2, 12
	s_addc_u32 s3, s3, 0
	s_waitcnt lgkmcnt(0)
	v_mul_hi_u32 v2, s7, v1
	s_load_dword s7, s[0:1], 0x0
	s_add_u32 s0, s0, 4
	s_addc_u32 s1, s1, 0
	v_add_u32_e32 v2, v1, v2
	v_lshrrev_b32_e32 v2, s5, v2
	v_mul_lo_u32 v4, v2, s6
	s_add_i32 s4, s4, -1
	s_cmp_lg_u32 s4, 0
	v_sub_u32_e32 v1, v1, v4
	s_waitcnt lgkmcnt(0)
	v_mad_u64_u32 v[0:1], s[6:7], v1, s7, v[0:1]
	v_mov_b32_e32 v1, v2
	s_cbranch_scc1 .LBB53_94
.LBB53_95:
	s_cbranch_execnz .LBB53_98
.LBB53_96:
	s_waitcnt lgkmcnt(0)
	v_mul_hi_u32 v0, s9, v3
	s_andn2_b64 vcc, exec, s[34:35]
	v_add_u32_e32 v0, v3, v0
	v_lshrrev_b32_e32 v1, s10, v0
	v_mul_lo_u32 v0, v1, s8
	v_sub_u32_e32 v0, v3, v0
	v_mul_lo_u32 v0, v0, s28
	s_cbranch_vccnz .LBB53_98
; %bb.97:
	v_mul_hi_u32 v2, s30, v1
	v_add_u32_e32 v2, v1, v2
	v_lshrrev_b32_e32 v2, s31, v2
	v_mul_lo_u32 v2, v2, s11
	v_sub_u32_e32 v1, v1, v2
	v_mad_u64_u32 v[0:1], s[0:1], v1, s29, v[0:1]
.LBB53_98:
	s_waitcnt lgkmcnt(0)
	v_mov_b32_e32 v1, s47
	v_add_u32_e32 v3, 0x80, v3
	global_store_dword v0, v1, s[26:27]
	s_or_b64 exec, exec, s[40:41]
	v_cmp_gt_i32_e32 vcc, s48, v3
	s_and_saveexec_b64 s[40:41], vcc
	s_cbranch_execnz .LBB53_84
.LBB53_99:
	s_or_b64 exec, exec, s[40:41]
	v_cmp_gt_i32_e32 vcc, s48, v3
	s_and_saveexec_b64 s[40:41], vcc
	s_cbranch_execnz .LBB53_110
.LBB53_100:
	s_or_b64 exec, exec, s[40:41]
                                        ; implicit-def: $vgpr5
                                        ; implicit-def: $vgpr3
	s_andn2_saveexec_b64 s[0:1], s[24:25]
	s_cbranch_execnz .LBB53_8
.LBB53_101:
	s_endpgm
.LBB53_102:
	v_mov_b32_e32 v0, 0
	s_mov_b32 s50, 0
	v_mov_b32_e32 v1, v3
.LBB53_103:
	s_and_b32 s4, s51, 3
	s_cmp_eq_u32 s4, 0
	s_cbranch_scc1 .LBB53_106
; %bb.104:
	s_lshl_b32 s0, s50, 2
	s_add_u32 s0, s20, s0
	s_addc_u32 s1, s21, 0
	s_add_u32 s0, s0, 0xc4
	s_addc_u32 s1, s1, 0
	s_mul_i32 s2, s50, 12
	s_add_u32 s2, s20, s2
	s_addc_u32 s3, s21, 0
.LBB53_105:                             ; =>This Inner Loop Header: Depth=1
	s_load_dwordx2 s[6:7], s[2:3], 0x4
	s_load_dword s5, s[2:3], 0xc
	s_add_u32 s2, s2, 12
	s_addc_u32 s3, s3, 0
	s_waitcnt lgkmcnt(0)
	v_mul_hi_u32 v2, s7, v1
	s_load_dword s7, s[0:1], 0x0
	s_add_u32 s0, s0, 4
	s_addc_u32 s1, s1, 0
	v_add_u32_e32 v2, v1, v2
	v_lshrrev_b32_e32 v2, s5, v2
	v_mul_lo_u32 v4, v2, s6
	s_add_i32 s4, s4, -1
	s_cmp_lg_u32 s4, 0
	v_sub_u32_e32 v1, v1, v4
	s_waitcnt lgkmcnt(0)
	v_mad_u64_u32 v[0:1], s[6:7], v1, s7, v[0:1]
	v_mov_b32_e32 v1, v2
	s_cbranch_scc1 .LBB53_105
.LBB53_106:
	s_cbranch_execnz .LBB53_109
.LBB53_107:
	s_waitcnt lgkmcnt(0)
	v_mul_hi_u32 v0, s9, v3
	s_andn2_b64 vcc, exec, s[34:35]
	v_add_u32_e32 v0, v3, v0
	v_lshrrev_b32_e32 v1, s10, v0
	v_mul_lo_u32 v0, v1, s8
	v_sub_u32_e32 v0, v3, v0
	v_mul_lo_u32 v0, v0, s28
	s_cbranch_vccnz .LBB53_109
; %bb.108:
	v_mul_hi_u32 v2, s30, v1
	v_add_u32_e32 v2, v1, v2
	v_lshrrev_b32_e32 v2, s31, v2
	v_mul_lo_u32 v2, v2, s11
	v_sub_u32_e32 v1, v1, v2
	v_mad_u64_u32 v[0:1], s[0:1], v1, s29, v[0:1]
.LBB53_109:
	s_waitcnt lgkmcnt(0)
	v_mov_b32_e32 v1, s47
	v_add_u32_e32 v3, 0x80, v3
	global_store_dword v0, v1, s[26:27]
	s_or_b64 exec, exec, s[40:41]
	v_cmp_gt_i32_e32 vcc, s48, v3
	s_and_saveexec_b64 s[40:41], vcc
	s_cbranch_execz .LBB53_100
.LBB53_110:
	s_andn2_b64 vcc, exec, s[22:23]
	s_cbranch_vccnz .LBB53_115
; %bb.111:
	s_andn2_b64 vcc, exec, s[38:39]
	s_cbranch_vccnz .LBB53_116
; %bb.112:
	s_add_i32 s49, s49, 1
	s_cmp_eq_u32 s46, 2
	s_cbranch_scc1 .LBB53_117
; %bb.113:
	s_and_b32 s42, s49, 28
	s_mov_b32 s43, 0
	v_mov_b32_e32 v0, 0
	s_mov_b64 s[38:39], s[20:21]
	v_mov_b32_e32 v1, v3
.LBB53_114:                             ; =>This Inner Loop Header: Depth=1
	s_load_dwordx8 s[0:7], s[38:39], 0x4
	s_load_dwordx4 s[12:15], s[38:39], 0x24
	s_load_dwordx4 s[16:19], s[36:37], 0x0
	s_add_u32 s38, s38, 48
	s_addc_u32 s39, s39, 0
	s_waitcnt lgkmcnt(0)
	v_mul_hi_u32 v2, s1, v1
	s_add_i32 s43, s43, 4
	s_add_u32 s36, s36, 16
	s_addc_u32 s37, s37, 0
	v_add_u32_e32 v2, v1, v2
	v_lshrrev_b32_e32 v2, s2, v2
	v_mul_lo_u32 v4, v2, s0
	v_mul_hi_u32 v5, s4, v2
	s_cmp_eq_u32 s42, s43
	v_sub_u32_e32 v1, v1, v4
	v_add_u32_e32 v4, v2, v5
	v_lshrrev_b32_e32 v4, s5, v4
	v_mul_lo_u32 v5, v1, s16
	v_mul_hi_u32 v1, s7, v4
	v_mul_lo_u32 v7, v4, s3
	v_add_u32_e32 v1, v4, v1
	v_lshrrev_b32_e32 v6, s12, v1
	v_mul_hi_u32 v1, s14, v6
	v_sub_u32_e32 v2, v2, v7
	v_mul_lo_u32 v7, v6, s6
	v_mul_lo_u32 v2, v2, s17
	v_add_u32_e32 v1, v6, v1
	v_lshrrev_b32_e32 v1, s15, v1
	v_mul_lo_u32 v8, v1, s13
	v_sub_u32_e32 v4, v4, v7
	v_mul_lo_u32 v4, v4, s18
	v_add3_u32 v0, v5, v0, v2
	v_sub_u32_e32 v6, v6, v8
	v_mul_lo_u32 v6, v6, s19
	v_add3_u32 v0, v4, v0, v6
	s_cbranch_scc0 .LBB53_114
	s_branch .LBB53_118
.LBB53_115:
                                        ; implicit-def: $vgpr0
	s_branch .LBB53_122
.LBB53_116:
	v_mov_b32_e32 v0, 0
	s_branch .LBB53_121
.LBB53_117:
	v_mov_b32_e32 v0, 0
	s_mov_b32 s42, 0
	v_mov_b32_e32 v1, v3
.LBB53_118:
	s_and_b32 s4, s49, 3
	s_cmp_eq_u32 s4, 0
	s_cbranch_scc1 .LBB53_121
; %bb.119:
	s_lshl_b32 s0, s42, 2
	s_add_u32 s0, s20, s0
	s_addc_u32 s1, s21, 0
	s_add_u32 s0, s0, 0xc4
	s_addc_u32 s1, s1, 0
	s_mul_i32 s2, s42, 12
	s_add_u32 s2, s20, s2
	s_addc_u32 s3, s21, 0
.LBB53_120:                             ; =>This Inner Loop Header: Depth=1
	s_load_dwordx2 s[6:7], s[2:3], 0x4
	s_load_dword s5, s[2:3], 0xc
	s_add_u32 s2, s2, 12
	s_addc_u32 s3, s3, 0
	s_waitcnt lgkmcnt(0)
	v_mul_hi_u32 v2, s7, v1
	s_load_dword s7, s[0:1], 0x0
	s_add_u32 s0, s0, 4
	s_addc_u32 s1, s1, 0
	v_add_u32_e32 v2, v1, v2
	v_lshrrev_b32_e32 v2, s5, v2
	v_mul_lo_u32 v4, v2, s6
	s_add_i32 s4, s4, -1
	s_cmp_lg_u32 s4, 0
	v_sub_u32_e32 v1, v1, v4
	s_waitcnt lgkmcnt(0)
	v_mad_u64_u32 v[0:1], s[6:7], v1, s7, v[0:1]
	v_mov_b32_e32 v1, v2
	s_cbranch_scc1 .LBB53_120
.LBB53_121:
	s_cbranch_execnz .LBB53_124
.LBB53_122:
	s_waitcnt lgkmcnt(0)
	v_mul_hi_u32 v0, s9, v3
	s_andn2_b64 vcc, exec, s[34:35]
	v_add_u32_e32 v0, v3, v0
	v_lshrrev_b32_e32 v1, s10, v0
	v_mul_lo_u32 v0, v1, s8
	v_sub_u32_e32 v0, v3, v0
	v_mul_lo_u32 v0, v0, s28
	s_cbranch_vccnz .LBB53_124
; %bb.123:
	v_mul_hi_u32 v2, s30, v1
	v_add_u32_e32 v2, v1, v2
	v_lshrrev_b32_e32 v2, s31, v2
	v_mul_lo_u32 v2, v2, s11
	v_sub_u32_e32 v1, v1, v2
	v_mad_u64_u32 v[0:1], s[0:1], v1, s29, v[0:1]
.LBB53_124:
	s_waitcnt lgkmcnt(0)
	v_mov_b32_e32 v1, s47
	global_store_dword v0, v1, s[26:27]
	s_or_b64 exec, exec, s[40:41]
                                        ; implicit-def: $vgpr5
                                        ; implicit-def: $vgpr3
	s_andn2_saveexec_b64 s[0:1], s[24:25]
	s_cbranch_execz .LBB53_101
	s_branch .LBB53_8
	.section	.rodata,"a",@progbits
	.p2align	6, 0x0
	.amdhsa_kernel _ZN2at6native32elementwise_kernel_manual_unrollILi128ELi4EZNS0_22gpu_kernel_impl_nocastINS0_11FillFunctorIfEEEEvRNS_18TensorIteratorBaseERKT_EUlibE_EEviT1_
		.amdhsa_group_segment_fixed_size 0
		.amdhsa_private_segment_fixed_size 0
		.amdhsa_kernarg_size 288
		.amdhsa_user_sgpr_count 6
		.amdhsa_user_sgpr_private_segment_buffer 1
		.amdhsa_user_sgpr_dispatch_ptr 0
		.amdhsa_user_sgpr_queue_ptr 0
		.amdhsa_user_sgpr_kernarg_segment_ptr 1
		.amdhsa_user_sgpr_dispatch_id 0
		.amdhsa_user_sgpr_flat_scratch_init 0
		.amdhsa_user_sgpr_private_segment_size 0
		.amdhsa_uses_dynamic_stack 0
		.amdhsa_system_sgpr_private_segment_wavefront_offset 0
		.amdhsa_system_sgpr_workgroup_id_x 1
		.amdhsa_system_sgpr_workgroup_id_y 0
		.amdhsa_system_sgpr_workgroup_id_z 0
		.amdhsa_system_sgpr_workgroup_info 0
		.amdhsa_system_vgpr_workitem_id 0
		.amdhsa_next_free_vgpr 12
		.amdhsa_next_free_sgpr 53
		.amdhsa_reserve_vcc 1
		.amdhsa_reserve_flat_scratch 0
		.amdhsa_float_round_mode_32 0
		.amdhsa_float_round_mode_16_64 0
		.amdhsa_float_denorm_mode_32 3
		.amdhsa_float_denorm_mode_16_64 3
		.amdhsa_dx10_clamp 1
		.amdhsa_ieee_mode 1
		.amdhsa_fp16_overflow 0
		.amdhsa_exception_fp_ieee_invalid_op 0
		.amdhsa_exception_fp_denorm_src 0
		.amdhsa_exception_fp_ieee_div_zero 0
		.amdhsa_exception_fp_ieee_overflow 0
		.amdhsa_exception_fp_ieee_underflow 0
		.amdhsa_exception_fp_ieee_inexact 0
		.amdhsa_exception_int_div_zero 0
	.end_amdhsa_kernel
	.section	.text._ZN2at6native32elementwise_kernel_manual_unrollILi128ELi4EZNS0_22gpu_kernel_impl_nocastINS0_11FillFunctorIfEEEEvRNS_18TensorIteratorBaseERKT_EUlibE_EEviT1_,"axG",@progbits,_ZN2at6native32elementwise_kernel_manual_unrollILi128ELi4EZNS0_22gpu_kernel_impl_nocastINS0_11FillFunctorIfEEEEvRNS_18TensorIteratorBaseERKT_EUlibE_EEviT1_,comdat
.Lfunc_end53:
	.size	_ZN2at6native32elementwise_kernel_manual_unrollILi128ELi4EZNS0_22gpu_kernel_impl_nocastINS0_11FillFunctorIfEEEEvRNS_18TensorIteratorBaseERKT_EUlibE_EEviT1_, .Lfunc_end53-_ZN2at6native32elementwise_kernel_manual_unrollILi128ELi4EZNS0_22gpu_kernel_impl_nocastINS0_11FillFunctorIfEEEEvRNS_18TensorIteratorBaseERKT_EUlibE_EEviT1_
                                        ; -- End function
	.set _ZN2at6native32elementwise_kernel_manual_unrollILi128ELi4EZNS0_22gpu_kernel_impl_nocastINS0_11FillFunctorIfEEEEvRNS_18TensorIteratorBaseERKT_EUlibE_EEviT1_.num_vgpr, 12
	.set _ZN2at6native32elementwise_kernel_manual_unrollILi128ELi4EZNS0_22gpu_kernel_impl_nocastINS0_11FillFunctorIfEEEEvRNS_18TensorIteratorBaseERKT_EUlibE_EEviT1_.num_agpr, 0
	.set _ZN2at6native32elementwise_kernel_manual_unrollILi128ELi4EZNS0_22gpu_kernel_impl_nocastINS0_11FillFunctorIfEEEEvRNS_18TensorIteratorBaseERKT_EUlibE_EEviT1_.numbered_sgpr, 53
	.set _ZN2at6native32elementwise_kernel_manual_unrollILi128ELi4EZNS0_22gpu_kernel_impl_nocastINS0_11FillFunctorIfEEEEvRNS_18TensorIteratorBaseERKT_EUlibE_EEviT1_.num_named_barrier, 0
	.set _ZN2at6native32elementwise_kernel_manual_unrollILi128ELi4EZNS0_22gpu_kernel_impl_nocastINS0_11FillFunctorIfEEEEvRNS_18TensorIteratorBaseERKT_EUlibE_EEviT1_.private_seg_size, 0
	.set _ZN2at6native32elementwise_kernel_manual_unrollILi128ELi4EZNS0_22gpu_kernel_impl_nocastINS0_11FillFunctorIfEEEEvRNS_18TensorIteratorBaseERKT_EUlibE_EEviT1_.uses_vcc, 1
	.set _ZN2at6native32elementwise_kernel_manual_unrollILi128ELi4EZNS0_22gpu_kernel_impl_nocastINS0_11FillFunctorIfEEEEvRNS_18TensorIteratorBaseERKT_EUlibE_EEviT1_.uses_flat_scratch, 0
	.set _ZN2at6native32elementwise_kernel_manual_unrollILi128ELi4EZNS0_22gpu_kernel_impl_nocastINS0_11FillFunctorIfEEEEvRNS_18TensorIteratorBaseERKT_EUlibE_EEviT1_.has_dyn_sized_stack, 0
	.set _ZN2at6native32elementwise_kernel_manual_unrollILi128ELi4EZNS0_22gpu_kernel_impl_nocastINS0_11FillFunctorIfEEEEvRNS_18TensorIteratorBaseERKT_EUlibE_EEviT1_.has_recursion, 0
	.set _ZN2at6native32elementwise_kernel_manual_unrollILi128ELi4EZNS0_22gpu_kernel_impl_nocastINS0_11FillFunctorIfEEEEvRNS_18TensorIteratorBaseERKT_EUlibE_EEviT1_.has_indirect_call, 0
	.section	.AMDGPU.csdata,"",@progbits
; Kernel info:
; codeLenInByte = 5004
; TotalNumSgprs: 57
; NumVgprs: 12
; ScratchSize: 0
; MemoryBound: 0
; FloatMode: 240
; IeeeMode: 1
; LDSByteSize: 0 bytes/workgroup (compile time only)
; SGPRBlocks: 7
; VGPRBlocks: 2
; NumSGPRsForWavesPerEU: 57
; NumVGPRsForWavesPerEU: 12
; Occupancy: 10
; WaveLimiterHint : 1
; COMPUTE_PGM_RSRC2:SCRATCH_EN: 0
; COMPUTE_PGM_RSRC2:USER_SGPR: 6
; COMPUTE_PGM_RSRC2:TRAP_HANDLER: 0
; COMPUTE_PGM_RSRC2:TGID_X_EN: 1
; COMPUTE_PGM_RSRC2:TGID_Y_EN: 0
; COMPUTE_PGM_RSRC2:TGID_Z_EN: 0
; COMPUTE_PGM_RSRC2:TIDIG_COMP_CNT: 0
	.section	.text._ZN2at6native32elementwise_kernel_manual_unrollILi128ELi4EZNS0_15gpu_kernel_implINS0_11FillFunctorIfEEEEvRNS_18TensorIteratorBaseERKT_EUlibE_EEviT1_,"axG",@progbits,_ZN2at6native32elementwise_kernel_manual_unrollILi128ELi4EZNS0_15gpu_kernel_implINS0_11FillFunctorIfEEEEvRNS_18TensorIteratorBaseERKT_EUlibE_EEviT1_,comdat
	.protected	_ZN2at6native32elementwise_kernel_manual_unrollILi128ELi4EZNS0_15gpu_kernel_implINS0_11FillFunctorIfEEEEvRNS_18TensorIteratorBaseERKT_EUlibE_EEviT1_ ; -- Begin function _ZN2at6native32elementwise_kernel_manual_unrollILi128ELi4EZNS0_15gpu_kernel_implINS0_11FillFunctorIfEEEEvRNS_18TensorIteratorBaseERKT_EUlibE_EEviT1_
	.globl	_ZN2at6native32elementwise_kernel_manual_unrollILi128ELi4EZNS0_15gpu_kernel_implINS0_11FillFunctorIfEEEEvRNS_18TensorIteratorBaseERKT_EUlibE_EEviT1_
	.p2align	8
	.type	_ZN2at6native32elementwise_kernel_manual_unrollILi128ELi4EZNS0_15gpu_kernel_implINS0_11FillFunctorIfEEEEvRNS_18TensorIteratorBaseERKT_EUlibE_EEviT1_,@function
_ZN2at6native32elementwise_kernel_manual_unrollILi128ELi4EZNS0_15gpu_kernel_implINS0_11FillFunctorIfEEEEvRNS_18TensorIteratorBaseERKT_EUlibE_EEviT1_: ; @_ZN2at6native32elementwise_kernel_manual_unrollILi128ELi4EZNS0_15gpu_kernel_implINS0_11FillFunctorIfEEEEvRNS_18TensorIteratorBaseERKT_EUlibE_EEviT1_
; %bb.0:
	s_load_dword s48, s[4:5], 0x0
	s_load_dwordx4 s[8:11], s[4:5], 0x8
	s_load_dword s33, s[4:5], 0x18
	v_lshl_or_b32 v15, s6, 9, v0
	v_or_b32_e32 v0, 0x180, v15
	s_waitcnt lgkmcnt(0)
	v_cmp_le_i32_e32 vcc, s48, v0
	s_mov_b64 s[4:5], 0
	s_mov_b64 s[0:1], 0
	s_and_saveexec_b64 s[2:3], vcc
	s_xor_b64 s[2:3], exec, s[2:3]
	s_cbranch_execz .LBB54_404
; %bb.1:
	s_lshr_b32 s14, s11, 23
	s_bfe_u32 s12, s11, 0x80017
	s_cmpk_eq_i32 s12, 0xff
	s_cselect_b64 s[0:1], -1, 0
	s_bitcmp1_b32 s11, 22
	s_cselect_b64 s[6:7], -1, 0
	s_and_b32 s13, s11, 0x3fffff
	s_or_b32 s12, s12, s13
	s_cmp_lg_u32 s12, 0
	v_trunc_f32_e32 v2, s11
	s_cselect_b64 s[12:13], -1, 0
	v_mul_f32_e32 v0, 0x2f800000, v2
	s_and_b64 s[6:7], s[6:7], s[12:13]
	s_and_b32 s30, s11, 0x7fffffff
	v_floor_f32_e32 v0, v0
	v_mov_b32_e32 v1, v2
	s_cmp_lt_u32 s30, 0x43800000
	v_cvt_u32_f32_e32 v7, v0
	v_fmac_f32_e32 v1, 0xcf800000, v0
	v_cndmask_b32_e64 v0, 0, 1, s[6:7]
	s_cselect_b64 s[26:27], -1, 0
	s_cmp_gt_u32 s30, 0x3bffffff
	v_add_u32_e32 v14, s14, v0
	s_cselect_b64 s[24:25], -1, 0
	s_bfe_u32 s6, s11, 0x10014
	v_mov_b32_e32 v0, 0x46000000
	s_add_i32 s12, s11, s6
	v_add_f32_e64 v0, |s11|, v0
	s_add_i32 s6, s12, 0x487ffff
	v_readfirstlane_b32 s63, v0
	s_lshr_b32 s62, s6, 20
	s_and_b32 s6, s63, 0xff
	s_cmp_lg_u32 s6, 0
	s_cselect_b64 s[28:29], -1, 0
	s_lshr_b32 s6, s11, 24
	s_and_b32 s52, s6, 0x80
	s_cmp_gt_u32 s30, 0x477fffff
	s_cselect_b64 s[6:7], -1, 0
	s_cmp_lt_u32 s30, 0x47800000
	s_cselect_b64 s[20:21], -1, 0
	s_cmp_gt_u32 s30, 0x37ffffff
	s_cselect_b64 s[18:19], -1, 0
	s_bfe_u32 s13, s11, 0x10015
	v_mov_b32_e32 v0, 0x42800000
	s_add_i32 s31, s11, s13
	v_add_f32_e64 v0, |s11|, v0
	s_add_i32 s13, s31, 0x88fffff
	v_readfirstlane_b32 s61, v0
	s_lshr_b32 s59, s13, 21
	s_and_b32 s13, s61, 0xff
	s_cmp_lg_u32 s13, 0
	s_cselect_b64 s[22:23], -1, 0
	s_cmp_gt_u32 s30, 0x43efffff
	s_cselect_b64 s[14:15], -1, 0
	s_cmp_lt_u32 s30, 0x3c800000
	s_cselect_b64 s[16:17], -1, 0
	s_add_i32 s12, s12, 0x407ffff
	s_lshr_b32 s13, s12, 20
	s_and_b32 s12, s12, 0xff00000
	s_cmp_lg_u32 s12, 0x7f00000
	s_mov_b32 s34, 0x2f800000
	s_cselect_b32 s57, s13, 0x7e
	s_cmp_lt_u32 s30, 0x38800000
	s_cselect_b64 s[12:13], -1, 0
	s_add_i32 s31, s31, 0x80fffff
	v_mul_f32_e64 v3, |v2|, s34
	s_mov_b32 s35, 0xcf800000
	s_lshr_b32 s54, s31, 21
	v_floor_f32_e32 v3, v3
	s_cmp_gt_u32 s30, 0x7f800000
	s_movk_i32 s30, 0x7f
	v_fma_f32 v4, v3, s35, |v2|
	v_mov_b32_e32 v0, 0x46800000
	s_cselect_b32 s60, s30, 0x7e
	s_movk_i32 s30, 0x7c
	v_cvt_u32_f32_e32 v4, v4
	v_add_f32_e64 v0, |s11|, v0
	s_cselect_b32 s56, 0x7f, s30
	s_bfe_u32 s30, s11, 0x10010
	v_cvt_u32_f32_e32 v3, v3
	v_readfirstlane_b32 s58, v0
	v_mov_b32_e32 v0, 0x43000000
	s_add_i32 s30, s11, s30
	v_add_f32_e64 v0, |s11|, v0
	s_addk_i32 s30, 0x7fff
	v_ashrrev_i32_e32 v2, 31, v2
	v_cvt_u32_f32_e32 v6, v1
	v_cvt_u32_f32_e32 v13, s11
	v_readfirstlane_b32 s55, v0
	s_lshr_b32 s36, s30, 16
	v_cmp_o_f32_e64 s[30:31], s11, s11
	v_cvt_f64_f32_e32 v[0:1], s11
	v_cvt_f16_f32_e32 v11, s11
	v_xor_b32_e32 v4, v4, v2
	v_cvt_i32_f32_e32 v10, s11
	s_and_b64 s[30:31], s[30:31], exec
	v_xor_b32_e32 v3, v3, v2
	v_sub_co_u32_e32 v4, vcc, v4, v2
	v_cmp_neq_f32_e64 s[30:31], s11, 0
	v_subb_co_u32_e32 v5, vcc, v3, v2, vcc
	s_cselect_b32 s53, s36, 0x7fc0
	v_cndmask_b32_e64 v12, 0, 1, s[30:31]
	v_cmp_gt_i32_e32 vcc, s48, v15
	s_mov_b64 s[36:37], -1
	s_mov_b64 s[38:39], 0
	s_mov_b64 s[30:31], 0
	s_and_saveexec_b64 s[34:35], vcc
	s_cbranch_execz .LBB54_100
; %bb.2:
	v_mul_lo_u32 v2, v15, s10
	v_mov_b32_e32 v3, s9
	s_and_b32 s42, s33, 0xff
	s_cmp_lt_i32 s42, 11
	v_ashrrev_i32_e32 v9, 31, v2
	v_add_co_u32_e32 v8, vcc, s8, v2
	v_addc_co_u32_e32 v9, vcc, v3, v9, vcc
	s_cbranch_scc1 .LBB54_9
; %bb.3:
	s_and_b32 s43, 0xffff, s42
	s_cmp_gt_i32 s43, 25
	s_cbranch_scc0 .LBB54_12
; %bb.4:
	s_cmp_gt_i32 s43, 28
	s_cbranch_scc0 .LBB54_13
; %bb.5:
	;; [unrolled: 3-line block ×4, first 2 shown]
	s_mov_b64 s[40:41], 0
	s_mov_b64 s[30:31], -1
	s_cmp_eq_u32 s43, 46
	s_mov_b64 s[36:37], 0
	s_cbranch_scc0 .LBB54_16
; %bb.8:
	v_mov_b32_e32 v2, s53
	global_store_dword v[8:9], v2, off
	s_mov_b64 s[36:37], -1
	s_mov_b64 s[30:31], 0
	s_branch .LBB54_16
.LBB54_9:
	s_mov_b64 s[36:37], 0
	s_cbranch_execnz .LBB54_60
.LBB54_10:
	s_andn2_b64 vcc, exec, s[36:37]
	s_cbranch_vccnz .LBB54_98
.LBB54_11:
	v_add_u32_e32 v15, 0x80, v15
	s_mov_b64 s[36:37], -1
	s_branch .LBB54_99
.LBB54_12:
	s_mov_b64 s[36:37], 0
	s_cbranch_execnz .LBB54_38
	s_branch .LBB54_59
.LBB54_13:
	s_mov_b64 s[40:41], -1
	s_mov_b64 s[36:37], 0
	s_branch .LBB54_24
.LBB54_14:
	s_mov_b64 s[40:41], -1
	s_mov_b64 s[36:37], 0
	s_branch .LBB54_20
.LBB54_15:
	s_mov_b64 s[40:41], -1
	s_mov_b64 s[36:37], 0
.LBB54_16:
	s_and_b64 vcc, exec, s[40:41]
	s_cbranch_vccz .LBB54_19
; %bb.17:
	s_cmp_eq_u32 s43, 44
	s_mov_b64 s[30:31], -1
	s_cbranch_scc0 .LBB54_19
; %bb.18:
	v_mov_b32_e32 v2, 0xffff
	v_cndmask_b32_e64 v2, v14, v2, s[0:1]
	global_store_byte v[8:9], v2, off
	s_mov_b64 s[36:37], -1
	s_mov_b64 s[30:31], 0
.LBB54_19:
	s_mov_b64 s[40:41], 0
.LBB54_20:
	s_and_b64 vcc, exec, s[40:41]
	s_cbranch_vccz .LBB54_23
; %bb.21:
	s_cmp_eq_u32 s43, 29
	s_mov_b64 s[30:31], -1
	s_cbranch_scc0 .LBB54_23
; %bb.22:
	global_store_dwordx2 v[8:9], v[6:7], off
	s_mov_b64 s[36:37], -1
	s_mov_b64 s[30:31], 0
.LBB54_23:
	s_mov_b64 s[40:41], 0
.LBB54_24:
	s_and_b64 vcc, exec, s[40:41]
	s_cbranch_vccz .LBB54_37
; %bb.25:
	s_cmp_lt_i32 s43, 27
	s_mov_b64 s[36:37], -1
	s_cbranch_scc1 .LBB54_31
; %bb.26:
	s_cmp_gt_i32 s43, 27
	s_cbranch_scc0 .LBB54_28
; %bb.27:
	s_mov_b64 s[36:37], 0
	global_store_dword v[8:9], v13, off
.LBB54_28:
	s_andn2_b64 vcc, exec, s[36:37]
	s_cbranch_vccnz .LBB54_30
; %bb.29:
	global_store_short v[8:9], v13, off
.LBB54_30:
	s_mov_b64 s[36:37], 0
.LBB54_31:
	s_andn2_b64 vcc, exec, s[36:37]
	s_cbranch_vccnz .LBB54_36
; %bb.32:
	s_andn2_b64 vcc, exec, s[26:27]
	s_movk_i32 s36, 0x80
	s_cbranch_vccnz .LBB54_35
; %bb.33:
	s_or_b64 s[36:37], s[24:25], s[28:29]
	s_andn2_b64 vcc, exec, s[36:37]
	s_mov_b32 s36, 0
	s_cbranch_vccnz .LBB54_35
; %bb.34:
	s_and_b64 s[36:37], s[24:25], exec
	s_cselect_b32 s36, s62, s63
	s_or_b32 s36, s36, s52
.LBB54_35:
	v_mov_b32_e32 v2, s36
	global_store_byte v[8:9], v2, off
.LBB54_36:
	s_mov_b64 s[36:37], -1
.LBB54_37:
	s_branch .LBB54_59
.LBB54_38:
	s_cmp_gt_i32 s43, 22
	s_mov_b64 s[40:41], -1
	s_cbranch_scc0 .LBB54_51
; %bb.39:
	s_cmp_lt_i32 s43, 24
	s_mov_b64 s[36:37], -1
	s_cbranch_scc1 .LBB54_48
; %bb.40:
	s_cmp_gt_i32 s43, 24
	s_cbranch_scc0 .LBB54_45
; %bb.41:
	s_andn2_b64 vcc, exec, s[20:21]
	s_movk_i32 s36, 0x80
	s_cbranch_vccnz .LBB54_44
; %bb.42:
	s_or_b64 s[36:37], s[18:19], s[22:23]
	s_andn2_b64 vcc, exec, s[36:37]
	s_mov_b32 s36, 0
	s_cbranch_vccnz .LBB54_44
; %bb.43:
	s_and_b64 s[36:37], s[18:19], exec
	s_cselect_b32 s36, s59, s61
	s_or_b32 s36, s36, s52
.LBB54_44:
	v_mov_b32_e32 v2, s36
	s_mov_b64 s[36:37], 0
	global_store_byte v[8:9], v2, off
.LBB54_45:
	s_and_b64 vcc, exec, s[36:37]
	s_cbranch_vccz .LBB54_47
; %bb.46:
	s_and_b64 s[36:37], s[16:17], exec
	s_cselect_b32 s40, s58, s57
	s_and_b64 s[36:37], s[14:15], exec
	s_cselect_b32 s36, s60, s40
	s_or_b32 s36, s36, s52
	v_mov_b32_e32 v2, s36
	global_store_byte v[8:9], v2, off
.LBB54_47:
	s_mov_b64 s[36:37], 0
.LBB54_48:
	s_andn2_b64 vcc, exec, s[36:37]
	s_cbranch_vccnz .LBB54_50
; %bb.49:
	s_and_b64 s[36:37], s[12:13], exec
	s_cselect_b32 s40, s55, s54
	s_and_b64 s[36:37], s[6:7], exec
	s_cselect_b32 s36, s56, s40
	s_or_b32 s36, s36, s52
	v_mov_b32_e32 v2, s36
	global_store_byte v[8:9], v2, off
.LBB54_50:
	s_mov_b64 s[40:41], 0
	s_mov_b64 s[36:37], -1
.LBB54_51:
	s_andn2_b64 vcc, exec, s[40:41]
	s_cbranch_vccnz .LBB54_59
; %bb.52:
	s_cmp_gt_i32 s43, 14
	s_mov_b64 s[40:41], -1
	s_cbranch_scc0 .LBB54_56
; %bb.53:
	s_cmp_eq_u32 s43, 15
	s_mov_b64 s[30:31], -1
	s_cbranch_scc0 .LBB54_55
; %bb.54:
	v_mov_b32_e32 v2, s53
	global_store_short v[8:9], v2, off
	s_mov_b64 s[36:37], -1
	s_mov_b64 s[30:31], 0
.LBB54_55:
	s_mov_b64 s[40:41], 0
.LBB54_56:
	s_and_b64 vcc, exec, s[40:41]
	s_cbranch_vccz .LBB54_59
; %bb.57:
	s_cmp_eq_u32 s43, 11
	s_mov_b64 s[30:31], -1
	s_cbranch_scc0 .LBB54_59
; %bb.58:
	s_mov_b64 s[36:37], -1
	s_mov_b64 s[30:31], 0
	global_store_byte v[8:9], v12, off
.LBB54_59:
	s_branch .LBB54_10
.LBB54_60:
	s_and_b32 s40, 0xffff, s42
	s_cmp_lt_i32 s40, 5
	s_mov_b64 s[36:37], -1
	s_cbranch_scc1 .LBB54_81
; %bb.61:
	s_cmp_lt_i32 s40, 8
	s_cbranch_scc1 .LBB54_71
; %bb.62:
	s_cmp_lt_i32 s40, 9
	s_cbranch_scc1 .LBB54_68
; %bb.63:
	s_cmp_gt_i32 s40, 9
	s_cbranch_scc0 .LBB54_65
; %bb.64:
	v_mov_b32_e32 v2, 0
	v_mov_b32_e32 v3, v2
	global_store_dwordx4 v[8:9], v[0:3], off
	s_mov_b64 s[36:37], 0
.LBB54_65:
	s_andn2_b64 vcc, exec, s[36:37]
	s_cbranch_vccnz .LBB54_67
; %bb.66:
	v_mov_b32_e32 v2, s11
	v_mov_b32_e32 v3, 0
	global_store_dwordx2 v[8:9], v[2:3], off
.LBB54_67:
	s_mov_b64 s[36:37], 0
.LBB54_68:
	s_andn2_b64 vcc, exec, s[36:37]
	s_cbranch_vccnz .LBB54_70
; %bb.69:
	global_store_dword v[8:9], v11, off
.LBB54_70:
	s_mov_b64 s[36:37], 0
.LBB54_71:
	s_andn2_b64 vcc, exec, s[36:37]
	s_cbranch_vccnz .LBB54_80
; %bb.72:
	s_cmp_lt_i32 s40, 6
	s_mov_b64 s[36:37], -1
	s_cbranch_scc1 .LBB54_78
; %bb.73:
	s_cmp_gt_i32 s40, 6
	s_cbranch_scc0 .LBB54_75
; %bb.74:
	global_store_dwordx2 v[8:9], v[0:1], off
	s_mov_b64 s[36:37], 0
.LBB54_75:
	s_andn2_b64 vcc, exec, s[36:37]
	s_cbranch_vccnz .LBB54_77
; %bb.76:
	v_mov_b32_e32 v2, s11
	global_store_dword v[8:9], v2, off
.LBB54_77:
	s_mov_b64 s[36:37], 0
.LBB54_78:
	s_andn2_b64 vcc, exec, s[36:37]
	s_cbranch_vccnz .LBB54_80
; %bb.79:
	global_store_short v[8:9], v11, off
.LBB54_80:
	s_mov_b64 s[36:37], 0
.LBB54_81:
	s_andn2_b64 vcc, exec, s[36:37]
	s_cbranch_vccnz .LBB54_97
; %bb.82:
	s_cmp_lt_i32 s40, 2
	s_mov_b64 s[36:37], -1
	s_cbranch_scc1 .LBB54_92
; %bb.83:
	s_cmp_lt_i32 s40, 3
	s_cbranch_scc1 .LBB54_89
; %bb.84:
	s_cmp_gt_i32 s40, 3
	s_cbranch_scc0 .LBB54_86
; %bb.85:
	global_store_dwordx2 v[8:9], v[4:5], off
	s_mov_b64 s[36:37], 0
.LBB54_86:
	s_andn2_b64 vcc, exec, s[36:37]
	s_cbranch_vccnz .LBB54_88
; %bb.87:
	global_store_dword v[8:9], v10, off
.LBB54_88:
	s_mov_b64 s[36:37], 0
.LBB54_89:
	s_andn2_b64 vcc, exec, s[36:37]
	s_cbranch_vccnz .LBB54_91
; %bb.90:
	global_store_short v[8:9], v10, off
.LBB54_91:
	s_mov_b64 s[36:37], 0
.LBB54_92:
	s_andn2_b64 vcc, exec, s[36:37]
	s_cbranch_vccnz .LBB54_97
; %bb.93:
	s_cmp_gt_i32 s40, 0
	s_mov_b64 s[36:37], -1
	s_cbranch_scc0 .LBB54_95
; %bb.94:
	global_store_byte v[8:9], v10, off
	s_mov_b64 s[36:37], 0
.LBB54_95:
	s_andn2_b64 vcc, exec, s[36:37]
	s_cbranch_vccnz .LBB54_97
; %bb.96:
	global_store_byte v[8:9], v4, off
.LBB54_97:
	s_branch .LBB54_11
.LBB54_98:
	s_mov_b64 s[36:37], 0
                                        ; implicit-def: $vgpr15
.LBB54_99:
	s_and_b64 s[30:31], s[30:31], exec
	s_orn2_b64 s[36:37], s[36:37], exec
.LBB54_100:
	s_or_b64 exec, exec, s[34:35]
	s_mov_b64 s[40:41], 0
                                        ; implicit-def: $sgpr64
                                        ; implicit-def: $vgpr8_vgpr9
	s_and_saveexec_b64 s[34:35], s[36:37]
	s_cbranch_execz .LBB54_109
; %bb.101:
	v_cmp_gt_i32_e32 vcc, s48, v15
	s_mov_b64 s[42:43], -1
	s_mov_b64 s[36:37], s[30:31]
	s_and_saveexec_b64 s[38:39], vcc
	s_cbranch_execz .LBB54_204
; %bb.102:
	v_mul_lo_u32 v2, v15, s10
	v_mov_b32_e32 v3, s9
	s_and_b32 s44, s33, 0xff
	s_cmp_lt_i32 s44, 11
	v_ashrrev_i32_e32 v9, 31, v2
	v_add_co_u32_e32 v8, vcc, s8, v2
	v_addc_co_u32_e32 v9, vcc, v3, v9, vcc
	s_cbranch_scc1 .LBB54_112
; %bb.103:
	s_and_b32 s45, 0xffff, s44
	s_cmp_gt_i32 s45, 25
	s_cbranch_scc0 .LBB54_115
; %bb.104:
	s_cmp_gt_i32 s45, 28
	s_cbranch_scc0 .LBB54_116
; %bb.105:
	;; [unrolled: 3-line block ×4, first 2 shown]
	s_mov_b64 s[42:43], 0
	s_mov_b64 s[36:37], -1
	s_cmp_eq_u32 s45, 46
	s_cbranch_scc0 .LBB54_119
; %bb.108:
	v_mov_b32_e32 v2, s53
	global_store_dword v[8:9], v2, off
	s_mov_b64 s[40:41], -1
	s_mov_b64 s[36:37], 0
	s_branch .LBB54_119
.LBB54_109:
	s_or_b64 exec, exec, s[34:35]
	s_mov_b64 s[0:1], 0
	s_and_saveexec_b64 s[6:7], s[30:31]
	s_cbranch_execnz .LBB54_364
.LBB54_110:
	s_or_b64 exec, exec, s[6:7]
	s_and_saveexec_b64 s[6:7], s[38:39]
	s_xor_b64 s[6:7], exec, s[6:7]
	s_cbranch_execz .LBB54_365
.LBB54_111:
	global_store_byte v[8:9], v12, off
	s_or_b64 exec, exec, s[6:7]
	s_and_saveexec_b64 s[6:7], s[40:41]
	s_xor_b64 s[6:7], exec, s[6:7]
	s_cbranch_execz .LBB54_403
	s_branch .LBB54_366
.LBB54_112:
	s_mov_b64 s[36:37], s[30:31]
	s_and_b64 vcc, exec, s[42:43]
	s_cbranch_vccnz .LBB54_164
.LBB54_113:
	s_andn2_b64 vcc, exec, s[40:41]
	s_cbranch_vccnz .LBB54_202
.LBB54_114:
	v_add_u32_e32 v15, 0x80, v15
	s_mov_b64 s[40:41], -1
	s_branch .LBB54_203
.LBB54_115:
	s_mov_b64 s[36:37], s[30:31]
	s_branch .LBB54_141
.LBB54_116:
	s_mov_b64 s[36:37], s[30:31]
	s_branch .LBB54_127
.LBB54_117:
	s_mov_b64 s[36:37], s[30:31]
	s_branch .LBB54_123
.LBB54_118:
	s_mov_b64 s[36:37], s[30:31]
.LBB54_119:
	s_and_b64 vcc, exec, s[42:43]
	s_cbranch_vccz .LBB54_122
; %bb.120:
	s_cmp_eq_u32 s45, 44
	s_mov_b64 s[36:37], -1
	s_cbranch_scc0 .LBB54_122
; %bb.121:
	v_mov_b32_e32 v2, 0xffff
	v_cndmask_b32_e64 v2, v14, v2, s[0:1]
	s_mov_b64 s[40:41], -1
	s_mov_b64 s[36:37], 0
	global_store_byte v[8:9], v2, off
.LBB54_122:
	s_mov_b64 s[42:43], 0
.LBB54_123:
	s_and_b64 vcc, exec, s[42:43]
	s_cbranch_vccz .LBB54_126
; %bb.124:
	s_cmp_eq_u32 s45, 29
	s_mov_b64 s[36:37], -1
	s_cbranch_scc0 .LBB54_126
; %bb.125:
	global_store_dwordx2 v[8:9], v[6:7], off
	s_mov_b64 s[40:41], -1
	s_mov_b64 s[36:37], 0
.LBB54_126:
	s_mov_b64 s[42:43], 0
.LBB54_127:
	s_and_b64 vcc, exec, s[42:43]
	s_cbranch_vccz .LBB54_140
; %bb.128:
	s_cmp_lt_i32 s45, 27
	s_mov_b64 s[40:41], -1
	s_cbranch_scc1 .LBB54_134
; %bb.129:
	s_cmp_gt_i32 s45, 27
	s_cbranch_scc0 .LBB54_131
; %bb.130:
	s_mov_b64 s[40:41], 0
	global_store_dword v[8:9], v13, off
.LBB54_131:
	s_andn2_b64 vcc, exec, s[40:41]
	s_cbranch_vccnz .LBB54_133
; %bb.132:
	global_store_short v[8:9], v13, off
.LBB54_133:
	s_mov_b64 s[40:41], 0
.LBB54_134:
	s_andn2_b64 vcc, exec, s[40:41]
	s_cbranch_vccnz .LBB54_139
; %bb.135:
	s_andn2_b64 vcc, exec, s[26:27]
	s_movk_i32 s40, 0x80
	s_cbranch_vccnz .LBB54_138
; %bb.136:
	s_or_b64 s[40:41], s[24:25], s[28:29]
	s_andn2_b64 vcc, exec, s[40:41]
	s_mov_b32 s40, 0
	s_cbranch_vccnz .LBB54_138
; %bb.137:
	s_and_b64 s[40:41], s[24:25], exec
	s_cselect_b32 s40, s62, s63
	s_or_b32 s40, s40, s52
.LBB54_138:
	v_mov_b32_e32 v2, s40
	global_store_byte v[8:9], v2, off
.LBB54_139:
	s_mov_b64 s[40:41], -1
.LBB54_140:
	s_mov_b64 s[42:43], 0
.LBB54_141:
	s_and_b64 vcc, exec, s[42:43]
	s_cbranch_vccz .LBB54_163
; %bb.142:
	s_cmp_gt_i32 s45, 22
	s_mov_b64 s[42:43], -1
	s_cbranch_scc0 .LBB54_155
; %bb.143:
	s_cmp_lt_i32 s45, 24
	s_mov_b64 s[40:41], -1
	s_cbranch_scc1 .LBB54_152
; %bb.144:
	s_cmp_gt_i32 s45, 24
	s_cbranch_scc0 .LBB54_149
; %bb.145:
	s_andn2_b64 vcc, exec, s[20:21]
	s_movk_i32 s40, 0x80
	s_cbranch_vccnz .LBB54_148
; %bb.146:
	s_or_b64 s[40:41], s[18:19], s[22:23]
	s_andn2_b64 vcc, exec, s[40:41]
	s_mov_b32 s40, 0
	s_cbranch_vccnz .LBB54_148
; %bb.147:
	s_and_b64 s[40:41], s[18:19], exec
	s_cselect_b32 s40, s59, s61
	s_or_b32 s40, s40, s52
.LBB54_148:
	v_mov_b32_e32 v2, s40
	s_mov_b64 s[40:41], 0
	global_store_byte v[8:9], v2, off
.LBB54_149:
	s_and_b64 vcc, exec, s[40:41]
	s_cbranch_vccz .LBB54_151
; %bb.150:
	s_and_b64 s[40:41], s[16:17], exec
	s_cselect_b32 s42, s58, s57
	s_and_b64 s[40:41], s[14:15], exec
	s_cselect_b32 s40, s60, s42
	s_or_b32 s40, s40, s52
	v_mov_b32_e32 v2, s40
	global_store_byte v[8:9], v2, off
.LBB54_151:
	s_mov_b64 s[40:41], 0
.LBB54_152:
	s_andn2_b64 vcc, exec, s[40:41]
	s_cbranch_vccnz .LBB54_154
; %bb.153:
	s_and_b64 s[40:41], s[12:13], exec
	s_cselect_b32 s42, s55, s54
	s_and_b64 s[40:41], s[6:7], exec
	s_cselect_b32 s40, s56, s42
	s_or_b32 s40, s40, s52
	v_mov_b32_e32 v2, s40
	global_store_byte v[8:9], v2, off
.LBB54_154:
	s_mov_b64 s[42:43], 0
	s_mov_b64 s[40:41], -1
.LBB54_155:
	s_andn2_b64 vcc, exec, s[42:43]
	s_cbranch_vccnz .LBB54_163
; %bb.156:
	s_cmp_gt_i32 s45, 14
	s_mov_b64 s[42:43], -1
	s_cbranch_scc0 .LBB54_160
; %bb.157:
	s_cmp_eq_u32 s45, 15
	s_mov_b64 s[36:37], -1
	s_cbranch_scc0 .LBB54_159
; %bb.158:
	v_mov_b32_e32 v2, s53
	global_store_short v[8:9], v2, off
	s_mov_b64 s[40:41], -1
	s_mov_b64 s[36:37], 0
.LBB54_159:
	s_mov_b64 s[42:43], 0
.LBB54_160:
	s_and_b64 vcc, exec, s[42:43]
	s_cbranch_vccz .LBB54_163
; %bb.161:
	s_cmp_eq_u32 s45, 11
	s_mov_b64 s[36:37], -1
	s_cbranch_scc0 .LBB54_163
; %bb.162:
	s_mov_b64 s[40:41], -1
	s_mov_b64 s[36:37], 0
	global_store_byte v[8:9], v12, off
.LBB54_163:
	s_branch .LBB54_113
.LBB54_164:
	s_and_b32 s42, 0xffff, s44
	s_cmp_lt_i32 s42, 5
	s_mov_b64 s[40:41], -1
	s_cbranch_scc1 .LBB54_185
; %bb.165:
	s_cmp_lt_i32 s42, 8
	s_cbranch_scc1 .LBB54_175
; %bb.166:
	s_cmp_lt_i32 s42, 9
	s_cbranch_scc1 .LBB54_172
; %bb.167:
	s_cmp_gt_i32 s42, 9
	s_cbranch_scc0 .LBB54_169
; %bb.168:
	v_mov_b32_e32 v2, 0
	v_mov_b32_e32 v3, v2
	s_mov_b64 s[40:41], 0
	global_store_dwordx4 v[8:9], v[0:3], off
.LBB54_169:
	s_andn2_b64 vcc, exec, s[40:41]
	s_cbranch_vccnz .LBB54_171
; %bb.170:
	v_mov_b32_e32 v2, s11
	v_mov_b32_e32 v3, 0
	global_store_dwordx2 v[8:9], v[2:3], off
.LBB54_171:
	s_mov_b64 s[40:41], 0
.LBB54_172:
	s_andn2_b64 vcc, exec, s[40:41]
	s_cbranch_vccnz .LBB54_174
; %bb.173:
	global_store_dword v[8:9], v11, off
.LBB54_174:
	s_mov_b64 s[40:41], 0
.LBB54_175:
	s_andn2_b64 vcc, exec, s[40:41]
	s_cbranch_vccnz .LBB54_184
; %bb.176:
	s_cmp_lt_i32 s42, 6
	s_mov_b64 s[40:41], -1
	s_cbranch_scc1 .LBB54_182
; %bb.177:
	s_cmp_gt_i32 s42, 6
	s_cbranch_scc0 .LBB54_179
; %bb.178:
	s_mov_b64 s[40:41], 0
	global_store_dwordx2 v[8:9], v[0:1], off
.LBB54_179:
	s_andn2_b64 vcc, exec, s[40:41]
	s_cbranch_vccnz .LBB54_181
; %bb.180:
	v_mov_b32_e32 v2, s11
	global_store_dword v[8:9], v2, off
.LBB54_181:
	s_mov_b64 s[40:41], 0
.LBB54_182:
	s_andn2_b64 vcc, exec, s[40:41]
	s_cbranch_vccnz .LBB54_184
; %bb.183:
	global_store_short v[8:9], v11, off
.LBB54_184:
	s_mov_b64 s[40:41], 0
.LBB54_185:
	s_andn2_b64 vcc, exec, s[40:41]
	s_cbranch_vccnz .LBB54_201
; %bb.186:
	s_cmp_lt_i32 s42, 2
	s_mov_b64 s[40:41], -1
	s_cbranch_scc1 .LBB54_196
; %bb.187:
	s_cmp_lt_i32 s42, 3
	s_cbranch_scc1 .LBB54_193
; %bb.188:
	s_cmp_gt_i32 s42, 3
	s_cbranch_scc0 .LBB54_190
; %bb.189:
	s_mov_b64 s[40:41], 0
	global_store_dwordx2 v[8:9], v[4:5], off
.LBB54_190:
	s_andn2_b64 vcc, exec, s[40:41]
	s_cbranch_vccnz .LBB54_192
; %bb.191:
	global_store_dword v[8:9], v10, off
.LBB54_192:
	s_mov_b64 s[40:41], 0
.LBB54_193:
	s_andn2_b64 vcc, exec, s[40:41]
	s_cbranch_vccnz .LBB54_195
; %bb.194:
	global_store_short v[8:9], v10, off
.LBB54_195:
	s_mov_b64 s[40:41], 0
.LBB54_196:
	s_andn2_b64 vcc, exec, s[40:41]
	s_cbranch_vccnz .LBB54_201
; %bb.197:
	s_cmp_gt_i32 s42, 0
	s_mov_b64 s[40:41], -1
	s_cbranch_scc0 .LBB54_199
; %bb.198:
	s_mov_b64 s[40:41], 0
	global_store_byte v[8:9], v10, off
.LBB54_199:
	s_andn2_b64 vcc, exec, s[40:41]
	s_cbranch_vccnz .LBB54_201
; %bb.200:
	global_store_byte v[8:9], v4, off
.LBB54_201:
	s_branch .LBB54_114
.LBB54_202:
	s_mov_b64 s[40:41], 0
                                        ; implicit-def: $vgpr15
.LBB54_203:
	s_andn2_b64 s[42:43], s[30:31], exec
	s_and_b64 s[36:37], s[36:37], exec
	s_or_b64 s[36:37], s[42:43], s[36:37]
	s_orn2_b64 s[42:43], s[40:41], exec
.LBB54_204:
	s_or_b64 exec, exec, s[38:39]
	s_mov_b64 s[44:45], 0
	s_mov_b64 s[40:41], 0
                                        ; implicit-def: $sgpr64
                                        ; implicit-def: $vgpr8_vgpr9
	s_and_saveexec_b64 s[38:39], s[42:43]
	s_cbranch_execz .LBB54_363
; %bb.205:
	v_cmp_gt_i32_e32 vcc, s48, v15
	s_mov_b64 s[46:47], -1
	s_mov_b64 s[42:43], s[36:37]
	s_and_saveexec_b64 s[40:41], vcc
	s_cbranch_execz .LBB54_306
; %bb.206:
	v_mul_lo_u32 v2, v15, s10
	v_mov_b32_e32 v3, s9
	s_and_b32 s49, s33, 0xff
	s_cmp_lt_i32 s49, 11
	v_ashrrev_i32_e32 v9, 31, v2
	v_add_co_u32_e32 v8, vcc, s8, v2
	v_addc_co_u32_e32 v9, vcc, v3, v9, vcc
	s_cbranch_scc1 .LBB54_213
; %bb.207:
	s_and_b32 s50, 0xffff, s49
	s_cmp_gt_i32 s50, 25
	s_cbranch_scc0 .LBB54_214
; %bb.208:
	s_cmp_gt_i32 s50, 28
	s_cbranch_scc0 .LBB54_215
; %bb.209:
	;; [unrolled: 3-line block ×4, first 2 shown]
	s_mov_b64 s[46:47], 0
	s_mov_b64 s[42:43], -1
	s_cmp_eq_u32 s50, 46
	s_cbranch_scc0 .LBB54_218
; %bb.212:
	v_mov_b32_e32 v2, s53
	global_store_dword v[8:9], v2, off
	s_mov_b64 s[44:45], -1
	s_mov_b64 s[42:43], 0
	s_branch .LBB54_218
.LBB54_213:
	s_mov_b64 s[42:43], s[36:37]
	s_branch .LBB54_263
.LBB54_214:
	s_mov_b64 s[42:43], s[36:37]
	s_branch .LBB54_240
.LBB54_215:
	s_mov_b64 s[42:43], s[36:37]
	s_branch .LBB54_226
.LBB54_216:
	s_mov_b64 s[42:43], s[36:37]
	s_branch .LBB54_222
.LBB54_217:
	s_mov_b64 s[42:43], s[36:37]
.LBB54_218:
	s_and_b64 vcc, exec, s[46:47]
	s_cbranch_vccz .LBB54_221
; %bb.219:
	s_cmp_eq_u32 s50, 44
	s_mov_b64 s[42:43], -1
	s_cbranch_scc0 .LBB54_221
; %bb.220:
	v_mov_b32_e32 v2, 0xffff
	v_cndmask_b32_e64 v2, v14, v2, s[0:1]
	s_mov_b64 s[44:45], -1
	s_mov_b64 s[42:43], 0
	global_store_byte v[8:9], v2, off
.LBB54_221:
	s_mov_b64 s[46:47], 0
.LBB54_222:
	s_and_b64 vcc, exec, s[46:47]
	s_cbranch_vccz .LBB54_225
; %bb.223:
	s_cmp_eq_u32 s50, 29
	s_mov_b64 s[42:43], -1
	s_cbranch_scc0 .LBB54_225
; %bb.224:
	global_store_dwordx2 v[8:9], v[6:7], off
	s_mov_b64 s[44:45], -1
	s_mov_b64 s[42:43], 0
.LBB54_225:
	s_mov_b64 s[46:47], 0
.LBB54_226:
	s_and_b64 vcc, exec, s[46:47]
	s_cbranch_vccz .LBB54_239
; %bb.227:
	s_cmp_lt_i32 s50, 27
	s_mov_b64 s[44:45], -1
	s_cbranch_scc1 .LBB54_233
; %bb.228:
	s_cmp_gt_i32 s50, 27
	s_cbranch_scc0 .LBB54_230
; %bb.229:
	s_mov_b64 s[44:45], 0
	global_store_dword v[8:9], v13, off
.LBB54_230:
	s_andn2_b64 vcc, exec, s[44:45]
	s_cbranch_vccnz .LBB54_232
; %bb.231:
	global_store_short v[8:9], v13, off
.LBB54_232:
	s_mov_b64 s[44:45], 0
.LBB54_233:
	s_andn2_b64 vcc, exec, s[44:45]
	s_cbranch_vccnz .LBB54_238
; %bb.234:
	s_andn2_b64 vcc, exec, s[26:27]
	s_movk_i32 s44, 0x80
	s_cbranch_vccnz .LBB54_237
; %bb.235:
	s_or_b64 s[44:45], s[24:25], s[28:29]
	s_andn2_b64 vcc, exec, s[44:45]
	s_mov_b32 s44, 0
	s_cbranch_vccnz .LBB54_237
; %bb.236:
	s_and_b64 s[44:45], s[24:25], exec
	s_cselect_b32 s44, s62, s63
	s_or_b32 s44, s44, s52
.LBB54_237:
	v_mov_b32_e32 v2, s44
	global_store_byte v[8:9], v2, off
.LBB54_238:
	s_mov_b64 s[44:45], -1
.LBB54_239:
	s_mov_b64 s[46:47], 0
.LBB54_240:
	s_and_b64 vcc, exec, s[46:47]
	s_cbranch_vccz .LBB54_262
; %bb.241:
	s_cmp_gt_i32 s50, 22
	s_mov_b64 s[46:47], -1
	s_cbranch_scc0 .LBB54_254
; %bb.242:
	s_cmp_lt_i32 s50, 24
	s_mov_b64 s[44:45], -1
	s_cbranch_scc1 .LBB54_251
; %bb.243:
	s_cmp_gt_i32 s50, 24
	s_cbranch_scc0 .LBB54_248
; %bb.244:
	s_andn2_b64 vcc, exec, s[20:21]
	s_movk_i32 s44, 0x80
	s_cbranch_vccnz .LBB54_247
; %bb.245:
	s_or_b64 s[44:45], s[18:19], s[22:23]
	s_andn2_b64 vcc, exec, s[44:45]
	s_mov_b32 s44, 0
	s_cbranch_vccnz .LBB54_247
; %bb.246:
	s_and_b64 s[44:45], s[18:19], exec
	s_cselect_b32 s44, s59, s61
	s_or_b32 s44, s44, s52
.LBB54_247:
	v_mov_b32_e32 v2, s44
	s_mov_b64 s[44:45], 0
	global_store_byte v[8:9], v2, off
.LBB54_248:
	s_and_b64 vcc, exec, s[44:45]
	s_cbranch_vccz .LBB54_250
; %bb.249:
	s_and_b64 s[44:45], s[16:17], exec
	s_cselect_b32 s46, s58, s57
	s_and_b64 s[44:45], s[14:15], exec
	s_cselect_b32 s44, s60, s46
	s_or_b32 s44, s44, s52
	v_mov_b32_e32 v2, s44
	global_store_byte v[8:9], v2, off
.LBB54_250:
	s_mov_b64 s[44:45], 0
.LBB54_251:
	s_andn2_b64 vcc, exec, s[44:45]
	s_cbranch_vccnz .LBB54_253
; %bb.252:
	s_and_b64 s[44:45], s[12:13], exec
	s_cselect_b32 s46, s55, s54
	s_and_b64 s[44:45], s[6:7], exec
	s_cselect_b32 s44, s56, s46
	s_or_b32 s44, s44, s52
	v_mov_b32_e32 v2, s44
	global_store_byte v[8:9], v2, off
.LBB54_253:
	s_mov_b64 s[46:47], 0
	s_mov_b64 s[44:45], -1
.LBB54_254:
	s_andn2_b64 vcc, exec, s[46:47]
	s_cbranch_vccnz .LBB54_262
; %bb.255:
	s_cmp_gt_i32 s50, 14
	s_mov_b64 s[46:47], -1
	s_cbranch_scc0 .LBB54_259
; %bb.256:
	s_cmp_eq_u32 s50, 15
	s_mov_b64 s[42:43], -1
	s_cbranch_scc0 .LBB54_258
; %bb.257:
	v_mov_b32_e32 v2, s53
	global_store_short v[8:9], v2, off
	s_mov_b64 s[44:45], -1
	s_mov_b64 s[42:43], 0
.LBB54_258:
	s_mov_b64 s[46:47], 0
.LBB54_259:
	s_and_b64 vcc, exec, s[46:47]
	s_cbranch_vccz .LBB54_262
; %bb.260:
	s_cmp_eq_u32 s50, 11
	s_mov_b64 s[42:43], -1
	s_cbranch_scc0 .LBB54_262
; %bb.261:
	s_mov_b64 s[44:45], -1
	s_mov_b64 s[42:43], 0
	global_store_byte v[8:9], v12, off
.LBB54_262:
	s_mov_b64 s[46:47], 0
.LBB54_263:
	s_and_b64 vcc, exec, s[46:47]
	s_cbranch_vccz .LBB54_302
; %bb.264:
	s_and_b32 s46, 0xffff, s49
	s_cmp_lt_i32 s46, 5
	s_mov_b64 s[44:45], -1
	s_cbranch_scc1 .LBB54_285
; %bb.265:
	s_cmp_lt_i32 s46, 8
	s_cbranch_scc1 .LBB54_275
; %bb.266:
	s_cmp_lt_i32 s46, 9
	s_cbranch_scc1 .LBB54_272
; %bb.267:
	s_cmp_gt_i32 s46, 9
	s_cbranch_scc0 .LBB54_269
; %bb.268:
	v_mov_b32_e32 v2, 0
	v_mov_b32_e32 v3, v2
	s_mov_b64 s[44:45], 0
	global_store_dwordx4 v[8:9], v[0:3], off
.LBB54_269:
	s_andn2_b64 vcc, exec, s[44:45]
	s_cbranch_vccnz .LBB54_271
; %bb.270:
	v_mov_b32_e32 v2, s11
	v_mov_b32_e32 v3, 0
	global_store_dwordx2 v[8:9], v[2:3], off
.LBB54_271:
	s_mov_b64 s[44:45], 0
.LBB54_272:
	s_andn2_b64 vcc, exec, s[44:45]
	s_cbranch_vccnz .LBB54_274
; %bb.273:
	global_store_dword v[8:9], v11, off
.LBB54_274:
	s_mov_b64 s[44:45], 0
.LBB54_275:
	s_andn2_b64 vcc, exec, s[44:45]
	s_cbranch_vccnz .LBB54_284
; %bb.276:
	s_cmp_lt_i32 s46, 6
	s_mov_b64 s[44:45], -1
	s_cbranch_scc1 .LBB54_282
; %bb.277:
	s_cmp_gt_i32 s46, 6
	s_cbranch_scc0 .LBB54_279
; %bb.278:
	s_mov_b64 s[44:45], 0
	global_store_dwordx2 v[8:9], v[0:1], off
.LBB54_279:
	s_andn2_b64 vcc, exec, s[44:45]
	s_cbranch_vccnz .LBB54_281
; %bb.280:
	v_mov_b32_e32 v2, s11
	global_store_dword v[8:9], v2, off
.LBB54_281:
	s_mov_b64 s[44:45], 0
.LBB54_282:
	s_andn2_b64 vcc, exec, s[44:45]
	s_cbranch_vccnz .LBB54_284
; %bb.283:
	global_store_short v[8:9], v11, off
.LBB54_284:
	s_mov_b64 s[44:45], 0
.LBB54_285:
	s_andn2_b64 vcc, exec, s[44:45]
	s_cbranch_vccnz .LBB54_301
; %bb.286:
	s_cmp_lt_i32 s46, 2
	s_mov_b64 s[44:45], -1
	s_cbranch_scc1 .LBB54_296
; %bb.287:
	s_cmp_lt_i32 s46, 3
	s_cbranch_scc1 .LBB54_293
; %bb.288:
	s_cmp_gt_i32 s46, 3
	s_cbranch_scc0 .LBB54_290
; %bb.289:
	s_mov_b64 s[44:45], 0
	global_store_dwordx2 v[8:9], v[4:5], off
.LBB54_290:
	s_andn2_b64 vcc, exec, s[44:45]
	s_cbranch_vccnz .LBB54_292
; %bb.291:
	global_store_dword v[8:9], v10, off
.LBB54_292:
	s_mov_b64 s[44:45], 0
.LBB54_293:
	s_andn2_b64 vcc, exec, s[44:45]
	s_cbranch_vccnz .LBB54_295
; %bb.294:
	global_store_short v[8:9], v10, off
.LBB54_295:
	s_mov_b64 s[44:45], 0
.LBB54_296:
	s_andn2_b64 vcc, exec, s[44:45]
	s_cbranch_vccnz .LBB54_301
; %bb.297:
	s_cmp_gt_i32 s46, 0
	s_mov_b64 s[44:45], -1
	s_cbranch_scc0 .LBB54_299
; %bb.298:
	s_mov_b64 s[44:45], 0
	global_store_byte v[8:9], v10, off
.LBB54_299:
	s_andn2_b64 vcc, exec, s[44:45]
	s_cbranch_vccnz .LBB54_301
; %bb.300:
	global_store_byte v[8:9], v4, off
.LBB54_301:
	s_mov_b64 s[44:45], -1
.LBB54_302:
	s_andn2_b64 vcc, exec, s[44:45]
	s_cbranch_vccnz .LBB54_304
; %bb.303:
	v_add_u32_e32 v15, 0x80, v15
	s_mov_b64 s[44:45], -1
	s_branch .LBB54_305
.LBB54_304:
	s_mov_b64 s[44:45], 0
                                        ; implicit-def: $vgpr15
.LBB54_305:
	s_andn2_b64 s[46:47], s[36:37], exec
	s_and_b64 s[42:43], s[42:43], exec
	s_or_b64 s[42:43], s[46:47], s[42:43]
	s_orn2_b64 s[46:47], s[44:45], exec
.LBB54_306:
	s_or_b64 exec, exec, s[40:41]
	s_mov_b64 s[44:45], 0
	s_mov_b64 s[50:51], 0
                                        ; implicit-def: $sgpr64
                                        ; implicit-def: $vgpr8_vgpr9
	s_and_saveexec_b64 s[40:41], s[46:47]
	s_cbranch_execz .LBB54_362
; %bb.307:
	v_cmp_gt_i32_e32 vcc, s48, v15
	s_mov_b64 s[48:49], 0
	s_mov_b64 s[46:47], s[42:43]
                                        ; implicit-def: $sgpr64
                                        ; implicit-def: $vgpr8_vgpr9
	s_and_saveexec_b64 s[44:45], vcc
	s_cbranch_execz .LBB54_361
; %bb.308:
	v_mul_lo_u32 v2, v15, s10
	v_mov_b32_e32 v3, s9
	s_and_b32 s64, s33, 0xff
	s_cmp_lt_i32 s64, 11
	v_ashrrev_i32_e32 v9, 31, v2
	v_add_co_u32_e32 v8, vcc, s8, v2
	v_addc_co_u32_e32 v9, vcc, v3, v9, vcc
	s_cbranch_scc1 .LBB54_358
; %bb.309:
	s_and_b32 s50, 0xffff, s64
	s_mov_b64 s[48:49], -1
	s_cmp_gt_i32 s50, 25
	s_mov_b64 s[46:47], s[42:43]
	s_cbranch_scc0 .LBB54_337
; %bb.310:
	s_cmp_gt_i32 s50, 28
	s_mov_b64 s[46:47], s[42:43]
	s_cbranch_scc0 .LBB54_324
; %bb.311:
	;; [unrolled: 4-line block ×4, first 2 shown]
	s_cmp_eq_u32 s50, 46
	s_mov_b64 s[46:47], -1
	s_cbranch_scc0 .LBB54_315
; %bb.314:
	v_mov_b32_e32 v2, s53
	global_store_dword v[8:9], v2, off
	s_mov_b64 s[46:47], 0
.LBB54_315:
	s_mov_b64 s[48:49], 0
.LBB54_316:
	s_and_b64 vcc, exec, s[48:49]
	s_cbranch_vccz .LBB54_319
; %bb.317:
	s_cmp_eq_u32 s50, 44
	s_mov_b64 s[46:47], -1
	s_cbranch_scc0 .LBB54_319
; %bb.318:
	v_mov_b32_e32 v2, 0xffff
	v_cndmask_b32_e64 v2, v14, v2, s[0:1]
	global_store_byte v[8:9], v2, off
	s_mov_b64 s[46:47], 0
.LBB54_319:
	s_mov_b64 s[48:49], 0
.LBB54_320:
	s_and_b64 vcc, exec, s[48:49]
	s_cbranch_vccz .LBB54_323
; %bb.321:
	s_cmp_eq_u32 s50, 29
	s_mov_b64 s[46:47], -1
	s_cbranch_scc0 .LBB54_323
; %bb.322:
	global_store_dwordx2 v[8:9], v[6:7], off
	s_mov_b64 s[46:47], 0
.LBB54_323:
	s_mov_b64 s[48:49], 0
.LBB54_324:
	s_and_b64 vcc, exec, s[48:49]
	s_cbranch_vccz .LBB54_336
; %bb.325:
	s_cmp_lt_i32 s50, 27
	s_mov_b64 s[0:1], -1
	s_cbranch_scc1 .LBB54_331
; %bb.326:
	s_cmp_gt_i32 s50, 27
	s_cbranch_scc0 .LBB54_328
; %bb.327:
	s_mov_b64 s[0:1], 0
	global_store_dword v[8:9], v13, off
.LBB54_328:
	s_andn2_b64 vcc, exec, s[0:1]
	s_cbranch_vccnz .LBB54_330
; %bb.329:
	global_store_short v[8:9], v13, off
.LBB54_330:
	s_mov_b64 s[0:1], 0
.LBB54_331:
	s_andn2_b64 vcc, exec, s[0:1]
	s_cbranch_vccnz .LBB54_336
; %bb.332:
	s_andn2_b64 vcc, exec, s[26:27]
	s_movk_i32 s0, 0x80
	s_cbranch_vccnz .LBB54_335
; %bb.333:
	s_or_b64 s[0:1], s[24:25], s[28:29]
	s_andn2_b64 vcc, exec, s[0:1]
	s_mov_b32 s0, 0
	s_cbranch_vccnz .LBB54_335
; %bb.334:
	s_and_b64 s[0:1], s[24:25], exec
	s_cselect_b32 s0, s62, s63
	s_or_b32 s0, s0, s52
.LBB54_335:
	v_mov_b32_e32 v2, s0
	global_store_byte v[8:9], v2, off
.LBB54_336:
	s_mov_b64 s[48:49], 0
.LBB54_337:
	s_mov_b64 s[0:1], 0
	s_and_b64 vcc, exec, s[48:49]
	s_cbranch_vccz .LBB54_359
; %bb.338:
	s_cmp_gt_i32 s50, 22
	s_mov_b64 s[24:25], -1
	s_cbranch_scc0 .LBB54_351
; %bb.339:
	s_cmp_lt_i32 s50, 24
	s_cbranch_scc1 .LBB54_348
; %bb.340:
	s_cmp_gt_i32 s50, 24
	s_cbranch_scc0 .LBB54_345
; %bb.341:
	s_andn2_b64 vcc, exec, s[20:21]
	s_movk_i32 s20, 0x80
	s_cbranch_vccnz .LBB54_344
; %bb.342:
	s_or_b64 s[20:21], s[18:19], s[22:23]
	s_andn2_b64 vcc, exec, s[20:21]
	s_mov_b32 s20, 0
	s_cbranch_vccnz .LBB54_344
; %bb.343:
	s_and_b64 s[18:19], s[18:19], exec
	s_cselect_b32 s18, s59, s61
	s_or_b32 s20, s18, s52
.LBB54_344:
	v_mov_b32_e32 v2, s20
	s_mov_b64 s[24:25], 0
	global_store_byte v[8:9], v2, off
.LBB54_345:
	s_and_b64 vcc, exec, s[24:25]
	s_cbranch_vccz .LBB54_347
; %bb.346:
	s_and_b64 s[16:17], s[16:17], exec
	s_cselect_b32 s16, s58, s57
	s_and_b64 s[14:15], s[14:15], exec
	s_cselect_b32 s14, s60, s16
	s_or_b32 s14, s14, s52
	v_mov_b32_e32 v2, s14
	global_store_byte v[8:9], v2, off
.LBB54_347:
	s_mov_b64 s[24:25], 0
.LBB54_348:
	s_andn2_b64 vcc, exec, s[24:25]
	s_cbranch_vccnz .LBB54_350
; %bb.349:
	s_and_b64 s[12:13], s[12:13], exec
	s_cselect_b32 s12, s55, s54
	s_and_b64 s[6:7], s[6:7], exec
	s_cselect_b32 s6, s56, s12
	s_or_b32 s6, s6, s52
	v_mov_b32_e32 v2, s6
	global_store_byte v[8:9], v2, off
.LBB54_350:
	s_mov_b64 s[24:25], 0
.LBB54_351:
	s_andn2_b64 vcc, exec, s[24:25]
	s_mov_b64 s[6:7], 0
	s_cbranch_vccnz .LBB54_360
; %bb.352:
	s_cmp_gt_i32 s50, 14
	s_mov_b64 s[12:13], -1
	s_cbranch_scc0 .LBB54_356
; %bb.353:
	s_cmp_eq_u32 s50, 15
	s_mov_b64 s[46:47], -1
	s_cbranch_scc0 .LBB54_355
; %bb.354:
	v_mov_b32_e32 v2, s53
	global_store_short v[8:9], v2, off
	s_mov_b64 s[46:47], 0
.LBB54_355:
	s_mov_b64 s[12:13], 0
.LBB54_356:
	s_and_b64 vcc, exec, s[12:13]
	s_cbranch_vccz .LBB54_360
; %bb.357:
	s_cmp_lg_u32 s50, 11
	s_cselect_b64 s[12:13], -1, 0
	s_andn2_b64 s[14:15], s[46:47], exec
	s_and_b64 s[12:13], s[12:13], exec
	s_mov_b64 s[6:7], -1
	s_or_b64 s[46:47], s[14:15], s[12:13]
	s_branch .LBB54_360
.LBB54_358:
	s_mov_b64 s[6:7], 0
	s_mov_b64 s[0:1], -1
	s_mov_b64 s[46:47], s[42:43]
	s_branch .LBB54_360
.LBB54_359:
	s_mov_b64 s[6:7], 0
.LBB54_360:
	s_and_b64 s[50:51], s[0:1], exec
	s_and_b64 s[48:49], s[6:7], exec
	s_andn2_b64 s[0:1], s[42:43], exec
	s_and_b64 s[6:7], s[46:47], exec
	s_or_b64 s[46:47], s[0:1], s[6:7]
.LBB54_361:
	s_or_b64 exec, exec, s[44:45]
	s_andn2_b64 s[0:1], s[42:43], exec
	s_and_b64 s[6:7], s[46:47], exec
	s_and_b64 s[50:51], s[50:51], exec
	;; [unrolled: 1-line block ×3, first 2 shown]
	s_or_b64 s[42:43], s[0:1], s[6:7]
.LBB54_362:
	s_or_b64 exec, exec, s[40:41]
	s_andn2_b64 s[0:1], s[36:37], exec
	s_and_b64 s[6:7], s[42:43], exec
	s_and_b64 s[40:41], s[50:51], exec
	s_and_b64 s[44:45], s[44:45], exec
	s_or_b64 s[36:37], s[0:1], s[6:7]
.LBB54_363:
	s_or_b64 exec, exec, s[38:39]
	s_andn2_b64 s[0:1], s[30:31], exec
	s_and_b64 s[6:7], s[36:37], exec
	s_and_b64 s[40:41], s[40:41], exec
	;; [unrolled: 1-line block ×3, first 2 shown]
	s_or_b64 s[30:31], s[0:1], s[6:7]
	s_or_b64 exec, exec, s[34:35]
	s_mov_b64 s[0:1], 0
	s_and_saveexec_b64 s[6:7], s[30:31]
	s_cbranch_execz .LBB54_110
.LBB54_364:
	s_mov_b64 s[0:1], exec
	s_andn2_b64 s[38:39], s[38:39], exec
	s_trap 2
	s_or_b64 exec, exec, s[6:7]
	s_and_saveexec_b64 s[6:7], s[38:39]
	s_xor_b64 s[6:7], exec, s[6:7]
	s_cbranch_execnz .LBB54_111
.LBB54_365:
	s_or_b64 exec, exec, s[6:7]
	s_and_saveexec_b64 s[6:7], s[40:41]
	s_xor_b64 s[6:7], exec, s[6:7]
	s_cbranch_execz .LBB54_403
.LBB54_366:
	s_sext_i32_i16 s14, s64
	s_cmp_lt_i32 s14, 5
	s_mov_b64 s[12:13], -1
	s_cbranch_scc1 .LBB54_387
; %bb.367:
	s_cmp_lt_i32 s14, 8
	s_cbranch_scc1 .LBB54_377
; %bb.368:
	s_cmp_lt_i32 s14, 9
	s_cbranch_scc1 .LBB54_374
; %bb.369:
	s_cmp_gt_i32 s14, 9
	s_cbranch_scc0 .LBB54_371
; %bb.370:
	v_mov_b32_e32 v2, 0
	v_mov_b32_e32 v3, v2
	s_mov_b64 s[12:13], 0
	global_store_dwordx4 v[8:9], v[0:3], off
.LBB54_371:
	s_andn2_b64 vcc, exec, s[12:13]
	s_cbranch_vccnz .LBB54_373
; %bb.372:
	v_mov_b32_e32 v2, s11
	v_mov_b32_e32 v3, 0
	global_store_dwordx2 v[8:9], v[2:3], off
.LBB54_373:
	s_mov_b64 s[12:13], 0
.LBB54_374:
	s_andn2_b64 vcc, exec, s[12:13]
	s_cbranch_vccnz .LBB54_376
; %bb.375:
	global_store_dword v[8:9], v11, off
.LBB54_376:
	s_mov_b64 s[12:13], 0
.LBB54_377:
	s_andn2_b64 vcc, exec, s[12:13]
	s_cbranch_vccnz .LBB54_386
; %bb.378:
	s_sext_i32_i16 s14, s64
	s_cmp_lt_i32 s14, 6
	s_mov_b64 s[12:13], -1
	s_cbranch_scc1 .LBB54_384
; %bb.379:
	s_cmp_gt_i32 s14, 6
	s_cbranch_scc0 .LBB54_381
; %bb.380:
	s_mov_b64 s[12:13], 0
	global_store_dwordx2 v[8:9], v[0:1], off
.LBB54_381:
	s_andn2_b64 vcc, exec, s[12:13]
	s_cbranch_vccnz .LBB54_383
; %bb.382:
	v_mov_b32_e32 v0, s11
	global_store_dword v[8:9], v0, off
.LBB54_383:
	s_mov_b64 s[12:13], 0
.LBB54_384:
	s_andn2_b64 vcc, exec, s[12:13]
	s_cbranch_vccnz .LBB54_386
; %bb.385:
	global_store_short v[8:9], v11, off
.LBB54_386:
	s_mov_b64 s[12:13], 0
.LBB54_387:
	s_andn2_b64 vcc, exec, s[12:13]
	s_cbranch_vccnz .LBB54_403
; %bb.388:
	s_sext_i32_i16 s14, s64
	s_cmp_lt_i32 s14, 2
	s_mov_b64 s[12:13], -1
	s_cbranch_scc1 .LBB54_398
; %bb.389:
	s_cmp_lt_i32 s14, 3
	s_cbranch_scc1 .LBB54_395
; %bb.390:
	s_cmp_gt_i32 s14, 3
	s_cbranch_scc0 .LBB54_392
; %bb.391:
	s_mov_b64 s[12:13], 0
	global_store_dwordx2 v[8:9], v[4:5], off
.LBB54_392:
	s_andn2_b64 vcc, exec, s[12:13]
	s_cbranch_vccnz .LBB54_394
; %bb.393:
	global_store_dword v[8:9], v10, off
.LBB54_394:
	s_mov_b64 s[12:13], 0
.LBB54_395:
	s_andn2_b64 vcc, exec, s[12:13]
	s_cbranch_vccnz .LBB54_397
; %bb.396:
	global_store_short v[8:9], v10, off
.LBB54_397:
	s_mov_b64 s[12:13], 0
.LBB54_398:
	s_andn2_b64 vcc, exec, s[12:13]
	s_cbranch_vccnz .LBB54_403
; %bb.399:
	s_sext_i32_i16 s12, s64
	s_cmp_gt_i32 s12, 0
	s_mov_b64 s[12:13], -1
	s_cbranch_scc0 .LBB54_401
; %bb.400:
	s_mov_b64 s[12:13], 0
	global_store_byte v[8:9], v10, off
.LBB54_401:
	s_andn2_b64 vcc, exec, s[12:13]
	s_cbranch_vccnz .LBB54_403
; %bb.402:
	global_store_byte v[8:9], v4, off
.LBB54_403:
	s_or_b64 exec, exec, s[6:7]
	s_and_b64 s[0:1], s[0:1], exec
                                        ; implicit-def: $vgpr15
.LBB54_404:
	s_or_saveexec_b64 s[2:3], s[2:3]
	s_mov_b64 s[12:13], 0
                                        ; implicit-def: $sgpr18
                                        ; implicit-def: $vgpr0_vgpr1
	s_xor_b64 exec, exec, s[2:3]
	s_cbranch_execz .LBB54_433
; %bb.405:
	v_mul_lo_u32 v2, s10, v15
	v_mov_b32_e32 v1, s9
	s_and_b32 s18, s33, 0xff
	s_cmp_lt_i32 s18, 11
	v_ashrrev_i32_e32 v3, 31, v2
	v_add_co_u32_e32 v0, vcc, s8, v2
	v_addc_co_u32_e32 v1, vcc, v1, v3, vcc
	s_cbranch_scc1 .LBB54_436
; %bb.406:
	s_and_b32 s16, 0xffff, s18
	s_mov_b64 s[6:7], -1
	s_cmp_gt_i32 s16, 25
	s_mov_b64 s[14:15], 0
	s_cbranch_scc0 .LBB54_446
; %bb.407:
	s_cmp_gt_i32 s16, 28
	s_cbranch_scc0 .LBB54_422
; %bb.408:
	s_cmp_gt_i32 s16, 43
	;; [unrolled: 3-line block ×3, first 2 shown]
	s_cbranch_scc0 .LBB54_412
; %bb.410:
	s_mov_b64 s[4:5], -1
	s_mov_b64 s[6:7], 0
	s_cmp_eq_u32 s16, 46
	s_cbranch_scc0 .LBB54_412
; %bb.411:
	s_bfe_u32 s4, s11, 0x10010
	s_add_i32 s4, s11, s4
	s_addk_i32 s4, 0x7fff
	s_lshr_b32 s14, s4, 16
	v_cmp_o_f32_e64 s[4:5], s11, s11
	s_and_b64 s[4:5], s[4:5], exec
	s_cselect_b32 s4, s14, 0x7fc0
	v_mov_b32_e32 v3, s4
	global_store_dword v[0:1], v3, off
	s_mov_b64 s[4:5], 0
	s_mov_b64 s[14:15], -1
.LBB54_412:
	s_and_b64 vcc, exec, s[6:7]
	s_cbranch_vccz .LBB54_417
; %bb.413:
	s_cmp_eq_u32 s16, 44
	s_mov_b64 s[4:5], -1
	s_cbranch_scc0 .LBB54_417
; %bb.414:
	s_bfe_u32 s4, s11, 0x80017
	s_cmpk_eq_i32 s4, 0xff
	v_mov_b32_e32 v3, 0xff
	s_cbranch_scc1 .LBB54_416
; %bb.415:
	s_lshr_b32 s14, s11, 23
	s_bitcmp1_b32 s11, 22
	s_cselect_b64 s[6:7], -1, 0
	s_and_b32 s5, s11, 0x3fffff
	s_or_b32 s4, s4, s5
	s_cmp_lg_u32 s4, 0
	s_cselect_b64 s[4:5], -1, 0
	s_and_b64 s[4:5], s[6:7], s[4:5]
	v_cndmask_b32_e64 v3, 0, 1, s[4:5]
	v_add_u32_e32 v3, s14, v3
.LBB54_416:
	s_mov_b64 s[4:5], 0
	s_mov_b64 s[14:15], -1
	global_store_byte v[0:1], v3, off
.LBB54_417:
	s_mov_b64 s[6:7], 0
.LBB54_418:
	s_and_b64 vcc, exec, s[6:7]
	s_cbranch_vccz .LBB54_421
; %bb.419:
	s_cmp_eq_u32 s16, 29
	s_mov_b64 s[4:5], -1
	s_cbranch_scc0 .LBB54_421
; %bb.420:
	v_trunc_f32_e32 v3, s11
	v_mul_f32_e32 v4, 0x2f800000, v3
	v_floor_f32_e32 v5, v4
	v_fmac_f32_e32 v3, 0xcf800000, v5
	v_cvt_u32_f32_e32 v4, v5
	v_cvt_u32_f32_e32 v3, v3
	s_mov_b64 s[4:5], 0
	s_mov_b64 s[14:15], -1
	global_store_dwordx2 v[0:1], v[3:4], off
.LBB54_421:
	s_mov_b64 s[6:7], 0
.LBB54_422:
	s_and_b64 vcc, exec, s[6:7]
	s_cbranch_vccz .LBB54_445
; %bb.423:
	s_cmp_lt_i32 s16, 27
	s_mov_b64 s[6:7], -1
	s_cbranch_scc1 .LBB54_429
; %bb.424:
	s_cmp_gt_i32 s16, 27
	s_cbranch_scc0 .LBB54_426
; %bb.425:
	v_cvt_u32_f32_e32 v3, s11
	s_mov_b64 s[6:7], 0
	global_store_dword v[0:1], v3, off
.LBB54_426:
	s_andn2_b64 vcc, exec, s[6:7]
	s_cbranch_vccnz .LBB54_428
; %bb.427:
	v_cvt_u32_f32_e32 v3, s11
	global_store_short v[0:1], v3, off
.LBB54_428:
	s_mov_b64 s[6:7], 0
.LBB54_429:
	s_andn2_b64 vcc, exec, s[6:7]
	s_cbranch_vccnz .LBB54_444
; %bb.430:
	s_and_b32 s6, s11, 0x7fffffff
	s_cmp_gt_u32 s6, 0x437fffff
	v_mov_b32_e32 v4, 0x80
	s_cbranch_scc1 .LBB54_443
; %bb.431:
	s_cmp_gt_u32 s6, 0x3bffffff
	s_cbranch_scc0 .LBB54_438
; %bb.432:
	s_bfe_u32 s6, s11, 0x10014
	s_add_i32 s6, s11, s6
	s_add_i32 s6, s6, 0x487ffff
	s_lshr_b32 s17, s6, 20
	s_mov_b64 s[14:15], 0
	s_mov_b64 s[6:7], -1
	s_branch .LBB54_439
.LBB54_433:
	s_or_b64 exec, exec, s[2:3]
	s_and_saveexec_b64 s[2:3], s[0:1]
	s_cbranch_execz .LBB54_834
.LBB54_434:
	; divergent unreachable
	s_or_b64 exec, exec, s[2:3]
	s_and_saveexec_b64 s[0:1], s[4:5]
	s_xor_b64 s[0:1], exec, s[0:1]
	s_cbranch_execnz .LBB54_835
.LBB54_435:
	s_or_b64 exec, exec, s[0:1]
	s_and_saveexec_b64 s[0:1], s[12:13]
	s_cbranch_execnz .LBB54_836
	s_branch .LBB54_873
.LBB54_436:
	s_mov_b64 s[14:15], 0
	s_mov_b64 s[6:7], s[0:1]
	s_cbranch_execnz .LBB54_496
.LBB54_437:
	s_andn2_b64 vcc, exec, s[14:15]
	s_cbranch_vccz .LBB54_534
	s_branch .LBB54_832
.LBB54_438:
	s_mov_b64 s[14:15], -1
	s_mov_b64 s[6:7], 0
                                        ; implicit-def: $sgpr17
.LBB54_439:
	s_andn2_b64 vcc, exec, s[14:15]
	v_mov_b32_e32 v3, s17
	s_cbranch_vccnz .LBB54_441
; %bb.440:
	v_mov_b32_e32 v3, 0x46000000
	v_add_f32_e64 v3, |s11|, v3
	v_and_b32_e32 v3, 0xff, v3
	v_cmp_ne_u32_e64 s[6:7], 0, v3
.LBB54_441:
	s_andn2_b64 vcc, exec, s[6:7]
	v_mov_b32_e32 v4, 0
	s_cbranch_vccnz .LBB54_443
; %bb.442:
	s_lshr_b32 s6, s11, 24
	s_and_b32 s6, s6, 0x80
	v_or_b32_e32 v4, s6, v3
.LBB54_443:
	global_store_byte v[0:1], v4, off
.LBB54_444:
	s_mov_b64 s[14:15], -1
.LBB54_445:
	s_mov_b64 s[6:7], 0
.LBB54_446:
	s_and_b64 vcc, exec, s[6:7]
	s_cbranch_vccz .LBB54_492
; %bb.447:
	s_cmp_gt_i32 s16, 22
	s_mov_b64 s[6:7], -1
	s_cbranch_scc0 .LBB54_485
; %bb.448:
	s_cmp_lt_i32 s16, 24
	s_cbranch_scc1 .LBB54_472
; %bb.449:
	s_cmp_gt_i32 s16, 24
	s_cbranch_scc0 .LBB54_459
; %bb.450:
	s_and_b32 s6, s11, 0x7fffffff
	s_cmp_gt_u32 s6, 0x477fffff
	v_mov_b32_e32 v4, 0x80
	s_cbranch_scc1 .LBB54_458
; %bb.451:
	s_cmp_gt_u32 s6, 0x37ffffff
	s_cbranch_scc0 .LBB54_453
; %bb.452:
	s_bfe_u32 s6, s11, 0x10015
	s_add_i32 s6, s11, s6
	s_add_i32 s6, s6, 0x88fffff
	s_lshr_b32 s14, s6, 21
	s_mov_b64 s[6:7], -1
	s_branch .LBB54_454
.LBB54_453:
	s_mov_b64 s[12:13], -1
	s_mov_b64 s[6:7], 0
                                        ; implicit-def: $sgpr14
.LBB54_454:
	s_andn2_b64 vcc, exec, s[12:13]
	v_mov_b32_e32 v3, s14
	s_cbranch_vccnz .LBB54_456
; %bb.455:
	v_mov_b32_e32 v3, 0x42800000
	v_add_f32_e64 v3, |s11|, v3
	v_and_b32_e32 v3, 0xff, v3
	v_cmp_ne_u32_e64 s[6:7], 0, v3
.LBB54_456:
	s_andn2_b64 vcc, exec, s[6:7]
	v_mov_b32_e32 v4, 0
	s_cbranch_vccnz .LBB54_458
; %bb.457:
	s_lshr_b32 s6, s11, 24
	s_and_b32 s6, s6, 0x80
	v_or_b32_e32 v4, s6, v3
.LBB54_458:
	s_mov_b64 s[6:7], 0
	global_store_byte v[0:1], v4, off
.LBB54_459:
	s_and_b64 vcc, exec, s[6:7]
	s_cbranch_vccz .LBB54_471
; %bb.460:
	s_and_b32 s12, s11, 0x7fffffff
	s_cmp_lt_u32 s12, 0x43f00000
	s_cbranch_scc0 .LBB54_463
; %bb.461:
	s_cmp_gt_u32 s12, 0x3c7fffff
	s_cbranch_scc0 .LBB54_464
; %bb.462:
	s_bfe_u32 s6, s11, 0x10014
	s_add_i32 s6, s11, s6
	s_add_i32 s6, s6, 0x407ffff
	s_lshr_b32 s7, s6, 20
	s_and_b32 s6, s6, 0xff00000
	s_cmp_lg_u32 s6, 0x7f00000
	s_cselect_b32 s13, s7, 0x7e
	s_mov_b64 s[6:7], 0
	s_branch .LBB54_465
.LBB54_463:
	s_mov_b64 s[6:7], -1
                                        ; implicit-def: $vgpr3
	s_branch .LBB54_468
.LBB54_464:
	s_mov_b64 s[6:7], -1
                                        ; implicit-def: $sgpr13
.LBB54_465:
	s_andn2_b64 vcc, exec, s[6:7]
	v_mov_b32_e32 v3, s13
	s_cbranch_vccnz .LBB54_467
; %bb.466:
	v_mov_b32_e32 v3, 0x46800000
	v_add_f32_e64 v3, |s11|, v3
.LBB54_467:
	s_mov_b64 s[6:7], 0
.LBB54_468:
	s_andn2_b64 vcc, exec, s[6:7]
	s_cbranch_vccnz .LBB54_470
; %bb.469:
	s_cmp_gt_u32 s12, 0x7f800000
	s_movk_i32 s6, 0x7f
	s_cselect_b32 s6, s6, 0x7e
	v_mov_b32_e32 v3, s6
.LBB54_470:
	s_lshr_b32 s6, s11, 24
	s_and_b32 s6, s6, 0x80
	v_or_b32_e32 v3, s6, v3
	global_store_byte v[0:1], v3, off
.LBB54_471:
	s_mov_b64 s[6:7], 0
.LBB54_472:
	s_andn2_b64 vcc, exec, s[6:7]
	s_cbranch_vccnz .LBB54_484
; %bb.473:
	s_and_b32 s12, s11, 0x7fffffff
	s_cmp_lt_u32 s12, 0x47800000
	s_cbranch_scc0 .LBB54_476
; %bb.474:
	s_cmp_gt_u32 s12, 0x387fffff
	s_cbranch_scc0 .LBB54_477
; %bb.475:
	s_bfe_u32 s6, s11, 0x10015
	s_add_i32 s6, s11, s6
	s_add_i32 s6, s6, 0x80fffff
	s_lshr_b32 s13, s6, 21
	s_mov_b64 s[6:7], 0
	s_branch .LBB54_478
.LBB54_476:
	s_mov_b64 s[6:7], -1
                                        ; implicit-def: $vgpr3
	s_branch .LBB54_481
.LBB54_477:
	s_mov_b64 s[6:7], -1
                                        ; implicit-def: $sgpr13
.LBB54_478:
	s_andn2_b64 vcc, exec, s[6:7]
	v_mov_b32_e32 v3, s13
	s_cbranch_vccnz .LBB54_480
; %bb.479:
	v_mov_b32_e32 v3, 0x43000000
	v_add_f32_e64 v3, |s11|, v3
.LBB54_480:
	s_mov_b64 s[6:7], 0
.LBB54_481:
	s_andn2_b64 vcc, exec, s[6:7]
	s_cbranch_vccnz .LBB54_483
; %bb.482:
	s_cmp_gt_u32 s12, 0x7f800000
	s_movk_i32 s6, 0x7f
	s_cselect_b32 s6, s6, 0x7c
	v_mov_b32_e32 v3, s6
.LBB54_483:
	s_lshr_b32 s6, s11, 24
	s_and_b32 s6, s6, 0x80
	v_or_b32_e32 v3, s6, v3
	global_store_byte v[0:1], v3, off
.LBB54_484:
	s_mov_b64 s[6:7], 0
	s_mov_b64 s[14:15], -1
.LBB54_485:
	s_andn2_b64 vcc, exec, s[6:7]
	s_mov_b64 s[12:13], 0
	s_cbranch_vccnz .LBB54_492
; %bb.486:
	s_cmp_gt_i32 s16, 14
	s_mov_b64 s[6:7], -1
	s_cbranch_scc0 .LBB54_490
; %bb.487:
	s_cmp_eq_u32 s16, 15
	s_mov_b64 s[4:5], -1
	s_cbranch_scc0 .LBB54_489
; %bb.488:
	s_bfe_u32 s4, s11, 0x10010
	s_add_i32 s4, s11, s4
	s_addk_i32 s4, 0x7fff
	s_lshr_b32 s6, s4, 16
	v_cmp_o_f32_e64 s[4:5], s11, s11
	s_and_b64 s[4:5], s[4:5], exec
	s_cselect_b32 s4, s6, 0x7fc0
	v_mov_b32_e32 v3, s4
	global_store_short v[0:1], v3, off
	s_mov_b64 s[4:5], 0
	s_mov_b64 s[14:15], -1
.LBB54_489:
	s_mov_b64 s[6:7], 0
.LBB54_490:
	s_and_b64 vcc, exec, s[6:7]
	s_cbranch_vccz .LBB54_492
; %bb.491:
	s_cmp_lg_u32 s16, 11
	s_mov_b64 s[12:13], -1
	s_cselect_b64 s[4:5], -1, 0
.LBB54_492:
	s_and_b64 vcc, exec, s[4:5]
	s_mov_b64 s[6:7], s[0:1]
	s_cbranch_vccnz .LBB54_564
; %bb.493:
	s_andn2_b64 vcc, exec, s[12:13]
	s_cbranch_vccnz .LBB54_495
.LBB54_494:
	v_cmp_neq_f32_e64 s[4:5], s11, 0
	v_cndmask_b32_e64 v3, 0, 1, s[4:5]
	s_mov_b64 s[14:15], -1
	global_store_byte v[0:1], v3, off
.LBB54_495:
	s_branch .LBB54_437
.LBB54_496:
	s_and_b32 s12, 0xffff, s18
	s_cmp_lt_i32 s12, 5
	s_mov_b64 s[4:5], -1
	s_cbranch_scc1 .LBB54_517
; %bb.497:
	s_cmp_lt_i32 s12, 8
	s_cbranch_scc1 .LBB54_507
; %bb.498:
	s_cmp_lt_i32 s12, 9
	s_cbranch_scc1 .LBB54_504
; %bb.499:
	s_cmp_gt_i32 s12, 9
	s_cbranch_scc0 .LBB54_501
; %bb.500:
	v_cvt_f64_f32_e32 v[3:4], s11
	v_mov_b32_e32 v5, 0
	v_mov_b32_e32 v6, v5
	s_mov_b64 s[4:5], 0
	global_store_dwordx4 v[0:1], v[3:6], off
.LBB54_501:
	s_andn2_b64 vcc, exec, s[4:5]
	s_cbranch_vccnz .LBB54_503
; %bb.502:
	v_mov_b32_e32 v3, s11
	v_mov_b32_e32 v4, 0
	global_store_dwordx2 v[0:1], v[3:4], off
.LBB54_503:
	s_mov_b64 s[4:5], 0
.LBB54_504:
	s_andn2_b64 vcc, exec, s[4:5]
	s_cbranch_vccnz .LBB54_506
; %bb.505:
	v_cvt_f16_f32_e32 v3, s11
	global_store_dword v[0:1], v3, off
.LBB54_506:
	s_mov_b64 s[4:5], 0
.LBB54_507:
	s_andn2_b64 vcc, exec, s[4:5]
	s_cbranch_vccnz .LBB54_516
; %bb.508:
	s_cmp_lt_i32 s12, 6
	s_mov_b64 s[4:5], -1
	s_cbranch_scc1 .LBB54_514
; %bb.509:
	s_cmp_gt_i32 s12, 6
	s_cbranch_scc0 .LBB54_511
; %bb.510:
	v_cvt_f64_f32_e32 v[3:4], s11
	s_mov_b64 s[4:5], 0
	global_store_dwordx2 v[0:1], v[3:4], off
.LBB54_511:
	s_andn2_b64 vcc, exec, s[4:5]
	s_cbranch_vccnz .LBB54_513
; %bb.512:
	v_mov_b32_e32 v3, s11
	global_store_dword v[0:1], v3, off
.LBB54_513:
	s_mov_b64 s[4:5], 0
.LBB54_514:
	s_andn2_b64 vcc, exec, s[4:5]
	s_cbranch_vccnz .LBB54_516
; %bb.515:
	v_cvt_f16_f32_e32 v3, s11
	global_store_short v[0:1], v3, off
.LBB54_516:
	s_mov_b64 s[4:5], 0
.LBB54_517:
	s_andn2_b64 vcc, exec, s[4:5]
	s_cbranch_vccnz .LBB54_533
; %bb.518:
	s_cmp_lt_i32 s12, 2
	s_mov_b64 s[4:5], -1
	s_cbranch_scc1 .LBB54_528
; %bb.519:
	s_cmp_lt_i32 s12, 3
	s_cbranch_scc1 .LBB54_525
; %bb.520:
	s_cmp_gt_i32 s12, 3
	s_cbranch_scc0 .LBB54_522
; %bb.521:
	v_trunc_f32_e32 v3, s11
	s_mov_b32 s4, 0x2f800000
	v_mul_f32_e64 v4, |v3|, s4
	v_floor_f32_e32 v4, v4
	s_mov_b32 s4, 0xcf800000
	v_fma_f32 v5, v4, s4, |v3|
	v_cvt_u32_f32_e32 v5, v5
	v_cvt_u32_f32_e32 v4, v4
	v_ashrrev_i32_e32 v6, 31, v3
	s_mov_b64 s[4:5], 0
	v_xor_b32_e32 v3, v5, v6
	v_xor_b32_e32 v4, v4, v6
	v_sub_co_u32_e32 v3, vcc, v3, v6
	v_subb_co_u32_e32 v4, vcc, v4, v6, vcc
	global_store_dwordx2 v[0:1], v[3:4], off
.LBB54_522:
	s_andn2_b64 vcc, exec, s[4:5]
	s_cbranch_vccnz .LBB54_524
; %bb.523:
	v_cvt_i32_f32_e32 v3, s11
	global_store_dword v[0:1], v3, off
.LBB54_524:
	s_mov_b64 s[4:5], 0
.LBB54_525:
	s_andn2_b64 vcc, exec, s[4:5]
	s_cbranch_vccnz .LBB54_527
; %bb.526:
	v_cvt_i32_f32_e32 v3, s11
	global_store_short v[0:1], v3, off
.LBB54_527:
	s_mov_b64 s[4:5], 0
.LBB54_528:
	s_andn2_b64 vcc, exec, s[4:5]
	s_cbranch_vccnz .LBB54_533
; %bb.529:
	s_cmp_gt_i32 s12, 0
	s_mov_b64 s[4:5], -1
	s_cbranch_scc0 .LBB54_531
; %bb.530:
	v_cvt_i32_f32_e32 v3, s11
	s_mov_b64 s[4:5], 0
	global_store_byte v[0:1], v3, off
.LBB54_531:
	s_andn2_b64 vcc, exec, s[4:5]
	s_cbranch_vccnz .LBB54_533
; %bb.532:
	v_trunc_f32_e32 v3, s11
	s_mov_b32 s4, 0x2f800000
	v_mul_f32_e64 v4, |v3|, s4
	v_floor_f32_e32 v4, v4
	s_mov_b32 s4, 0xcf800000
	v_fma_f32 v4, v4, s4, |v3|
	v_cvt_u32_f32_e32 v4, v4
	v_ashrrev_i32_e32 v3, 31, v3
	v_xor_b32_e32 v4, v4, v3
	v_sub_u32_e32 v3, v4, v3
	global_store_byte v[0:1], v3, off
.LBB54_533:
.LBB54_534:
	s_lshl_b32 s10, s10, 7
	v_add_u32_e32 v2, s10, v2
	v_ashrrev_i32_e32 v1, 31, v2
	v_mov_b32_e32 v3, s9
	v_add_co_u32_e32 v0, vcc, s8, v2
	s_cmp_lt_i32 s18, 11
	v_addc_co_u32_e32 v1, vcc, v3, v1, vcc
	s_cbranch_scc1 .LBB54_562
; %bb.535:
	s_and_b32 s19, 0xffff, s18
	s_mov_b64 s[16:17], -1
	s_mov_b64 s[12:13], 0
	s_cmp_gt_i32 s19, 25
	s_mov_b64 s[14:15], 0
	s_mov_b64 s[4:5], 0
	s_cbranch_scc0 .LBB54_573
; %bb.536:
	s_cmp_gt_i32 s19, 28
	s_cbranch_scc0 .LBB54_551
; %bb.537:
	s_cmp_gt_i32 s19, 43
	;; [unrolled: 3-line block ×3, first 2 shown]
	s_cbranch_scc0 .LBB54_541
; %bb.539:
	s_mov_b64 s[4:5], -1
	s_mov_b64 s[16:17], 0
	s_cmp_eq_u32 s19, 46
	s_cbranch_scc0 .LBB54_541
; %bb.540:
	s_bfe_u32 s4, s11, 0x10010
	s_add_i32 s4, s11, s4
	s_addk_i32 s4, 0x7fff
	s_lshr_b32 s14, s4, 16
	v_cmp_o_f32_e64 s[4:5], s11, s11
	s_and_b64 s[4:5], s[4:5], exec
	s_cselect_b32 s4, s14, 0x7fc0
	v_mov_b32_e32 v3, s4
	global_store_dword v[0:1], v3, off
	s_mov_b64 s[4:5], 0
	s_mov_b64 s[14:15], -1
.LBB54_541:
	s_and_b64 vcc, exec, s[16:17]
	s_cbranch_vccz .LBB54_546
; %bb.542:
	s_cmp_eq_u32 s19, 44
	s_mov_b64 s[4:5], -1
	s_cbranch_scc0 .LBB54_546
; %bb.543:
	s_bfe_u32 s4, s11, 0x80017
	s_cmpk_eq_i32 s4, 0xff
	v_mov_b32_e32 v3, 0xff
	s_cbranch_scc1 .LBB54_545
; %bb.544:
	s_lshr_b32 s16, s11, 23
	s_bitcmp1_b32 s11, 22
	s_cselect_b64 s[14:15], -1, 0
	s_and_b32 s5, s11, 0x3fffff
	s_or_b32 s4, s4, s5
	s_cmp_lg_u32 s4, 0
	s_cselect_b64 s[4:5], -1, 0
	s_and_b64 s[4:5], s[14:15], s[4:5]
	v_cndmask_b32_e64 v3, 0, 1, s[4:5]
	v_add_u32_e32 v3, s16, v3
.LBB54_545:
	s_mov_b64 s[4:5], 0
	s_mov_b64 s[14:15], -1
	global_store_byte v[0:1], v3, off
.LBB54_546:
	s_mov_b64 s[16:17], 0
.LBB54_547:
	s_and_b64 vcc, exec, s[16:17]
	s_cbranch_vccz .LBB54_550
; %bb.548:
	s_cmp_eq_u32 s19, 29
	s_mov_b64 s[4:5], -1
	s_cbranch_scc0 .LBB54_550
; %bb.549:
	v_trunc_f32_e32 v3, s11
	v_mul_f32_e32 v4, 0x2f800000, v3
	v_floor_f32_e32 v5, v4
	v_fmac_f32_e32 v3, 0xcf800000, v5
	v_cvt_u32_f32_e32 v4, v5
	v_cvt_u32_f32_e32 v3, v3
	s_mov_b64 s[4:5], 0
	s_mov_b64 s[14:15], -1
	global_store_dwordx2 v[0:1], v[3:4], off
.LBB54_550:
	s_mov_b64 s[16:17], 0
.LBB54_551:
	s_and_b64 vcc, exec, s[16:17]
	s_cbranch_vccz .LBB54_572
; %bb.552:
	s_cmp_lt_i32 s19, 27
	s_mov_b64 s[14:15], -1
	s_cbranch_scc1 .LBB54_558
; %bb.553:
	s_cmp_gt_i32 s19, 27
	s_cbranch_scc0 .LBB54_555
; %bb.554:
	v_cvt_u32_f32_e32 v3, s11
	s_mov_b64 s[14:15], 0
	global_store_dword v[0:1], v3, off
.LBB54_555:
	s_andn2_b64 vcc, exec, s[14:15]
	s_cbranch_vccnz .LBB54_557
; %bb.556:
	v_cvt_u32_f32_e32 v3, s11
	global_store_short v[0:1], v3, off
.LBB54_557:
	s_mov_b64 s[14:15], 0
.LBB54_558:
	s_andn2_b64 vcc, exec, s[14:15]
	s_cbranch_vccnz .LBB54_571
; %bb.559:
	s_and_b32 s14, s11, 0x7fffffff
	s_cmp_gt_u32 s14, 0x437fffff
	v_mov_b32_e32 v4, 0x80
	s_cbranch_scc1 .LBB54_570
; %bb.560:
	s_cmp_gt_u32 s14, 0x3bffffff
	s_cbranch_scc0 .LBB54_565
; %bb.561:
	s_bfe_u32 s14, s11, 0x10014
	s_add_i32 s14, s11, s14
	s_add_i32 s14, s14, 0x487ffff
	s_lshr_b32 s20, s14, 20
	s_mov_b64 s[16:17], 0
	s_mov_b64 s[14:15], -1
	s_branch .LBB54_566
.LBB54_562:
	s_mov_b64 s[14:15], 0
	s_cbranch_execnz .LBB54_623
.LBB54_563:
	s_andn2_b64 vcc, exec, s[14:15]
	s_cbranch_vccz .LBB54_661
	s_branch .LBB54_832
.LBB54_564:
	s_or_b64 s[6:7], s[0:1], exec
	s_trap 2
	s_cbranch_execz .LBB54_494
	s_branch .LBB54_495
.LBB54_565:
	s_mov_b64 s[16:17], -1
	s_mov_b64 s[14:15], 0
                                        ; implicit-def: $sgpr20
.LBB54_566:
	s_andn2_b64 vcc, exec, s[16:17]
	v_mov_b32_e32 v3, s20
	s_cbranch_vccnz .LBB54_568
; %bb.567:
	v_mov_b32_e32 v3, 0x46000000
	v_add_f32_e64 v3, |s11|, v3
	v_and_b32_e32 v3, 0xff, v3
	v_cmp_ne_u32_e64 s[14:15], 0, v3
.LBB54_568:
	s_andn2_b64 vcc, exec, s[14:15]
	v_mov_b32_e32 v4, 0
	s_cbranch_vccnz .LBB54_570
; %bb.569:
	s_lshr_b32 s14, s11, 24
	s_and_b32 s14, s14, 0x80
	v_or_b32_e32 v4, s14, v3
.LBB54_570:
	global_store_byte v[0:1], v4, off
.LBB54_571:
	s_mov_b64 s[14:15], -1
.LBB54_572:
	s_mov_b64 s[16:17], 0
.LBB54_573:
	s_and_b64 vcc, exec, s[16:17]
	s_cbranch_vccz .LBB54_619
; %bb.574:
	s_cmp_gt_i32 s19, 22
	s_mov_b64 s[12:13], -1
	s_cbranch_scc0 .LBB54_612
; %bb.575:
	s_cmp_lt_i32 s19, 24
	s_cbranch_scc1 .LBB54_599
; %bb.576:
	s_cmp_gt_i32 s19, 24
	s_cbranch_scc0 .LBB54_586
; %bb.577:
	s_and_b32 s12, s11, 0x7fffffff
	s_cmp_gt_u32 s12, 0x477fffff
	v_mov_b32_e32 v4, 0x80
	s_cbranch_scc1 .LBB54_585
; %bb.578:
	s_cmp_gt_u32 s12, 0x37ffffff
	s_cbranch_scc0 .LBB54_580
; %bb.579:
	s_bfe_u32 s12, s11, 0x10015
	s_add_i32 s12, s11, s12
	s_add_i32 s12, s12, 0x88fffff
	s_lshr_b32 s16, s12, 21
	s_mov_b64 s[14:15], 0
	s_mov_b64 s[12:13], -1
	s_branch .LBB54_581
.LBB54_580:
	s_mov_b64 s[14:15], -1
	s_mov_b64 s[12:13], 0
                                        ; implicit-def: $sgpr16
.LBB54_581:
	s_andn2_b64 vcc, exec, s[14:15]
	v_mov_b32_e32 v3, s16
	s_cbranch_vccnz .LBB54_583
; %bb.582:
	v_mov_b32_e32 v3, 0x42800000
	v_add_f32_e64 v3, |s11|, v3
	v_and_b32_e32 v3, 0xff, v3
	v_cmp_ne_u32_e64 s[12:13], 0, v3
.LBB54_583:
	s_andn2_b64 vcc, exec, s[12:13]
	v_mov_b32_e32 v4, 0
	s_cbranch_vccnz .LBB54_585
; %bb.584:
	s_lshr_b32 s12, s11, 24
	s_and_b32 s12, s12, 0x80
	v_or_b32_e32 v4, s12, v3
.LBB54_585:
	s_mov_b64 s[12:13], 0
	global_store_byte v[0:1], v4, off
.LBB54_586:
	s_and_b64 vcc, exec, s[12:13]
	s_cbranch_vccz .LBB54_598
; %bb.587:
	s_and_b32 s14, s11, 0x7fffffff
	s_cmp_lt_u32 s14, 0x43f00000
	s_cbranch_scc0 .LBB54_590
; %bb.588:
	s_cmp_gt_u32 s14, 0x3c7fffff
	s_cbranch_scc0 .LBB54_591
; %bb.589:
	s_bfe_u32 s12, s11, 0x10014
	s_add_i32 s12, s11, s12
	s_add_i32 s12, s12, 0x407ffff
	s_lshr_b32 s13, s12, 20
	s_and_b32 s12, s12, 0xff00000
	s_cmp_lg_u32 s12, 0x7f00000
	s_cselect_b32 s15, s13, 0x7e
	s_mov_b64 s[12:13], 0
	s_branch .LBB54_592
.LBB54_590:
	s_mov_b64 s[12:13], -1
                                        ; implicit-def: $vgpr3
	s_branch .LBB54_595
.LBB54_591:
	s_mov_b64 s[12:13], -1
                                        ; implicit-def: $sgpr15
.LBB54_592:
	s_andn2_b64 vcc, exec, s[12:13]
	v_mov_b32_e32 v3, s15
	s_cbranch_vccnz .LBB54_594
; %bb.593:
	v_mov_b32_e32 v3, 0x46800000
	v_add_f32_e64 v3, |s11|, v3
.LBB54_594:
	s_mov_b64 s[12:13], 0
.LBB54_595:
	s_andn2_b64 vcc, exec, s[12:13]
	s_cbranch_vccnz .LBB54_597
; %bb.596:
	s_cmp_gt_u32 s14, 0x7f800000
	s_movk_i32 s12, 0x7f
	s_cselect_b32 s12, s12, 0x7e
	v_mov_b32_e32 v3, s12
.LBB54_597:
	s_lshr_b32 s12, s11, 24
	s_and_b32 s12, s12, 0x80
	v_or_b32_e32 v3, s12, v3
	global_store_byte v[0:1], v3, off
.LBB54_598:
	s_mov_b64 s[12:13], 0
.LBB54_599:
	s_andn2_b64 vcc, exec, s[12:13]
	s_cbranch_vccnz .LBB54_611
; %bb.600:
	s_and_b32 s14, s11, 0x7fffffff
	s_cmp_lt_u32 s14, 0x47800000
	s_cbranch_scc0 .LBB54_603
; %bb.601:
	s_cmp_gt_u32 s14, 0x387fffff
	s_cbranch_scc0 .LBB54_604
; %bb.602:
	s_bfe_u32 s12, s11, 0x10015
	s_add_i32 s12, s11, s12
	s_add_i32 s12, s12, 0x80fffff
	s_lshr_b32 s15, s12, 21
	s_mov_b64 s[12:13], 0
	s_branch .LBB54_605
.LBB54_603:
	s_mov_b64 s[12:13], -1
                                        ; implicit-def: $vgpr3
	s_branch .LBB54_608
.LBB54_604:
	s_mov_b64 s[12:13], -1
                                        ; implicit-def: $sgpr15
.LBB54_605:
	s_andn2_b64 vcc, exec, s[12:13]
	v_mov_b32_e32 v3, s15
	s_cbranch_vccnz .LBB54_607
; %bb.606:
	v_mov_b32_e32 v3, 0x43000000
	v_add_f32_e64 v3, |s11|, v3
.LBB54_607:
	s_mov_b64 s[12:13], 0
.LBB54_608:
	s_andn2_b64 vcc, exec, s[12:13]
	s_cbranch_vccnz .LBB54_610
; %bb.609:
	s_cmp_gt_u32 s14, 0x7f800000
	s_movk_i32 s12, 0x7f
	s_cselect_b32 s12, s12, 0x7c
	v_mov_b32_e32 v3, s12
.LBB54_610:
	s_lshr_b32 s12, s11, 24
	s_and_b32 s12, s12, 0x80
	v_or_b32_e32 v3, s12, v3
	global_store_byte v[0:1], v3, off
.LBB54_611:
	s_mov_b64 s[12:13], 0
	s_mov_b64 s[14:15], -1
.LBB54_612:
	s_andn2_b64 vcc, exec, s[12:13]
	s_mov_b64 s[12:13], 0
	s_cbranch_vccnz .LBB54_619
; %bb.613:
	s_cmp_gt_i32 s19, 14
	s_mov_b64 s[16:17], -1
	s_cbranch_scc0 .LBB54_617
; %bb.614:
	s_cmp_eq_u32 s19, 15
	s_mov_b64 s[4:5], -1
	s_cbranch_scc0 .LBB54_616
; %bb.615:
	s_bfe_u32 s4, s11, 0x10010
	s_add_i32 s4, s11, s4
	s_addk_i32 s4, 0x7fff
	s_lshr_b32 s12, s4, 16
	v_cmp_o_f32_e64 s[4:5], s11, s11
	s_and_b64 s[4:5], s[4:5], exec
	s_cselect_b32 s4, s12, 0x7fc0
	v_mov_b32_e32 v3, s4
	global_store_short v[0:1], v3, off
	s_mov_b64 s[4:5], 0
	s_mov_b64 s[14:15], -1
.LBB54_616:
	s_mov_b64 s[16:17], 0
.LBB54_617:
	s_mov_b64 s[12:13], 0
	s_and_b64 vcc, exec, s[16:17]
	s_cbranch_vccz .LBB54_619
; %bb.618:
	s_cmp_lg_u32 s19, 11
	s_mov_b64 s[12:13], -1
	s_cselect_b64 s[4:5], -1, 0
.LBB54_619:
	s_and_b64 vcc, exec, s[4:5]
	s_cbranch_vccnz .LBB54_721
; %bb.620:
	s_andn2_b64 vcc, exec, s[12:13]
	s_cbranch_vccnz .LBB54_622
.LBB54_621:
	v_cmp_neq_f32_e64 s[4:5], s11, 0
	v_cndmask_b32_e64 v3, 0, 1, s[4:5]
	s_mov_b64 s[14:15], -1
	global_store_byte v[0:1], v3, off
.LBB54_622:
	s_branch .LBB54_563
.LBB54_623:
	s_and_b32 s12, 0xffff, s18
	s_cmp_lt_i32 s12, 5
	s_mov_b64 s[4:5], -1
	s_cbranch_scc1 .LBB54_644
; %bb.624:
	s_cmp_lt_i32 s12, 8
	s_cbranch_scc1 .LBB54_634
; %bb.625:
	s_cmp_lt_i32 s12, 9
	s_cbranch_scc1 .LBB54_631
; %bb.626:
	s_cmp_gt_i32 s12, 9
	s_cbranch_scc0 .LBB54_628
; %bb.627:
	v_cvt_f64_f32_e32 v[3:4], s11
	v_mov_b32_e32 v5, 0
	v_mov_b32_e32 v6, v5
	s_mov_b64 s[4:5], 0
	global_store_dwordx4 v[0:1], v[3:6], off
.LBB54_628:
	s_andn2_b64 vcc, exec, s[4:5]
	s_cbranch_vccnz .LBB54_630
; %bb.629:
	v_mov_b32_e32 v3, s11
	v_mov_b32_e32 v4, 0
	global_store_dwordx2 v[0:1], v[3:4], off
.LBB54_630:
	s_mov_b64 s[4:5], 0
.LBB54_631:
	s_andn2_b64 vcc, exec, s[4:5]
	s_cbranch_vccnz .LBB54_633
; %bb.632:
	v_cvt_f16_f32_e32 v3, s11
	global_store_dword v[0:1], v3, off
.LBB54_633:
	s_mov_b64 s[4:5], 0
.LBB54_634:
	s_andn2_b64 vcc, exec, s[4:5]
	s_cbranch_vccnz .LBB54_643
; %bb.635:
	s_cmp_lt_i32 s12, 6
	s_mov_b64 s[4:5], -1
	s_cbranch_scc1 .LBB54_641
; %bb.636:
	s_cmp_gt_i32 s12, 6
	s_cbranch_scc0 .LBB54_638
; %bb.637:
	v_cvt_f64_f32_e32 v[3:4], s11
	s_mov_b64 s[4:5], 0
	global_store_dwordx2 v[0:1], v[3:4], off
.LBB54_638:
	s_andn2_b64 vcc, exec, s[4:5]
	s_cbranch_vccnz .LBB54_640
; %bb.639:
	v_mov_b32_e32 v3, s11
	global_store_dword v[0:1], v3, off
.LBB54_640:
	s_mov_b64 s[4:5], 0
.LBB54_641:
	s_andn2_b64 vcc, exec, s[4:5]
	s_cbranch_vccnz .LBB54_643
; %bb.642:
	v_cvt_f16_f32_e32 v3, s11
	global_store_short v[0:1], v3, off
.LBB54_643:
	s_mov_b64 s[4:5], 0
.LBB54_644:
	s_andn2_b64 vcc, exec, s[4:5]
	s_cbranch_vccnz .LBB54_660
; %bb.645:
	s_cmp_lt_i32 s12, 2
	s_mov_b64 s[4:5], -1
	s_cbranch_scc1 .LBB54_655
; %bb.646:
	s_cmp_lt_i32 s12, 3
	s_cbranch_scc1 .LBB54_652
; %bb.647:
	s_cmp_gt_i32 s12, 3
	s_cbranch_scc0 .LBB54_649
; %bb.648:
	v_trunc_f32_e32 v3, s11
	s_mov_b32 s4, 0x2f800000
	v_mul_f32_e64 v4, |v3|, s4
	v_floor_f32_e32 v4, v4
	s_mov_b32 s4, 0xcf800000
	v_fma_f32 v5, v4, s4, |v3|
	v_cvt_u32_f32_e32 v5, v5
	v_cvt_u32_f32_e32 v4, v4
	v_ashrrev_i32_e32 v6, 31, v3
	s_mov_b64 s[4:5], 0
	v_xor_b32_e32 v3, v5, v6
	v_xor_b32_e32 v4, v4, v6
	v_sub_co_u32_e32 v3, vcc, v3, v6
	v_subb_co_u32_e32 v4, vcc, v4, v6, vcc
	global_store_dwordx2 v[0:1], v[3:4], off
.LBB54_649:
	s_andn2_b64 vcc, exec, s[4:5]
	s_cbranch_vccnz .LBB54_651
; %bb.650:
	v_cvt_i32_f32_e32 v3, s11
	global_store_dword v[0:1], v3, off
.LBB54_651:
	s_mov_b64 s[4:5], 0
.LBB54_652:
	s_andn2_b64 vcc, exec, s[4:5]
	s_cbranch_vccnz .LBB54_654
; %bb.653:
	v_cvt_i32_f32_e32 v3, s11
	global_store_short v[0:1], v3, off
.LBB54_654:
	s_mov_b64 s[4:5], 0
.LBB54_655:
	s_andn2_b64 vcc, exec, s[4:5]
	s_cbranch_vccnz .LBB54_660
; %bb.656:
	s_cmp_gt_i32 s12, 0
	s_mov_b64 s[4:5], -1
	s_cbranch_scc0 .LBB54_658
; %bb.657:
	v_cvt_i32_f32_e32 v3, s11
	s_mov_b64 s[4:5], 0
	global_store_byte v[0:1], v3, off
.LBB54_658:
	s_andn2_b64 vcc, exec, s[4:5]
	s_cbranch_vccnz .LBB54_660
; %bb.659:
	v_trunc_f32_e32 v3, s11
	s_mov_b32 s4, 0x2f800000
	v_mul_f32_e64 v4, |v3|, s4
	v_floor_f32_e32 v4, v4
	s_mov_b32 s4, 0xcf800000
	v_fma_f32 v4, v4, s4, |v3|
	v_cvt_u32_f32_e32 v4, v4
	v_ashrrev_i32_e32 v3, 31, v3
	v_xor_b32_e32 v4, v4, v3
	v_sub_u32_e32 v3, v4, v3
	global_store_byte v[0:1], v3, off
.LBB54_660:
.LBB54_661:
	v_add_u32_e32 v2, s10, v2
	v_ashrrev_i32_e32 v1, 31, v2
	v_mov_b32_e32 v3, s9
	v_add_co_u32_e32 v0, vcc, s8, v2
	s_cmp_lt_i32 s18, 11
	v_addc_co_u32_e32 v1, vcc, v3, v1, vcc
	s_cbranch_scc1 .LBB54_689
; %bb.662:
	s_and_b32 s19, 0xffff, s18
	s_mov_b64 s[16:17], -1
	s_mov_b64 s[12:13], 0
	s_cmp_gt_i32 s19, 25
	s_mov_b64 s[14:15], 0
	s_mov_b64 s[4:5], 0
	s_cbranch_scc0 .LBB54_730
; %bb.663:
	s_cmp_gt_i32 s19, 28
	s_cbranch_scc0 .LBB54_678
; %bb.664:
	s_cmp_gt_i32 s19, 43
	;; [unrolled: 3-line block ×3, first 2 shown]
	s_cbranch_scc0 .LBB54_668
; %bb.666:
	s_mov_b64 s[4:5], -1
	s_mov_b64 s[16:17], 0
	s_cmp_eq_u32 s19, 46
	s_cbranch_scc0 .LBB54_668
; %bb.667:
	s_bfe_u32 s4, s11, 0x10010
	s_add_i32 s4, s11, s4
	s_addk_i32 s4, 0x7fff
	s_lshr_b32 s14, s4, 16
	v_cmp_o_f32_e64 s[4:5], s11, s11
	s_and_b64 s[4:5], s[4:5], exec
	s_cselect_b32 s4, s14, 0x7fc0
	v_mov_b32_e32 v3, s4
	global_store_dword v[0:1], v3, off
	s_mov_b64 s[4:5], 0
	s_mov_b64 s[14:15], -1
.LBB54_668:
	s_and_b64 vcc, exec, s[16:17]
	s_cbranch_vccz .LBB54_673
; %bb.669:
	s_cmp_eq_u32 s19, 44
	s_mov_b64 s[4:5], -1
	s_cbranch_scc0 .LBB54_673
; %bb.670:
	s_bfe_u32 s4, s11, 0x80017
	s_cmpk_eq_i32 s4, 0xff
	v_mov_b32_e32 v3, 0xff
	s_cbranch_scc1 .LBB54_672
; %bb.671:
	s_lshr_b32 s16, s11, 23
	s_bitcmp1_b32 s11, 22
	s_cselect_b64 s[14:15], -1, 0
	s_and_b32 s5, s11, 0x3fffff
	s_or_b32 s4, s4, s5
	s_cmp_lg_u32 s4, 0
	s_cselect_b64 s[4:5], -1, 0
	s_and_b64 s[4:5], s[14:15], s[4:5]
	v_cndmask_b32_e64 v3, 0, 1, s[4:5]
	v_add_u32_e32 v3, s16, v3
.LBB54_672:
	s_mov_b64 s[4:5], 0
	s_mov_b64 s[14:15], -1
	global_store_byte v[0:1], v3, off
.LBB54_673:
	s_mov_b64 s[16:17], 0
.LBB54_674:
	s_and_b64 vcc, exec, s[16:17]
	s_cbranch_vccz .LBB54_677
; %bb.675:
	s_cmp_eq_u32 s19, 29
	s_mov_b64 s[4:5], -1
	s_cbranch_scc0 .LBB54_677
; %bb.676:
	v_trunc_f32_e32 v3, s11
	v_mul_f32_e32 v4, 0x2f800000, v3
	v_floor_f32_e32 v5, v4
	v_fmac_f32_e32 v3, 0xcf800000, v5
	v_cvt_u32_f32_e32 v4, v5
	v_cvt_u32_f32_e32 v3, v3
	s_mov_b64 s[4:5], 0
	s_mov_b64 s[14:15], -1
	global_store_dwordx2 v[0:1], v[3:4], off
.LBB54_677:
	s_mov_b64 s[16:17], 0
.LBB54_678:
	s_and_b64 vcc, exec, s[16:17]
	s_cbranch_vccz .LBB54_729
; %bb.679:
	s_cmp_lt_i32 s19, 27
	s_mov_b64 s[14:15], -1
	s_cbranch_scc1 .LBB54_685
; %bb.680:
	s_cmp_gt_i32 s19, 27
	s_cbranch_scc0 .LBB54_682
; %bb.681:
	v_cvt_u32_f32_e32 v3, s11
	s_mov_b64 s[14:15], 0
	global_store_dword v[0:1], v3, off
.LBB54_682:
	s_andn2_b64 vcc, exec, s[14:15]
	s_cbranch_vccnz .LBB54_684
; %bb.683:
	v_cvt_u32_f32_e32 v3, s11
	global_store_short v[0:1], v3, off
.LBB54_684:
	s_mov_b64 s[14:15], 0
.LBB54_685:
	s_andn2_b64 vcc, exec, s[14:15]
	s_cbranch_vccnz .LBB54_728
; %bb.686:
	s_and_b32 s14, s11, 0x7fffffff
	s_cmp_gt_u32 s14, 0x437fffff
	v_mov_b32_e32 v4, 0x80
	s_cbranch_scc1 .LBB54_727
; %bb.687:
	s_cmp_gt_u32 s14, 0x3bffffff
	s_cbranch_scc0 .LBB54_722
; %bb.688:
	s_bfe_u32 s14, s11, 0x10014
	s_add_i32 s14, s11, s14
	s_add_i32 s14, s14, 0x487ffff
	s_lshr_b32 s20, s14, 20
	s_mov_b64 s[16:17], 0
	s_mov_b64 s[14:15], -1
	s_branch .LBB54_723
.LBB54_689:
	s_mov_b64 s[14:15], 0
	s_cbranch_execnz .LBB54_794
.LBB54_690:
	s_andn2_b64 vcc, exec, s[14:15]
	s_cbranch_vccnz .LBB54_832
.LBB54_691:
	v_add_u32_e32 v0, s10, v2
	v_ashrrev_i32_e32 v1, 31, v0
	v_mov_b32_e32 v2, s9
	v_add_co_u32_e32 v0, vcc, s8, v0
	s_cmp_lt_i32 s18, 11
	v_addc_co_u32_e32 v1, vcc, v2, v1, vcc
	s_cbranch_scc1 .LBB54_720
; %bb.692:
	s_and_b32 s10, 0xffff, s18
	s_mov_b64 s[12:13], -1
	s_mov_b64 s[8:9], 0
	s_cmp_gt_i32 s10, 25
	s_mov_b64 s[4:5], 0
	s_cbranch_scc0 .LBB54_744
; %bb.693:
	s_cmp_gt_i32 s10, 28
	s_cbranch_scc0 .LBB54_709
; %bb.694:
	s_cmp_gt_i32 s10, 43
	s_cbranch_scc0 .LBB54_705
; %bb.695:
	s_cmp_gt_i32 s10, 45
	s_cbranch_scc0 .LBB54_699
; %bb.696:
	s_cmp_eq_u32 s10, 46
	s_mov_b64 s[4:5], -1
	s_cbranch_scc0 .LBB54_698
; %bb.697:
	s_bfe_u32 s4, s11, 0x10010
	s_add_i32 s4, s11, s4
	s_addk_i32 s4, 0x7fff
	s_lshr_b32 s12, s4, 16
	v_cmp_o_f32_e64 s[4:5], s11, s11
	s_and_b64 s[4:5], s[4:5], exec
	s_cselect_b32 s4, s12, 0x7fc0
	v_mov_b32_e32 v2, s4
	global_store_dword v[0:1], v2, off
	s_mov_b64 s[4:5], 0
.LBB54_698:
	s_mov_b64 s[12:13], 0
.LBB54_699:
	s_and_b64 vcc, exec, s[12:13]
	s_cbranch_vccz .LBB54_704
; %bb.700:
	s_cmp_eq_u32 s10, 44
	s_mov_b64 s[4:5], -1
	s_cbranch_scc0 .LBB54_704
; %bb.701:
	s_bfe_u32 s4, s11, 0x80017
	s_cmpk_eq_i32 s4, 0xff
	v_mov_b32_e32 v2, 0xff
	s_cbranch_scc1 .LBB54_703
; %bb.702:
	s_lshr_b32 s14, s11, 23
	s_bitcmp1_b32 s11, 22
	s_cselect_b64 s[12:13], -1, 0
	s_and_b32 s5, s11, 0x3fffff
	s_or_b32 s4, s4, s5
	s_cmp_lg_u32 s4, 0
	s_cselect_b64 s[4:5], -1, 0
	s_and_b64 s[4:5], s[12:13], s[4:5]
	v_cndmask_b32_e64 v2, 0, 1, s[4:5]
	v_add_u32_e32 v2, s14, v2
.LBB54_703:
	s_mov_b64 s[4:5], 0
	global_store_byte v[0:1], v2, off
.LBB54_704:
	s_mov_b64 s[12:13], 0
.LBB54_705:
	s_and_b64 vcc, exec, s[12:13]
	s_cbranch_vccz .LBB54_708
; %bb.706:
	s_cmp_eq_u32 s10, 29
	s_mov_b64 s[4:5], -1
	s_cbranch_scc0 .LBB54_708
; %bb.707:
	v_trunc_f32_e32 v2, s11
	v_mul_f32_e32 v3, 0x2f800000, v2
	v_floor_f32_e32 v4, v3
	v_fmac_f32_e32 v2, 0xcf800000, v4
	v_cvt_u32_f32_e32 v3, v4
	v_cvt_u32_f32_e32 v2, v2
	s_mov_b64 s[4:5], 0
	global_store_dwordx2 v[0:1], v[2:3], off
.LBB54_708:
	s_mov_b64 s[12:13], 0
.LBB54_709:
	s_and_b64 vcc, exec, s[12:13]
	s_cbranch_vccz .LBB54_743
; %bb.710:
	s_cmp_lt_i32 s10, 27
	s_mov_b64 s[12:13], -1
	s_cbranch_scc1 .LBB54_716
; %bb.711:
	v_cvt_u32_f32_e32 v2, s11
	s_cmp_gt_i32 s10, 27
	s_cbranch_scc0 .LBB54_713
; %bb.712:
	global_store_dword v[0:1], v2, off
	s_mov_b64 s[12:13], 0
.LBB54_713:
	s_andn2_b64 vcc, exec, s[12:13]
	s_cbranch_vccnz .LBB54_715
; %bb.714:
	global_store_short v[0:1], v2, off
.LBB54_715:
	s_mov_b64 s[12:13], 0
.LBB54_716:
	s_andn2_b64 vcc, exec, s[12:13]
	s_cbranch_vccnz .LBB54_743
; %bb.717:
	s_and_b32 s12, s11, 0x7fffffff
	s_cmp_gt_u32 s12, 0x437fffff
	v_mov_b32_e32 v3, 0x80
	s_cbranch_scc1 .LBB54_742
; %bb.718:
	s_cmp_gt_u32 s12, 0x3bffffff
	s_cbranch_scc0 .LBB54_737
; %bb.719:
	s_bfe_u32 s12, s11, 0x10014
	s_add_i32 s12, s11, s12
	s_add_i32 s12, s12, 0x487ffff
	s_lshr_b32 s16, s12, 20
	s_mov_b64 s[14:15], 0
	s_mov_b64 s[12:13], -1
	s_branch .LBB54_738
.LBB54_720:
	s_mov_b64 s[8:9], 0
	s_mov_b64 s[4:5], -1
	s_branch .LBB54_833
.LBB54_721:
	s_trap 2
	s_or_b64 s[6:7], s[6:7], exec
	s_cbranch_execz .LBB54_621
	s_branch .LBB54_622
.LBB54_722:
	s_mov_b64 s[16:17], -1
	s_mov_b64 s[14:15], 0
                                        ; implicit-def: $sgpr20
.LBB54_723:
	s_andn2_b64 vcc, exec, s[16:17]
	v_mov_b32_e32 v3, s20
	s_cbranch_vccnz .LBB54_725
; %bb.724:
	v_mov_b32_e32 v3, 0x46000000
	v_add_f32_e64 v3, |s11|, v3
	v_and_b32_e32 v3, 0xff, v3
	v_cmp_ne_u32_e64 s[14:15], 0, v3
.LBB54_725:
	s_andn2_b64 vcc, exec, s[14:15]
	v_mov_b32_e32 v4, 0
	s_cbranch_vccnz .LBB54_727
; %bb.726:
	s_lshr_b32 s14, s11, 24
	s_and_b32 s14, s14, 0x80
	v_or_b32_e32 v4, s14, v3
.LBB54_727:
	global_store_byte v[0:1], v4, off
.LBB54_728:
	s_mov_b64 s[14:15], -1
.LBB54_729:
	s_mov_b64 s[16:17], 0
.LBB54_730:
	s_and_b64 vcc, exec, s[16:17]
	s_cbranch_vccz .LBB54_790
; %bb.731:
	s_cmp_gt_i32 s19, 22
	s_mov_b64 s[12:13], -1
	s_cbranch_scc0 .LBB54_783
; %bb.732:
	s_cmp_lt_i32 s19, 24
	s_cbranch_scc1 .LBB54_770
; %bb.733:
	s_cmp_gt_i32 s19, 24
	s_cbranch_scc0 .LBB54_757
; %bb.734:
	s_and_b32 s12, s11, 0x7fffffff
	s_cmp_gt_u32 s12, 0x477fffff
	v_mov_b32_e32 v4, 0x80
	s_cbranch_scc1 .LBB54_756
; %bb.735:
	s_cmp_gt_u32 s12, 0x37ffffff
	s_cbranch_scc0 .LBB54_751
; %bb.736:
	s_bfe_u32 s12, s11, 0x10015
	s_add_i32 s12, s11, s12
	s_add_i32 s12, s12, 0x88fffff
	s_lshr_b32 s16, s12, 21
	s_mov_b64 s[14:15], 0
	s_mov_b64 s[12:13], -1
	s_branch .LBB54_752
.LBB54_737:
	s_mov_b64 s[14:15], -1
	s_mov_b64 s[12:13], 0
                                        ; implicit-def: $sgpr16
.LBB54_738:
	s_andn2_b64 vcc, exec, s[14:15]
	v_mov_b32_e32 v2, s16
	s_cbranch_vccnz .LBB54_740
; %bb.739:
	v_mov_b32_e32 v2, 0x46000000
	v_add_f32_e64 v2, |s11|, v2
	v_and_b32_e32 v2, 0xff, v2
	v_cmp_ne_u32_e64 s[12:13], 0, v2
.LBB54_740:
	s_andn2_b64 vcc, exec, s[12:13]
	v_mov_b32_e32 v3, 0
	s_cbranch_vccnz .LBB54_742
; %bb.741:
	s_lshr_b32 s12, s11, 24
	s_and_b32 s12, s12, 0x80
	v_or_b32_e32 v3, s12, v2
.LBB54_742:
	global_store_byte v[0:1], v3, off
.LBB54_743:
	s_mov_b64 s[12:13], 0
.LBB54_744:
	s_and_b64 vcc, exec, s[12:13]
	s_cbranch_vccz .LBB54_914
; %bb.745:
	s_cmp_gt_i32 s10, 22
	s_mov_b64 s[8:9], -1
	s_cbranch_scc0 .LBB54_907
; %bb.746:
	s_cmp_lt_i32 s10, 24
	s_cbranch_scc1 .LBB54_894
; %bb.747:
	s_cmp_gt_i32 s10, 24
	s_cbranch_scc0 .LBB54_881
; %bb.748:
	s_and_b32 s8, s11, 0x7fffffff
	s_cmp_gt_u32 s8, 0x477fffff
	v_mov_b32_e32 v3, 0x80
	s_cbranch_scc1 .LBB54_880
; %bb.749:
	s_cmp_gt_u32 s8, 0x37ffffff
	s_cbranch_scc0 .LBB54_875
; %bb.750:
	s_bfe_u32 s8, s11, 0x10015
	s_add_i32 s8, s11, s8
	s_add_i32 s8, s8, 0x88fffff
	s_lshr_b32 s14, s8, 21
	s_mov_b64 s[12:13], 0
	s_mov_b64 s[8:9], -1
	s_branch .LBB54_876
.LBB54_751:
	s_mov_b64 s[14:15], -1
	s_mov_b64 s[12:13], 0
                                        ; implicit-def: $sgpr16
.LBB54_752:
	s_andn2_b64 vcc, exec, s[14:15]
	v_mov_b32_e32 v3, s16
	s_cbranch_vccnz .LBB54_754
; %bb.753:
	v_mov_b32_e32 v3, 0x42800000
	v_add_f32_e64 v3, |s11|, v3
	v_and_b32_e32 v3, 0xff, v3
	v_cmp_ne_u32_e64 s[12:13], 0, v3
.LBB54_754:
	s_andn2_b64 vcc, exec, s[12:13]
	v_mov_b32_e32 v4, 0
	s_cbranch_vccnz .LBB54_756
; %bb.755:
	s_lshr_b32 s12, s11, 24
	s_and_b32 s12, s12, 0x80
	v_or_b32_e32 v4, s12, v3
.LBB54_756:
	s_mov_b64 s[12:13], 0
	global_store_byte v[0:1], v4, off
.LBB54_757:
	s_and_b64 vcc, exec, s[12:13]
	s_cbranch_vccz .LBB54_769
; %bb.758:
	s_and_b32 s14, s11, 0x7fffffff
	s_cmp_lt_u32 s14, 0x43f00000
	s_cbranch_scc0 .LBB54_761
; %bb.759:
	s_cmp_gt_u32 s14, 0x3c7fffff
	s_cbranch_scc0 .LBB54_762
; %bb.760:
	s_bfe_u32 s12, s11, 0x10014
	s_add_i32 s12, s11, s12
	s_add_i32 s12, s12, 0x407ffff
	s_lshr_b32 s13, s12, 20
	s_and_b32 s12, s12, 0xff00000
	s_cmp_lg_u32 s12, 0x7f00000
	s_cselect_b32 s15, s13, 0x7e
	s_mov_b64 s[12:13], 0
	s_branch .LBB54_763
.LBB54_761:
	s_mov_b64 s[12:13], -1
                                        ; implicit-def: $vgpr3
	s_branch .LBB54_766
.LBB54_762:
	s_mov_b64 s[12:13], -1
                                        ; implicit-def: $sgpr15
.LBB54_763:
	s_andn2_b64 vcc, exec, s[12:13]
	v_mov_b32_e32 v3, s15
	s_cbranch_vccnz .LBB54_765
; %bb.764:
	v_mov_b32_e32 v3, 0x46800000
	v_add_f32_e64 v3, |s11|, v3
.LBB54_765:
	s_mov_b64 s[12:13], 0
.LBB54_766:
	s_andn2_b64 vcc, exec, s[12:13]
	s_cbranch_vccnz .LBB54_768
; %bb.767:
	s_cmp_gt_u32 s14, 0x7f800000
	s_movk_i32 s12, 0x7f
	s_cselect_b32 s12, s12, 0x7e
	v_mov_b32_e32 v3, s12
.LBB54_768:
	s_lshr_b32 s12, s11, 24
	s_and_b32 s12, s12, 0x80
	v_or_b32_e32 v3, s12, v3
	global_store_byte v[0:1], v3, off
.LBB54_769:
	s_mov_b64 s[12:13], 0
.LBB54_770:
	s_andn2_b64 vcc, exec, s[12:13]
	s_cbranch_vccnz .LBB54_782
; %bb.771:
	s_and_b32 s14, s11, 0x7fffffff
	s_cmp_lt_u32 s14, 0x47800000
	s_cbranch_scc0 .LBB54_774
; %bb.772:
	s_cmp_gt_u32 s14, 0x387fffff
	s_cbranch_scc0 .LBB54_775
; %bb.773:
	s_bfe_u32 s12, s11, 0x10015
	s_add_i32 s12, s11, s12
	s_add_i32 s12, s12, 0x80fffff
	s_lshr_b32 s15, s12, 21
	s_mov_b64 s[12:13], 0
	s_branch .LBB54_776
.LBB54_774:
	s_mov_b64 s[12:13], -1
                                        ; implicit-def: $vgpr3
	s_branch .LBB54_779
.LBB54_775:
	s_mov_b64 s[12:13], -1
                                        ; implicit-def: $sgpr15
.LBB54_776:
	s_andn2_b64 vcc, exec, s[12:13]
	v_mov_b32_e32 v3, s15
	s_cbranch_vccnz .LBB54_778
; %bb.777:
	v_mov_b32_e32 v3, 0x43000000
	v_add_f32_e64 v3, |s11|, v3
.LBB54_778:
	s_mov_b64 s[12:13], 0
.LBB54_779:
	s_andn2_b64 vcc, exec, s[12:13]
	s_cbranch_vccnz .LBB54_781
; %bb.780:
	s_cmp_gt_u32 s14, 0x7f800000
	s_movk_i32 s12, 0x7f
	s_cselect_b32 s12, s12, 0x7c
	v_mov_b32_e32 v3, s12
.LBB54_781:
	s_lshr_b32 s12, s11, 24
	s_and_b32 s12, s12, 0x80
	v_or_b32_e32 v3, s12, v3
	global_store_byte v[0:1], v3, off
.LBB54_782:
	s_mov_b64 s[12:13], 0
	s_mov_b64 s[14:15], -1
.LBB54_783:
	s_andn2_b64 vcc, exec, s[12:13]
	s_mov_b64 s[12:13], 0
	s_cbranch_vccnz .LBB54_790
; %bb.784:
	s_cmp_gt_i32 s19, 14
	s_mov_b64 s[16:17], -1
	s_cbranch_scc0 .LBB54_788
; %bb.785:
	s_cmp_eq_u32 s19, 15
	s_mov_b64 s[4:5], -1
	s_cbranch_scc0 .LBB54_787
; %bb.786:
	s_bfe_u32 s4, s11, 0x10010
	s_add_i32 s4, s11, s4
	s_addk_i32 s4, 0x7fff
	s_lshr_b32 s12, s4, 16
	v_cmp_o_f32_e64 s[4:5], s11, s11
	s_and_b64 s[4:5], s[4:5], exec
	s_cselect_b32 s4, s12, 0x7fc0
	v_mov_b32_e32 v3, s4
	global_store_short v[0:1], v3, off
	s_mov_b64 s[4:5], 0
	s_mov_b64 s[14:15], -1
.LBB54_787:
	s_mov_b64 s[16:17], 0
.LBB54_788:
	s_mov_b64 s[12:13], 0
	s_and_b64 vcc, exec, s[16:17]
	s_cbranch_vccz .LBB54_790
; %bb.789:
	s_cmp_lg_u32 s19, 11
	s_mov_b64 s[12:13], -1
	s_cselect_b64 s[4:5], -1, 0
.LBB54_790:
	s_and_b64 vcc, exec, s[4:5]
	s_cbranch_vccnz .LBB54_874
; %bb.791:
	s_andn2_b64 vcc, exec, s[12:13]
	s_cbranch_vccnz .LBB54_793
.LBB54_792:
	v_cmp_neq_f32_e64 s[4:5], s11, 0
	v_cndmask_b32_e64 v3, 0, 1, s[4:5]
	s_mov_b64 s[14:15], -1
	global_store_byte v[0:1], v3, off
.LBB54_793:
	s_branch .LBB54_690
.LBB54_794:
	s_and_b32 s12, 0xffff, s18
	s_cmp_lt_i32 s12, 5
	s_mov_b64 s[4:5], -1
	s_cbranch_scc1 .LBB54_815
; %bb.795:
	s_cmp_lt_i32 s12, 8
	s_cbranch_scc1 .LBB54_805
; %bb.796:
	s_cmp_lt_i32 s12, 9
	s_cbranch_scc1 .LBB54_802
; %bb.797:
	s_cmp_gt_i32 s12, 9
	s_cbranch_scc0 .LBB54_799
; %bb.798:
	v_cvt_f64_f32_e32 v[3:4], s11
	v_mov_b32_e32 v5, 0
	v_mov_b32_e32 v6, v5
	s_mov_b64 s[4:5], 0
	global_store_dwordx4 v[0:1], v[3:6], off
.LBB54_799:
	s_andn2_b64 vcc, exec, s[4:5]
	s_cbranch_vccnz .LBB54_801
; %bb.800:
	v_mov_b32_e32 v3, s11
	v_mov_b32_e32 v4, 0
	global_store_dwordx2 v[0:1], v[3:4], off
.LBB54_801:
	s_mov_b64 s[4:5], 0
.LBB54_802:
	s_andn2_b64 vcc, exec, s[4:5]
	s_cbranch_vccnz .LBB54_804
; %bb.803:
	v_cvt_f16_f32_e32 v3, s11
	global_store_dword v[0:1], v3, off
.LBB54_804:
	s_mov_b64 s[4:5], 0
.LBB54_805:
	s_andn2_b64 vcc, exec, s[4:5]
	s_cbranch_vccnz .LBB54_814
; %bb.806:
	s_cmp_lt_i32 s12, 6
	s_mov_b64 s[4:5], -1
	s_cbranch_scc1 .LBB54_812
; %bb.807:
	s_cmp_gt_i32 s12, 6
	s_cbranch_scc0 .LBB54_809
; %bb.808:
	v_cvt_f64_f32_e32 v[3:4], s11
	s_mov_b64 s[4:5], 0
	global_store_dwordx2 v[0:1], v[3:4], off
.LBB54_809:
	s_andn2_b64 vcc, exec, s[4:5]
	s_cbranch_vccnz .LBB54_811
; %bb.810:
	v_mov_b32_e32 v3, s11
	global_store_dword v[0:1], v3, off
.LBB54_811:
	s_mov_b64 s[4:5], 0
.LBB54_812:
	s_andn2_b64 vcc, exec, s[4:5]
	s_cbranch_vccnz .LBB54_814
; %bb.813:
	v_cvt_f16_f32_e32 v3, s11
	global_store_short v[0:1], v3, off
.LBB54_814:
	s_mov_b64 s[4:5], 0
.LBB54_815:
	s_andn2_b64 vcc, exec, s[4:5]
	s_cbranch_vccnz .LBB54_831
; %bb.816:
	s_cmp_lt_i32 s12, 2
	s_mov_b64 s[4:5], -1
	s_cbranch_scc1 .LBB54_826
; %bb.817:
	s_cmp_lt_i32 s12, 3
	s_cbranch_scc1 .LBB54_823
; %bb.818:
	s_cmp_gt_i32 s12, 3
	s_cbranch_scc0 .LBB54_820
; %bb.819:
	v_trunc_f32_e32 v3, s11
	s_mov_b32 s4, 0x2f800000
	v_mul_f32_e64 v4, |v3|, s4
	v_floor_f32_e32 v4, v4
	s_mov_b32 s4, 0xcf800000
	v_fma_f32 v5, v4, s4, |v3|
	v_cvt_u32_f32_e32 v5, v5
	v_cvt_u32_f32_e32 v4, v4
	v_ashrrev_i32_e32 v6, 31, v3
	s_mov_b64 s[4:5], 0
	v_xor_b32_e32 v3, v5, v6
	v_xor_b32_e32 v4, v4, v6
	v_sub_co_u32_e32 v3, vcc, v3, v6
	v_subb_co_u32_e32 v4, vcc, v4, v6, vcc
	global_store_dwordx2 v[0:1], v[3:4], off
.LBB54_820:
	s_andn2_b64 vcc, exec, s[4:5]
	s_cbranch_vccnz .LBB54_822
; %bb.821:
	v_cvt_i32_f32_e32 v3, s11
	global_store_dword v[0:1], v3, off
.LBB54_822:
	s_mov_b64 s[4:5], 0
.LBB54_823:
	s_andn2_b64 vcc, exec, s[4:5]
	s_cbranch_vccnz .LBB54_825
; %bb.824:
	v_cvt_i32_f32_e32 v3, s11
	global_store_short v[0:1], v3, off
.LBB54_825:
	s_mov_b64 s[4:5], 0
.LBB54_826:
	s_andn2_b64 vcc, exec, s[4:5]
	s_cbranch_vccnz .LBB54_831
; %bb.827:
	s_cmp_gt_i32 s12, 0
	s_mov_b64 s[4:5], -1
	s_cbranch_scc0 .LBB54_829
; %bb.828:
	v_cvt_i32_f32_e32 v3, s11
	s_mov_b64 s[4:5], 0
	global_store_byte v[0:1], v3, off
.LBB54_829:
	s_andn2_b64 vcc, exec, s[4:5]
	s_cbranch_vccnz .LBB54_831
; %bb.830:
	v_trunc_f32_e32 v3, s11
	s_mov_b32 s4, 0x2f800000
	v_mul_f32_e64 v4, |v3|, s4
	v_floor_f32_e32 v4, v4
	s_mov_b32 s4, 0xcf800000
	v_fma_f32 v4, v4, s4, |v3|
	v_cvt_u32_f32_e32 v4, v4
	v_ashrrev_i32_e32 v3, 31, v3
	v_xor_b32_e32 v4, v4, v3
	v_sub_u32_e32 v3, v4, v3
	global_store_byte v[0:1], v3, off
.LBB54_831:
	s_branch .LBB54_691
.LBB54_832:
	s_mov_b64 s[4:5], 0
	s_mov_b64 s[8:9], 0
                                        ; implicit-def: $sgpr18
                                        ; implicit-def: $vgpr0_vgpr1
.LBB54_833:
	s_andn2_b64 s[0:1], s[0:1], exec
	s_and_b64 s[6:7], s[6:7], exec
	s_and_b64 s[12:13], s[4:5], exec
	;; [unrolled: 1-line block ×3, first 2 shown]
	s_or_b64 s[0:1], s[0:1], s[6:7]
	s_or_b64 exec, exec, s[2:3]
	s_and_saveexec_b64 s[2:3], s[0:1]
	s_cbranch_execnz .LBB54_434
.LBB54_834:
	s_or_b64 exec, exec, s[2:3]
	s_and_saveexec_b64 s[0:1], s[4:5]
	s_xor_b64 s[0:1], exec, s[0:1]
	s_cbranch_execz .LBB54_435
.LBB54_835:
	v_cmp_neq_f32_e64 s[2:3], s11, 0
	v_cndmask_b32_e64 v2, 0, 1, s[2:3]
	global_store_byte v[0:1], v2, off
	s_or_b64 exec, exec, s[0:1]
	s_and_saveexec_b64 s[0:1], s[12:13]
	s_cbranch_execz .LBB54_873
.LBB54_836:
	s_sext_i32_i16 s2, s18
	s_cmp_lt_i32 s2, 5
	s_mov_b64 s[0:1], -1
	s_cbranch_scc1 .LBB54_857
; %bb.837:
	s_cmp_lt_i32 s2, 8
	s_cbranch_scc1 .LBB54_847
; %bb.838:
	s_cmp_lt_i32 s2, 9
	s_cbranch_scc1 .LBB54_844
; %bb.839:
	s_cmp_gt_i32 s2, 9
	s_cbranch_scc0 .LBB54_841
; %bb.840:
	v_cvt_f64_f32_e32 v[2:3], s11
	v_mov_b32_e32 v4, 0
	v_mov_b32_e32 v5, v4
	s_mov_b64 s[0:1], 0
	global_store_dwordx4 v[0:1], v[2:5], off
.LBB54_841:
	s_andn2_b64 vcc, exec, s[0:1]
	s_cbranch_vccnz .LBB54_843
; %bb.842:
	v_mov_b32_e32 v2, s11
	v_mov_b32_e32 v3, 0
	global_store_dwordx2 v[0:1], v[2:3], off
.LBB54_843:
	s_mov_b64 s[0:1], 0
.LBB54_844:
	s_andn2_b64 vcc, exec, s[0:1]
	s_cbranch_vccnz .LBB54_846
; %bb.845:
	v_cvt_f16_f32_e32 v2, s11
	global_store_dword v[0:1], v2, off
.LBB54_846:
	s_mov_b64 s[0:1], 0
.LBB54_847:
	s_andn2_b64 vcc, exec, s[0:1]
	s_cbranch_vccnz .LBB54_856
; %bb.848:
	s_sext_i32_i16 s2, s18
	s_cmp_lt_i32 s2, 6
	s_mov_b64 s[0:1], -1
	s_cbranch_scc1 .LBB54_854
; %bb.849:
	s_cmp_gt_i32 s2, 6
	s_cbranch_scc0 .LBB54_851
; %bb.850:
	v_cvt_f64_f32_e32 v[2:3], s11
	s_mov_b64 s[0:1], 0
	global_store_dwordx2 v[0:1], v[2:3], off
.LBB54_851:
	s_andn2_b64 vcc, exec, s[0:1]
	s_cbranch_vccnz .LBB54_853
; %bb.852:
	v_mov_b32_e32 v2, s11
	global_store_dword v[0:1], v2, off
.LBB54_853:
	s_mov_b64 s[0:1], 0
.LBB54_854:
	s_andn2_b64 vcc, exec, s[0:1]
	s_cbranch_vccnz .LBB54_856
; %bb.855:
	v_cvt_f16_f32_e32 v2, s11
	global_store_short v[0:1], v2, off
.LBB54_856:
	s_mov_b64 s[0:1], 0
.LBB54_857:
	s_andn2_b64 vcc, exec, s[0:1]
	s_cbranch_vccnz .LBB54_873
; %bb.858:
	s_sext_i32_i16 s2, s18
	s_cmp_lt_i32 s2, 2
	s_mov_b64 s[0:1], -1
	s_cbranch_scc1 .LBB54_868
; %bb.859:
	s_cmp_lt_i32 s2, 3
	s_cbranch_scc1 .LBB54_865
; %bb.860:
	s_cmp_gt_i32 s2, 3
	s_cbranch_scc0 .LBB54_862
; %bb.861:
	v_trunc_f32_e32 v2, s11
	s_mov_b32 s0, 0x2f800000
	v_mul_f32_e64 v3, |v2|, s0
	v_floor_f32_e32 v3, v3
	s_mov_b32 s0, 0xcf800000
	v_fma_f32 v4, v3, s0, |v2|
	v_cvt_u32_f32_e32 v4, v4
	v_cvt_u32_f32_e32 v3, v3
	v_ashrrev_i32_e32 v5, 31, v2
	s_mov_b64 s[0:1], 0
	v_xor_b32_e32 v2, v4, v5
	v_xor_b32_e32 v3, v3, v5
	v_sub_co_u32_e32 v2, vcc, v2, v5
	v_subb_co_u32_e32 v3, vcc, v3, v5, vcc
	global_store_dwordx2 v[0:1], v[2:3], off
.LBB54_862:
	s_andn2_b64 vcc, exec, s[0:1]
	s_cbranch_vccnz .LBB54_864
; %bb.863:
	v_cvt_i32_f32_e32 v2, s11
	global_store_dword v[0:1], v2, off
.LBB54_864:
	s_mov_b64 s[0:1], 0
.LBB54_865:
	s_andn2_b64 vcc, exec, s[0:1]
	s_cbranch_vccnz .LBB54_867
; %bb.866:
	v_cvt_i32_f32_e32 v2, s11
	global_store_short v[0:1], v2, off
.LBB54_867:
	s_mov_b64 s[0:1], 0
.LBB54_868:
	s_andn2_b64 vcc, exec, s[0:1]
	s_cbranch_vccnz .LBB54_873
; %bb.869:
	s_sext_i32_i16 s0, s18
	s_cmp_gt_i32 s0, 0
	s_mov_b64 s[0:1], -1
	s_cbranch_scc0 .LBB54_871
; %bb.870:
	v_cvt_i32_f32_e32 v2, s11
	s_mov_b64 s[0:1], 0
	global_store_byte v[0:1], v2, off
.LBB54_871:
	s_andn2_b64 vcc, exec, s[0:1]
	s_cbranch_vccnz .LBB54_873
; %bb.872:
	v_trunc_f32_e32 v2, s11
	s_mov_b32 s0, 0x2f800000
	v_mul_f32_e64 v3, |v2|, s0
	v_floor_f32_e32 v3, v3
	s_mov_b32 s0, 0xcf800000
	v_fma_f32 v3, v3, s0, |v2|
	v_cvt_u32_f32_e32 v3, v3
	v_ashrrev_i32_e32 v2, 31, v2
	v_xor_b32_e32 v3, v3, v2
	v_sub_u32_e32 v2, v3, v2
	global_store_byte v[0:1], v2, off
	s_endpgm
.LBB54_873:
	s_endpgm
.LBB54_874:
	s_trap 2
	s_or_b64 s[6:7], s[6:7], exec
	s_cbranch_execz .LBB54_792
	s_branch .LBB54_793
.LBB54_875:
	s_mov_b64 s[12:13], -1
	s_mov_b64 s[8:9], 0
                                        ; implicit-def: $sgpr14
.LBB54_876:
	s_andn2_b64 vcc, exec, s[12:13]
	v_mov_b32_e32 v2, s14
	s_cbranch_vccnz .LBB54_878
; %bb.877:
	v_mov_b32_e32 v2, 0x42800000
	v_add_f32_e64 v2, |s11|, v2
	v_and_b32_e32 v2, 0xff, v2
	v_cmp_ne_u32_e64 s[8:9], 0, v2
.LBB54_878:
	s_andn2_b64 vcc, exec, s[8:9]
	v_mov_b32_e32 v3, 0
	s_cbranch_vccnz .LBB54_880
; %bb.879:
	s_lshr_b32 s8, s11, 24
	s_and_b32 s8, s8, 0x80
	v_or_b32_e32 v3, s8, v2
.LBB54_880:
	s_mov_b64 s[8:9], 0
	global_store_byte v[0:1], v3, off
.LBB54_881:
	s_and_b64 vcc, exec, s[8:9]
	s_cbranch_vccz .LBB54_893
; %bb.882:
	s_and_b32 s12, s11, 0x7fffffff
	s_cmp_lt_u32 s12, 0x43f00000
	s_cbranch_scc0 .LBB54_885
; %bb.883:
	s_cmp_gt_u32 s12, 0x3c7fffff
	s_cbranch_scc0 .LBB54_886
; %bb.884:
	s_bfe_u32 s8, s11, 0x10014
	s_add_i32 s8, s11, s8
	s_add_i32 s8, s8, 0x407ffff
	s_lshr_b32 s9, s8, 20
	s_and_b32 s8, s8, 0xff00000
	s_cmp_lg_u32 s8, 0x7f00000
	s_cselect_b32 s13, s9, 0x7e
	s_mov_b64 s[8:9], 0
	s_branch .LBB54_887
.LBB54_885:
	s_mov_b64 s[8:9], -1
                                        ; implicit-def: $vgpr2
	s_branch .LBB54_890
.LBB54_886:
	s_mov_b64 s[8:9], -1
                                        ; implicit-def: $sgpr13
.LBB54_887:
	s_andn2_b64 vcc, exec, s[8:9]
	v_mov_b32_e32 v2, s13
	s_cbranch_vccnz .LBB54_889
; %bb.888:
	v_mov_b32_e32 v2, 0x46800000
	v_add_f32_e64 v2, |s11|, v2
.LBB54_889:
	s_mov_b64 s[8:9], 0
.LBB54_890:
	s_andn2_b64 vcc, exec, s[8:9]
	s_cbranch_vccnz .LBB54_892
; %bb.891:
	s_cmp_gt_u32 s12, 0x7f800000
	s_movk_i32 s8, 0x7f
	s_cselect_b32 s8, s8, 0x7e
	v_mov_b32_e32 v2, s8
.LBB54_892:
	s_lshr_b32 s8, s11, 24
	s_and_b32 s8, s8, 0x80
	v_or_b32_e32 v2, s8, v2
	global_store_byte v[0:1], v2, off
.LBB54_893:
	s_mov_b64 s[8:9], 0
.LBB54_894:
	s_andn2_b64 vcc, exec, s[8:9]
	s_cbranch_vccnz .LBB54_906
; %bb.895:
	s_and_b32 s12, s11, 0x7fffffff
	s_cmp_lt_u32 s12, 0x47800000
	s_cbranch_scc0 .LBB54_898
; %bb.896:
	s_cmp_gt_u32 s12, 0x387fffff
	s_cbranch_scc0 .LBB54_899
; %bb.897:
	s_bfe_u32 s8, s11, 0x10015
	s_add_i32 s8, s11, s8
	s_add_i32 s8, s8, 0x80fffff
	s_lshr_b32 s13, s8, 21
	s_mov_b64 s[8:9], 0
	s_branch .LBB54_900
.LBB54_898:
	s_mov_b64 s[8:9], -1
                                        ; implicit-def: $vgpr2
	s_branch .LBB54_903
.LBB54_899:
	s_mov_b64 s[8:9], -1
                                        ; implicit-def: $sgpr13
.LBB54_900:
	s_andn2_b64 vcc, exec, s[8:9]
	v_mov_b32_e32 v2, s13
	s_cbranch_vccnz .LBB54_902
; %bb.901:
	v_mov_b32_e32 v2, 0x43000000
	v_add_f32_e64 v2, |s11|, v2
.LBB54_902:
	s_mov_b64 s[8:9], 0
.LBB54_903:
	s_andn2_b64 vcc, exec, s[8:9]
	s_cbranch_vccnz .LBB54_905
; %bb.904:
	s_cmp_gt_u32 s12, 0x7f800000
	s_movk_i32 s8, 0x7f
	s_cselect_b32 s8, s8, 0x7c
	v_mov_b32_e32 v2, s8
.LBB54_905:
	s_lshr_b32 s8, s11, 24
	s_and_b32 s8, s8, 0x80
	v_or_b32_e32 v2, s8, v2
	global_store_byte v[0:1], v2, off
.LBB54_906:
	s_mov_b64 s[8:9], 0
.LBB54_907:
	s_andn2_b64 vcc, exec, s[8:9]
	s_mov_b64 s[8:9], 0
	s_cbranch_vccnz .LBB54_914
; %bb.908:
	s_cmp_gt_i32 s10, 14
	s_mov_b64 s[12:13], -1
	s_cbranch_scc0 .LBB54_912
; %bb.909:
	s_cmp_eq_u32 s10, 15
	s_mov_b64 s[4:5], -1
	s_cbranch_scc0 .LBB54_911
; %bb.910:
	s_bfe_u32 s4, s11, 0x10010
	s_add_i32 s4, s11, s4
	s_addk_i32 s4, 0x7fff
	s_lshr_b32 s8, s4, 16
	v_cmp_o_f32_e64 s[4:5], s11, s11
	s_and_b64 s[4:5], s[4:5], exec
	s_cselect_b32 s4, s8, 0x7fc0
	v_mov_b32_e32 v2, s4
	global_store_short v[0:1], v2, off
	s_mov_b64 s[4:5], 0
.LBB54_911:
	s_mov_b64 s[12:13], 0
.LBB54_912:
	s_mov_b64 s[8:9], 0
	s_and_b64 vcc, exec, s[12:13]
	s_cbranch_vccz .LBB54_914
; %bb.913:
	s_cmp_lg_u32 s10, 11
	s_mov_b64 s[8:9], -1
	s_cselect_b64 s[4:5], -1, 0
.LBB54_914:
	s_and_b64 vcc, exec, s[4:5]
	s_cbranch_vccnz .LBB54_916
.LBB54_915:
	s_mov_b64 s[4:5], 0
	s_branch .LBB54_833
.LBB54_916:
	s_mov_b64 s[8:9], 0
	s_or_b64 s[6:7], s[6:7], exec
	s_trap 2
	s_branch .LBB54_915
	.section	.rodata,"a",@progbits
	.p2align	6, 0x0
	.amdhsa_kernel _ZN2at6native32elementwise_kernel_manual_unrollILi128ELi4EZNS0_15gpu_kernel_implINS0_11FillFunctorIfEEEEvRNS_18TensorIteratorBaseERKT_EUlibE_EEviT1_
		.amdhsa_group_segment_fixed_size 0
		.amdhsa_private_segment_fixed_size 0
		.amdhsa_kernarg_size 32
		.amdhsa_user_sgpr_count 6
		.amdhsa_user_sgpr_private_segment_buffer 1
		.amdhsa_user_sgpr_dispatch_ptr 0
		.amdhsa_user_sgpr_queue_ptr 0
		.amdhsa_user_sgpr_kernarg_segment_ptr 1
		.amdhsa_user_sgpr_dispatch_id 0
		.amdhsa_user_sgpr_flat_scratch_init 0
		.amdhsa_user_sgpr_private_segment_size 0
		.amdhsa_uses_dynamic_stack 0
		.amdhsa_system_sgpr_private_segment_wavefront_offset 0
		.amdhsa_system_sgpr_workgroup_id_x 1
		.amdhsa_system_sgpr_workgroup_id_y 0
		.amdhsa_system_sgpr_workgroup_id_z 0
		.amdhsa_system_sgpr_workgroup_info 0
		.amdhsa_system_vgpr_workitem_id 0
		.amdhsa_next_free_vgpr 16
		.amdhsa_next_free_sgpr 65
		.amdhsa_reserve_vcc 1
		.amdhsa_reserve_flat_scratch 0
		.amdhsa_float_round_mode_32 0
		.amdhsa_float_round_mode_16_64 0
		.amdhsa_float_denorm_mode_32 3
		.amdhsa_float_denorm_mode_16_64 3
		.amdhsa_dx10_clamp 1
		.amdhsa_ieee_mode 1
		.amdhsa_fp16_overflow 0
		.amdhsa_exception_fp_ieee_invalid_op 0
		.amdhsa_exception_fp_denorm_src 0
		.amdhsa_exception_fp_ieee_div_zero 0
		.amdhsa_exception_fp_ieee_overflow 0
		.amdhsa_exception_fp_ieee_underflow 0
		.amdhsa_exception_fp_ieee_inexact 0
		.amdhsa_exception_int_div_zero 0
	.end_amdhsa_kernel
	.section	.text._ZN2at6native32elementwise_kernel_manual_unrollILi128ELi4EZNS0_15gpu_kernel_implINS0_11FillFunctorIfEEEEvRNS_18TensorIteratorBaseERKT_EUlibE_EEviT1_,"axG",@progbits,_ZN2at6native32elementwise_kernel_manual_unrollILi128ELi4EZNS0_15gpu_kernel_implINS0_11FillFunctorIfEEEEvRNS_18TensorIteratorBaseERKT_EUlibE_EEviT1_,comdat
.Lfunc_end54:
	.size	_ZN2at6native32elementwise_kernel_manual_unrollILi128ELi4EZNS0_15gpu_kernel_implINS0_11FillFunctorIfEEEEvRNS_18TensorIteratorBaseERKT_EUlibE_EEviT1_, .Lfunc_end54-_ZN2at6native32elementwise_kernel_manual_unrollILi128ELi4EZNS0_15gpu_kernel_implINS0_11FillFunctorIfEEEEvRNS_18TensorIteratorBaseERKT_EUlibE_EEviT1_
                                        ; -- End function
	.set _ZN2at6native32elementwise_kernel_manual_unrollILi128ELi4EZNS0_15gpu_kernel_implINS0_11FillFunctorIfEEEEvRNS_18TensorIteratorBaseERKT_EUlibE_EEviT1_.num_vgpr, 16
	.set _ZN2at6native32elementwise_kernel_manual_unrollILi128ELi4EZNS0_15gpu_kernel_implINS0_11FillFunctorIfEEEEvRNS_18TensorIteratorBaseERKT_EUlibE_EEviT1_.num_agpr, 0
	.set _ZN2at6native32elementwise_kernel_manual_unrollILi128ELi4EZNS0_15gpu_kernel_implINS0_11FillFunctorIfEEEEvRNS_18TensorIteratorBaseERKT_EUlibE_EEviT1_.numbered_sgpr, 65
	.set _ZN2at6native32elementwise_kernel_manual_unrollILi128ELi4EZNS0_15gpu_kernel_implINS0_11FillFunctorIfEEEEvRNS_18TensorIteratorBaseERKT_EUlibE_EEviT1_.num_named_barrier, 0
	.set _ZN2at6native32elementwise_kernel_manual_unrollILi128ELi4EZNS0_15gpu_kernel_implINS0_11FillFunctorIfEEEEvRNS_18TensorIteratorBaseERKT_EUlibE_EEviT1_.private_seg_size, 0
	.set _ZN2at6native32elementwise_kernel_manual_unrollILi128ELi4EZNS0_15gpu_kernel_implINS0_11FillFunctorIfEEEEvRNS_18TensorIteratorBaseERKT_EUlibE_EEviT1_.uses_vcc, 1
	.set _ZN2at6native32elementwise_kernel_manual_unrollILi128ELi4EZNS0_15gpu_kernel_implINS0_11FillFunctorIfEEEEvRNS_18TensorIteratorBaseERKT_EUlibE_EEviT1_.uses_flat_scratch, 0
	.set _ZN2at6native32elementwise_kernel_manual_unrollILi128ELi4EZNS0_15gpu_kernel_implINS0_11FillFunctorIfEEEEvRNS_18TensorIteratorBaseERKT_EUlibE_EEviT1_.has_dyn_sized_stack, 0
	.set _ZN2at6native32elementwise_kernel_manual_unrollILi128ELi4EZNS0_15gpu_kernel_implINS0_11FillFunctorIfEEEEvRNS_18TensorIteratorBaseERKT_EUlibE_EEviT1_.has_recursion, 0
	.set _ZN2at6native32elementwise_kernel_manual_unrollILi128ELi4EZNS0_15gpu_kernel_implINS0_11FillFunctorIfEEEEvRNS_18TensorIteratorBaseERKT_EUlibE_EEviT1_.has_indirect_call, 0
	.section	.AMDGPU.csdata,"",@progbits
; Kernel info:
; codeLenInByte = 12724
; TotalNumSgprs: 69
; NumVgprs: 16
; ScratchSize: 0
; MemoryBound: 0
; FloatMode: 240
; IeeeMode: 1
; LDSByteSize: 0 bytes/workgroup (compile time only)
; SGPRBlocks: 8
; VGPRBlocks: 3
; NumSGPRsForWavesPerEU: 69
; NumVGPRsForWavesPerEU: 16
; Occupancy: 10
; WaveLimiterHint : 0
; COMPUTE_PGM_RSRC2:SCRATCH_EN: 0
; COMPUTE_PGM_RSRC2:USER_SGPR: 6
; COMPUTE_PGM_RSRC2:TRAP_HANDLER: 0
; COMPUTE_PGM_RSRC2:TGID_X_EN: 1
; COMPUTE_PGM_RSRC2:TGID_Y_EN: 0
; COMPUTE_PGM_RSRC2:TGID_Z_EN: 0
; COMPUTE_PGM_RSRC2:TIDIG_COMP_CNT: 0
	.section	.text._ZN2at6native32elementwise_kernel_manual_unrollILi128ELi4EZNS0_15gpu_kernel_implINS0_11FillFunctorIfEEEEvRNS_18TensorIteratorBaseERKT_EUlibE0_EEviT1_,"axG",@progbits,_ZN2at6native32elementwise_kernel_manual_unrollILi128ELi4EZNS0_15gpu_kernel_implINS0_11FillFunctorIfEEEEvRNS_18TensorIteratorBaseERKT_EUlibE0_EEviT1_,comdat
	.protected	_ZN2at6native32elementwise_kernel_manual_unrollILi128ELi4EZNS0_15gpu_kernel_implINS0_11FillFunctorIfEEEEvRNS_18TensorIteratorBaseERKT_EUlibE0_EEviT1_ ; -- Begin function _ZN2at6native32elementwise_kernel_manual_unrollILi128ELi4EZNS0_15gpu_kernel_implINS0_11FillFunctorIfEEEEvRNS_18TensorIteratorBaseERKT_EUlibE0_EEviT1_
	.globl	_ZN2at6native32elementwise_kernel_manual_unrollILi128ELi4EZNS0_15gpu_kernel_implINS0_11FillFunctorIfEEEEvRNS_18TensorIteratorBaseERKT_EUlibE0_EEviT1_
	.p2align	8
	.type	_ZN2at6native32elementwise_kernel_manual_unrollILi128ELi4EZNS0_15gpu_kernel_implINS0_11FillFunctorIfEEEEvRNS_18TensorIteratorBaseERKT_EUlibE0_EEviT1_,@function
_ZN2at6native32elementwise_kernel_manual_unrollILi128ELi4EZNS0_15gpu_kernel_implINS0_11FillFunctorIfEEEEvRNS_18TensorIteratorBaseERKT_EUlibE0_EEviT1_: ; @_ZN2at6native32elementwise_kernel_manual_unrollILi128ELi4EZNS0_15gpu_kernel_implINS0_11FillFunctorIfEEEEvRNS_18TensorIteratorBaseERKT_EUlibE0_EEviT1_
; %bb.0:
	s_load_dword s93, s[4:5], 0x0
	s_load_dword s33, s[4:5], 0x8
	s_add_u32 s28, s4, 8
	s_addc_u32 s29, s5, 0
	v_lshl_or_b32 v11, s6, 9, v0
	v_or_b32_e32 v8, 0x180, v11
	s_waitcnt lgkmcnt(0)
	s_add_i32 s80, s33, -1
	s_cmp_gt_u32 s80, 1
	v_cmp_le_i32_e32 vcc, s93, v8
	s_cselect_b64 s[34:35], -1, 0
	s_mov_b64 s[30:31], 0
	s_mov_b64 s[20:21], 0
	s_and_saveexec_b64 s[0:1], vcc
	s_xor_b64 s[2:3], exec, s[0:1]
	s_cbranch_execz .LBB55_462
; %bb.1:
	s_load_dwordx2 s[56:57], s[28:29], 0xc4
	s_load_dwordx4 s[12:15], s[28:29], 0x108
	s_cmp_lg_u32 s33, 0
	s_cselect_b64 s[64:65], -1, 0
	s_add_u32 s60, s28, 0xc4
	s_addc_u32 s61, s29, 0
	s_min_u32 s94, s80, 15
	s_cmp_gt_u32 s33, 1
	s_cselect_b64 s[58:59], -1, 0
	s_waitcnt lgkmcnt(0)
	s_lshr_b32 s10, s14, 23
	s_bfe_u32 s6, s14, 0x80017
	s_cmpk_eq_i32 s6, 0xff
	s_cselect_b64 s[0:1], -1, 0
	s_bitcmp1_b32 s14, 22
	s_cselect_b64 s[4:5], -1, 0
	s_and_b32 s7, s14, 0x3fffff
	s_or_b32 s6, s6, s7
	v_trunc_f32_e32 v2, s14
	s_cmp_lg_u32 s6, 0
	v_mul_f32_e32 v0, 0x2f800000, v2
	s_cselect_b64 s[6:7], -1, 0
	v_floor_f32_e32 v0, v0
	v_mov_b32_e32 v1, v2
	s_and_b64 s[4:5], s[4:5], s[6:7]
	v_cvt_u32_f32_e32 v7, v0
	v_fmac_f32_e32 v1, 0xcf800000, v0
	v_cndmask_b32_e64 v0, 0, 1, s[4:5]
	s_and_b32 s4, s14, 0x7fffffff
	s_cmp_lt_u32 s4, 0x43800000
	s_cselect_b64 s[52:53], -1, 0
	s_cmp_gt_u32 s4, 0x3bffffff
	v_add_u32_e32 v15, s10, v0
	s_cselect_b64 s[50:51], -1, 0
	s_bfe_u32 s5, s14, 0x10014
	v_mov_b32_e32 v0, 0x46000000
	s_add_i32 s5, s14, s5
	v_add_f32_e64 v0, |s14|, v0
	s_add_i32 s6, s5, 0x487ffff
	v_readfirstlane_b32 s92, v0
	s_lshr_b32 s91, s6, 20
	s_and_b32 s6, s92, 0xff
	s_cmp_lg_u32 s6, 0
	s_cselect_b64 s[54:55], -1, 0
	s_lshr_b32 s6, s14, 24
	s_and_b32 s81, s6, 0x80
	s_cmp_gt_u32 s4, 0x477fffff
	s_cselect_b64 s[36:37], -1, 0
	s_cmp_lt_u32 s4, 0x47800000
	s_cselect_b64 s[46:47], -1, 0
	s_cmp_gt_u32 s4, 0x37ffffff
	s_cselect_b64 s[44:45], -1, 0
	s_bfe_u32 s6, s14, 0x10015
	v_mov_b32_e32 v0, 0x42800000
	s_add_i32 s6, s14, s6
	v_add_f32_e64 v0, |s14|, v0
	s_add_i32 s7, s6, 0x88fffff
	v_readfirstlane_b32 s90, v0
	s_lshr_b32 s88, s7, 21
	s_and_b32 s7, s90, 0xff
	s_cmp_lg_u32 s7, 0
	s_cselect_b64 s[48:49], -1, 0
	s_cmp_gt_u32 s4, 0x43efffff
	s_cselect_b64 s[40:41], -1, 0
	s_cmp_lt_u32 s4, 0x3c800000
	s_cselect_b64 s[42:43], -1, 0
	s_add_i32 s5, s5, 0x407ffff
	s_lshr_b32 s7, s5, 20
	s_and_b32 s5, s5, 0xff00000
	s_cmp_lg_u32 s5, 0x7f00000
	s_mov_b32 s8, 0x2f800000
	s_cselect_b32 s86, s7, 0x7e
	s_cmp_lt_u32 s4, 0x38800000
	s_cselect_b64 s[38:39], -1, 0
	s_add_i32 s6, s6, 0x80fffff
	v_mul_f32_e64 v3, |v2|, s8
	s_mov_b32 s9, 0xcf800000
	s_lshr_b32 s83, s6, 21
	v_floor_f32_e32 v3, v3
	s_cmp_gt_u32 s4, 0x7f800000
	s_movk_i32 s4, 0x7f
	v_fma_f32 v4, v3, s9, |v2|
	v_mov_b32_e32 v0, 0x46800000
	s_cselect_b32 s89, s4, 0x7e
	s_movk_i32 s4, 0x7c
	v_cvt_u32_f32_e32 v4, v4
	v_add_f32_e64 v0, |s14|, v0
	s_cselect_b32 s85, 0x7f, s4
	s_bfe_u32 s4, s14, 0x10010
	v_cvt_u32_f32_e32 v3, v3
	v_readfirstlane_b32 s87, v0
	v_mov_b32_e32 v0, 0x43000000
	s_add_i32 s4, s14, s4
	v_add_f32_e64 v0, |s14|, v0
	s_addk_i32 s4, 0x7fff
	v_ashrrev_i32_e32 v2, 31, v2
	s_load_dwordx2 s[62:63], s[28:29], 0x14
	s_load_dwordx4 s[16:19], s[28:29], 0x4
	v_cvt_u32_f32_e32 v6, v1
	v_cvt_u32_f32_e32 v14, s14
	v_readfirstlane_b32 s84, v0
	s_lshr_b32 s6, s4, 16
	v_cmp_o_f32_e64 s[4:5], s14, s14
	v_cvt_f64_f32_e32 v[0:1], s14
	v_cvt_f16_f32_e32 v12, s14
	v_xor_b32_e32 v4, v4, v2
	v_cvt_i32_f32_e32 v10, s14
	s_and_b64 s[4:5], s[4:5], exec
	v_xor_b32_e32 v3, v3, v2
	v_sub_co_u32_e32 v4, vcc, v4, v2
	v_cmp_neq_f32_e64 s[4:5], s14, 0
	v_subb_co_u32_e32 v5, vcc, v3, v2, vcc
	s_cselect_b32 s82, s6, 0x7fc0
	v_cndmask_b32_e64 v13, 0, 1, s[4:5]
	v_cmp_gt_i32_e32 vcc, s93, v11
	s_mov_b64 s[6:7], -1
	s_mov_b64 s[72:73], 0
	s_mov_b64 s[66:67], 0
	s_and_saveexec_b64 s[68:69], vcc
	s_cbranch_execz .LBB55_114
; %bb.2:
	s_andn2_b64 vcc, exec, s[34:35]
	s_cbranch_vccnz .LBB55_7
; %bb.3:
	s_andn2_b64 vcc, exec, s[64:65]
	s_cbranch_vccnz .LBB55_8
; %bb.4:
	s_add_i32 s75, s94, 1
	s_cmp_eq_u32 s80, 2
	s_cbranch_scc1 .LBB55_9
; %bb.5:
	s_and_b32 s74, s75, 28
	s_mov_b32 s76, 0
	v_mov_b32_e32 v2, 0
	s_mov_b64 s[66:67], s[28:29]
	s_mov_b64 s[70:71], s[60:61]
	v_mov_b32_e32 v3, v11
.LBB55_6:                               ; =>This Inner Loop Header: Depth=1
	s_load_dwordx8 s[4:11], s[66:67], 0x4
	s_load_dwordx4 s[20:23], s[66:67], 0x24
	s_load_dwordx4 s[24:27], s[70:71], 0x0
	s_add_u32 s66, s66, 48
	s_addc_u32 s67, s67, 0
	s_waitcnt lgkmcnt(0)
	v_mul_hi_u32 v8, s5, v3
	s_add_i32 s76, s76, 4
	s_add_u32 s70, s70, 16
	s_addc_u32 s71, s71, 0
	v_add_u32_e32 v8, v3, v8
	v_lshrrev_b32_e32 v8, s6, v8
	v_mul_lo_u32 v9, v8, s4
	v_mul_hi_u32 v16, s8, v8
	s_cmp_lg_u32 s74, s76
	v_sub_u32_e32 v3, v3, v9
	v_add_u32_e32 v9, v8, v16
	v_lshrrev_b32_e32 v9, s9, v9
	v_mul_lo_u32 v16, v3, s24
	v_mul_hi_u32 v3, s11, v9
	v_mul_lo_u32 v18, v9, s7
	v_add_u32_e32 v3, v9, v3
	v_lshrrev_b32_e32 v17, s20, v3
	v_mul_hi_u32 v3, s22, v17
	v_sub_u32_e32 v8, v8, v18
	v_mul_lo_u32 v18, v17, s10
	v_mul_lo_u32 v8, v8, s25
	v_add_u32_e32 v3, v17, v3
	v_lshrrev_b32_e32 v3, s23, v3
	v_mul_lo_u32 v19, v3, s21
	v_sub_u32_e32 v9, v9, v18
	v_mul_lo_u32 v9, v9, s26
	v_add3_u32 v2, v16, v2, v8
	v_sub_u32_e32 v17, v17, v19
	v_mul_lo_u32 v17, v17, s27
	v_add3_u32 v2, v9, v2, v17
	s_cbranch_scc1 .LBB55_6
	s_branch .LBB55_10
.LBB55_7:
                                        ; implicit-def: $vgpr2
	s_branch .LBB55_14
.LBB55_8:
	v_mov_b32_e32 v2, 0
	s_branch .LBB55_13
.LBB55_9:
	v_mov_b32_e32 v2, 0
	s_mov_b32 s74, 0
	v_mov_b32_e32 v3, v11
.LBB55_10:
	s_and_b32 s8, s75, 3
	s_cmp_eq_u32 s8, 0
	s_cbranch_scc1 .LBB55_13
; %bb.11:
	s_lshl_b32 s4, s74, 2
	s_add_u32 s4, s28, s4
	s_addc_u32 s5, s29, 0
	s_add_u32 s4, s4, 0xc4
	s_addc_u32 s5, s5, 0
	s_mul_i32 s6, s74, 12
	s_add_u32 s6, s28, s6
	s_addc_u32 s7, s29, 0
.LBB55_12:                              ; =>This Inner Loop Header: Depth=1
	s_load_dwordx2 s[10:11], s[6:7], 0x4
	s_load_dword s9, s[6:7], 0xc
	s_add_u32 s6, s6, 12
	s_addc_u32 s7, s7, 0
	s_waitcnt lgkmcnt(0)
	v_mul_hi_u32 v8, s11, v3
	s_load_dword s11, s[4:5], 0x0
	s_add_u32 s4, s4, 4
	s_addc_u32 s5, s5, 0
	v_add_u32_e32 v8, v3, v8
	v_lshrrev_b32_e32 v8, s9, v8
	v_mul_lo_u32 v9, v8, s10
	s_add_i32 s8, s8, -1
	s_cmp_lg_u32 s8, 0
	v_sub_u32_e32 v3, v3, v9
	s_waitcnt lgkmcnt(0)
	v_mad_u64_u32 v[2:3], s[10:11], v3, s11, v[2:3]
	v_mov_b32_e32 v3, v8
	s_cbranch_scc1 .LBB55_12
.LBB55_13:
	s_cbranch_execnz .LBB55_16
.LBB55_14:
	s_waitcnt lgkmcnt(0)
	v_mul_hi_u32 v2, s17, v11
	s_andn2_b64 vcc, exec, s[58:59]
	v_add_u32_e32 v2, v11, v2
	v_lshrrev_b32_e32 v3, s18, v2
	v_mul_lo_u32 v2, v3, s16
	v_sub_u32_e32 v2, v11, v2
	v_mul_lo_u32 v2, v2, s56
	s_cbranch_vccnz .LBB55_16
; %bb.15:
	v_mul_hi_u32 v8, s62, v3
	v_add_u32_e32 v8, v3, v8
	v_lshrrev_b32_e32 v8, s63, v8
	v_mul_lo_u32 v8, v8, s19
	v_sub_u32_e32 v3, v3, v8
	v_mad_u64_u32 v[2:3], s[4:5], v3, s57, v[2:3]
.LBB55_16:
	v_mov_b32_e32 v3, s13
	s_and_b32 s10, s15, 0xff
	v_add_co_u32_e32 v8, vcc, s12, v2
	s_cmp_lt_i32 s10, 11
	v_addc_co_u32_e32 v9, vcc, 0, v3, vcc
	s_cbranch_scc1 .LBB55_23
; %bb.17:
	s_and_b32 s11, 0xffff, s10
	s_cmp_gt_i32 s11, 25
	s_cbranch_scc0 .LBB55_26
; %bb.18:
	s_cmp_gt_i32 s11, 28
	s_cbranch_scc0 .LBB55_27
; %bb.19:
	;; [unrolled: 3-line block ×4, first 2 shown]
	s_mov_b64 s[8:9], 0
	s_mov_b64 s[4:5], -1
	s_cmp_eq_u32 s11, 46
	s_mov_b64 s[6:7], 0
	s_cbranch_scc0 .LBB55_30
; %bb.22:
	v_mov_b32_e32 v2, s82
	global_store_dword v[8:9], v2, off
	s_mov_b64 s[6:7], -1
	s_mov_b64 s[4:5], 0
	s_branch .LBB55_30
.LBB55_23:
	s_mov_b64 s[4:5], 0
	s_mov_b64 s[6:7], 0
	s_cbranch_execnz .LBB55_74
.LBB55_24:
	s_andn2_b64 vcc, exec, s[6:7]
	s_cbranch_vccnz .LBB55_112
.LBB55_25:
	v_add_u32_e32 v11, 0x80, v11
	s_mov_b64 s[6:7], -1
	s_branch .LBB55_113
.LBB55_26:
	s_mov_b64 s[4:5], 0
	s_mov_b64 s[6:7], 0
	s_cbranch_execnz .LBB55_52
	s_branch .LBB55_73
.LBB55_27:
	s_mov_b64 s[8:9], -1
	s_mov_b64 s[4:5], 0
	s_mov_b64 s[6:7], 0
	s_branch .LBB55_38
.LBB55_28:
	s_mov_b64 s[8:9], -1
	s_mov_b64 s[4:5], 0
	s_mov_b64 s[6:7], 0
	s_branch .LBB55_34
.LBB55_29:
	s_mov_b64 s[8:9], -1
	s_mov_b64 s[4:5], 0
	s_mov_b64 s[6:7], 0
.LBB55_30:
	s_and_b64 vcc, exec, s[8:9]
	s_cbranch_vccz .LBB55_33
; %bb.31:
	s_cmp_eq_u32 s11, 44
	s_mov_b64 s[4:5], -1
	s_cbranch_scc0 .LBB55_33
; %bb.32:
	v_mov_b32_e32 v2, 0xffff
	v_cndmask_b32_e64 v2, v15, v2, s[0:1]
	global_store_byte v[8:9], v2, off
	s_mov_b64 s[6:7], -1
	s_mov_b64 s[4:5], 0
.LBB55_33:
	s_mov_b64 s[8:9], 0
.LBB55_34:
	s_and_b64 vcc, exec, s[8:9]
	s_cbranch_vccz .LBB55_37
; %bb.35:
	s_cmp_eq_u32 s11, 29
	s_mov_b64 s[4:5], -1
	s_cbranch_scc0 .LBB55_37
; %bb.36:
	global_store_dwordx2 v[8:9], v[6:7], off
	s_mov_b64 s[6:7], -1
	s_mov_b64 s[4:5], 0
.LBB55_37:
	s_mov_b64 s[8:9], 0
.LBB55_38:
	s_and_b64 vcc, exec, s[8:9]
	s_cbranch_vccz .LBB55_51
; %bb.39:
	s_cmp_lt_i32 s11, 27
	s_mov_b64 s[6:7], -1
	s_cbranch_scc1 .LBB55_45
; %bb.40:
	s_cmp_gt_i32 s11, 27
	s_cbranch_scc0 .LBB55_42
; %bb.41:
	s_mov_b64 s[6:7], 0
	global_store_dword v[8:9], v14, off
.LBB55_42:
	s_andn2_b64 vcc, exec, s[6:7]
	s_cbranch_vccnz .LBB55_44
; %bb.43:
	global_store_short v[8:9], v14, off
.LBB55_44:
	s_mov_b64 s[6:7], 0
.LBB55_45:
	s_andn2_b64 vcc, exec, s[6:7]
	s_cbranch_vccnz .LBB55_50
; %bb.46:
	s_andn2_b64 vcc, exec, s[52:53]
	s_movk_i32 s6, 0x80
	s_cbranch_vccnz .LBB55_49
; %bb.47:
	s_or_b64 s[6:7], s[50:51], s[54:55]
	s_andn2_b64 vcc, exec, s[6:7]
	s_mov_b32 s6, 0
	s_cbranch_vccnz .LBB55_49
; %bb.48:
	s_and_b64 s[6:7], s[50:51], exec
	s_cselect_b32 s6, s91, s92
	s_or_b32 s6, s6, s81
.LBB55_49:
	v_mov_b32_e32 v2, s6
	global_store_byte v[8:9], v2, off
.LBB55_50:
	s_mov_b64 s[6:7], -1
.LBB55_51:
	s_branch .LBB55_73
.LBB55_52:
	s_cmp_gt_i32 s11, 22
	s_mov_b64 s[8:9], -1
	s_cbranch_scc0 .LBB55_65
; %bb.53:
	s_cmp_lt_i32 s11, 24
	s_mov_b64 s[6:7], -1
	s_cbranch_scc1 .LBB55_62
; %bb.54:
	s_cmp_gt_i32 s11, 24
	s_cbranch_scc0 .LBB55_59
; %bb.55:
	s_andn2_b64 vcc, exec, s[46:47]
	s_movk_i32 s6, 0x80
	s_cbranch_vccnz .LBB55_58
; %bb.56:
	s_or_b64 s[6:7], s[44:45], s[48:49]
	s_andn2_b64 vcc, exec, s[6:7]
	s_mov_b32 s6, 0
	s_cbranch_vccnz .LBB55_58
; %bb.57:
	s_and_b64 s[6:7], s[44:45], exec
	s_cselect_b32 s6, s88, s90
	s_or_b32 s6, s6, s81
.LBB55_58:
	v_mov_b32_e32 v2, s6
	s_mov_b64 s[6:7], 0
	global_store_byte v[8:9], v2, off
.LBB55_59:
	s_and_b64 vcc, exec, s[6:7]
	s_cbranch_vccz .LBB55_61
; %bb.60:
	s_and_b64 s[6:7], s[42:43], exec
	s_cselect_b32 s8, s87, s86
	s_and_b64 s[6:7], s[40:41], exec
	s_cselect_b32 s6, s89, s8
	s_or_b32 s6, s6, s81
	v_mov_b32_e32 v2, s6
	global_store_byte v[8:9], v2, off
.LBB55_61:
	s_mov_b64 s[6:7], 0
.LBB55_62:
	s_andn2_b64 vcc, exec, s[6:7]
	s_cbranch_vccnz .LBB55_64
; %bb.63:
	s_and_b64 s[6:7], s[38:39], exec
	s_cselect_b32 s8, s84, s83
	s_and_b64 s[6:7], s[36:37], exec
	s_cselect_b32 s6, s85, s8
	s_or_b32 s6, s6, s81
	v_mov_b32_e32 v2, s6
	global_store_byte v[8:9], v2, off
.LBB55_64:
	s_mov_b64 s[8:9], 0
	s_mov_b64 s[6:7], -1
.LBB55_65:
	s_andn2_b64 vcc, exec, s[8:9]
	s_cbranch_vccnz .LBB55_73
; %bb.66:
	s_cmp_gt_i32 s11, 14
	s_mov_b64 s[8:9], -1
	s_cbranch_scc0 .LBB55_70
; %bb.67:
	s_cmp_eq_u32 s11, 15
	s_mov_b64 s[4:5], -1
	s_cbranch_scc0 .LBB55_69
; %bb.68:
	v_mov_b32_e32 v2, s82
	global_store_short v[8:9], v2, off
	s_mov_b64 s[6:7], -1
	s_mov_b64 s[4:5], 0
.LBB55_69:
	s_mov_b64 s[8:9], 0
.LBB55_70:
	s_and_b64 vcc, exec, s[8:9]
	s_cbranch_vccz .LBB55_73
; %bb.71:
	s_cmp_eq_u32 s11, 11
	s_mov_b64 s[4:5], -1
	s_cbranch_scc0 .LBB55_73
; %bb.72:
	s_mov_b64 s[6:7], -1
	s_mov_b64 s[4:5], 0
	global_store_byte v[8:9], v13, off
.LBB55_73:
	s_branch .LBB55_24
.LBB55_74:
	s_and_b32 s8, 0xffff, s10
	s_cmp_lt_i32 s8, 5
	s_mov_b64 s[6:7], -1
	s_cbranch_scc1 .LBB55_95
; %bb.75:
	s_cmp_lt_i32 s8, 8
	s_cbranch_scc1 .LBB55_85
; %bb.76:
	s_cmp_lt_i32 s8, 9
	s_cbranch_scc1 .LBB55_82
; %bb.77:
	s_cmp_gt_i32 s8, 9
	s_cbranch_scc0 .LBB55_79
; %bb.78:
	v_mov_b32_e32 v2, 0
	v_mov_b32_e32 v3, v2
	global_store_dwordx4 v[8:9], v[0:3], off
	s_mov_b64 s[6:7], 0
.LBB55_79:
	s_andn2_b64 vcc, exec, s[6:7]
	s_cbranch_vccnz .LBB55_81
; %bb.80:
	v_mov_b32_e32 v2, s14
	v_mov_b32_e32 v3, 0
	global_store_dwordx2 v[8:9], v[2:3], off
.LBB55_81:
	s_mov_b64 s[6:7], 0
.LBB55_82:
	s_andn2_b64 vcc, exec, s[6:7]
	s_cbranch_vccnz .LBB55_84
; %bb.83:
	global_store_dword v[8:9], v12, off
.LBB55_84:
	s_mov_b64 s[6:7], 0
.LBB55_85:
	s_andn2_b64 vcc, exec, s[6:7]
	s_cbranch_vccnz .LBB55_94
; %bb.86:
	s_cmp_lt_i32 s8, 6
	s_mov_b64 s[6:7], -1
	s_cbranch_scc1 .LBB55_92
; %bb.87:
	s_cmp_gt_i32 s8, 6
	s_cbranch_scc0 .LBB55_89
; %bb.88:
	global_store_dwordx2 v[8:9], v[0:1], off
	s_mov_b64 s[6:7], 0
.LBB55_89:
	s_andn2_b64 vcc, exec, s[6:7]
	s_cbranch_vccnz .LBB55_91
; %bb.90:
	v_mov_b32_e32 v2, s14
	global_store_dword v[8:9], v2, off
.LBB55_91:
	s_mov_b64 s[6:7], 0
.LBB55_92:
	s_andn2_b64 vcc, exec, s[6:7]
	s_cbranch_vccnz .LBB55_94
; %bb.93:
	global_store_short v[8:9], v12, off
.LBB55_94:
	s_mov_b64 s[6:7], 0
.LBB55_95:
	s_andn2_b64 vcc, exec, s[6:7]
	s_cbranch_vccnz .LBB55_111
; %bb.96:
	s_cmp_lt_i32 s8, 2
	s_mov_b64 s[6:7], -1
	s_cbranch_scc1 .LBB55_106
; %bb.97:
	s_cmp_lt_i32 s8, 3
	s_cbranch_scc1 .LBB55_103
; %bb.98:
	s_cmp_gt_i32 s8, 3
	s_cbranch_scc0 .LBB55_100
; %bb.99:
	global_store_dwordx2 v[8:9], v[4:5], off
	s_mov_b64 s[6:7], 0
.LBB55_100:
	s_andn2_b64 vcc, exec, s[6:7]
	s_cbranch_vccnz .LBB55_102
; %bb.101:
	global_store_dword v[8:9], v10, off
.LBB55_102:
	s_mov_b64 s[6:7], 0
.LBB55_103:
	s_andn2_b64 vcc, exec, s[6:7]
	s_cbranch_vccnz .LBB55_105
; %bb.104:
	global_store_short v[8:9], v10, off
.LBB55_105:
	s_mov_b64 s[6:7], 0
.LBB55_106:
	s_andn2_b64 vcc, exec, s[6:7]
	s_cbranch_vccnz .LBB55_111
; %bb.107:
	s_cmp_gt_i32 s8, 0
	s_mov_b64 s[6:7], -1
	s_cbranch_scc0 .LBB55_109
; %bb.108:
	global_store_byte v[8:9], v10, off
	s_mov_b64 s[6:7], 0
.LBB55_109:
	s_andn2_b64 vcc, exec, s[6:7]
	s_cbranch_vccnz .LBB55_111
; %bb.110:
	global_store_byte v[8:9], v4, off
.LBB55_111:
	s_branch .LBB55_25
.LBB55_112:
	s_mov_b64 s[6:7], 0
                                        ; implicit-def: $vgpr11
.LBB55_113:
	s_and_b64 s[66:67], s[4:5], exec
	s_orn2_b64 s[6:7], s[6:7], exec
.LBB55_114:
	s_or_b64 exec, exec, s[68:69]
	s_mov_b64 s[4:5], 0
                                        ; implicit-def: $sgpr20
                                        ; implicit-def: $vgpr8_vgpr9
	s_and_saveexec_b64 s[68:69], s[6:7]
	s_cbranch_execz .LBB55_121
; %bb.115:
	v_cmp_gt_i32_e32 vcc, s93, v11
	s_mov_b64 s[4:5], -1
	s_mov_b64 s[70:71], s[66:67]
	s_and_saveexec_b64 s[72:73], vcc
	s_cbranch_execz .LBB55_232
; %bb.116:
	s_andn2_b64 vcc, exec, s[34:35]
	s_cbranch_vccnz .LBB55_124
; %bb.117:
	s_andn2_b64 vcc, exec, s[64:65]
	s_cbranch_vccnz .LBB55_125
; %bb.118:
	s_add_i32 s77, s94, 1
	s_cmp_eq_u32 s80, 2
	s_cbranch_scc1 .LBB55_126
; %bb.119:
	s_and_b32 s76, s77, 28
	s_mov_b32 s78, 0
	v_mov_b32_e32 v2, 0
	s_mov_b64 s[70:71], s[28:29]
	s_mov_b64 s[74:75], s[60:61]
	v_mov_b32_e32 v3, v11
.LBB55_120:                             ; =>This Inner Loop Header: Depth=1
	s_load_dwordx8 s[4:11], s[70:71], 0x4
	s_load_dwordx4 s[20:23], s[70:71], 0x24
	s_load_dwordx4 s[24:27], s[74:75], 0x0
	s_add_u32 s70, s70, 48
	s_addc_u32 s71, s71, 0
	s_waitcnt lgkmcnt(0)
	v_mul_hi_u32 v8, s5, v3
	s_add_i32 s78, s78, 4
	s_add_u32 s74, s74, 16
	s_addc_u32 s75, s75, 0
	v_add_u32_e32 v8, v3, v8
	v_lshrrev_b32_e32 v8, s6, v8
	v_mul_lo_u32 v9, v8, s4
	v_mul_hi_u32 v16, s8, v8
	s_cmp_eq_u32 s76, s78
	v_sub_u32_e32 v3, v3, v9
	v_add_u32_e32 v9, v8, v16
	v_lshrrev_b32_e32 v9, s9, v9
	v_mul_lo_u32 v16, v3, s24
	v_mul_hi_u32 v3, s11, v9
	v_mul_lo_u32 v18, v9, s7
	v_add_u32_e32 v3, v9, v3
	v_lshrrev_b32_e32 v17, s20, v3
	v_mul_hi_u32 v3, s22, v17
	v_sub_u32_e32 v8, v8, v18
	v_mul_lo_u32 v18, v17, s10
	v_mul_lo_u32 v8, v8, s25
	v_add_u32_e32 v3, v17, v3
	v_lshrrev_b32_e32 v3, s23, v3
	v_mul_lo_u32 v19, v3, s21
	v_sub_u32_e32 v9, v9, v18
	v_mul_lo_u32 v9, v9, s26
	v_add3_u32 v2, v16, v2, v8
	v_sub_u32_e32 v17, v17, v19
	v_mul_lo_u32 v17, v17, s27
	v_add3_u32 v2, v9, v2, v17
	s_cbranch_scc0 .LBB55_120
	s_branch .LBB55_127
.LBB55_121:
	s_or_b64 exec, exec, s[68:69]
	s_mov_b64 s[0:1], 0
	s_and_saveexec_b64 s[6:7], s[66:67]
	s_cbranch_execnz .LBB55_422
.LBB55_122:
	s_or_b64 exec, exec, s[6:7]
	s_and_saveexec_b64 s[6:7], s[72:73]
	s_xor_b64 s[6:7], exec, s[6:7]
	s_cbranch_execz .LBB55_423
.LBB55_123:
	global_store_byte v[8:9], v13, off
	s_or_b64 exec, exec, s[6:7]
	s_and_saveexec_b64 s[6:7], s[4:5]
	s_xor_b64 s[4:5], exec, s[6:7]
	s_cbranch_execz .LBB55_461
	s_branch .LBB55_424
.LBB55_124:
                                        ; implicit-def: $vgpr2
	s_andn2_b64 vcc, exec, s[4:5]
	s_cbranch_vccz .LBB55_131
	s_branch .LBB55_133
.LBB55_125:
	v_mov_b32_e32 v2, 0
	s_branch .LBB55_130
.LBB55_126:
	v_mov_b32_e32 v2, 0
	s_mov_b32 s76, 0
	v_mov_b32_e32 v3, v11
.LBB55_127:
	s_and_b32 s8, s77, 3
	s_cmp_eq_u32 s8, 0
	s_cbranch_scc1 .LBB55_130
; %bb.128:
	s_lshl_b32 s4, s76, 2
	s_add_u32 s4, s28, s4
	s_addc_u32 s5, s29, 0
	s_add_u32 s4, s4, 0xc4
	s_addc_u32 s5, s5, 0
	s_mul_i32 s6, s76, 12
	s_add_u32 s6, s28, s6
	s_addc_u32 s7, s29, 0
.LBB55_129:                             ; =>This Inner Loop Header: Depth=1
	s_load_dwordx2 s[10:11], s[6:7], 0x4
	s_load_dword s9, s[6:7], 0xc
	s_add_u32 s6, s6, 12
	s_addc_u32 s7, s7, 0
	s_waitcnt lgkmcnt(0)
	v_mul_hi_u32 v8, s11, v3
	s_load_dword s11, s[4:5], 0x0
	s_add_u32 s4, s4, 4
	s_addc_u32 s5, s5, 0
	v_add_u32_e32 v8, v3, v8
	v_lshrrev_b32_e32 v8, s9, v8
	v_mul_lo_u32 v9, v8, s10
	s_add_i32 s8, s8, -1
	s_cmp_lg_u32 s8, 0
	v_sub_u32_e32 v3, v3, v9
	s_waitcnt lgkmcnt(0)
	v_mad_u64_u32 v[2:3], s[10:11], v3, s11, v[2:3]
	v_mov_b32_e32 v3, v8
	s_cbranch_scc1 .LBB55_129
.LBB55_130:
	s_cbranch_execnz .LBB55_133
.LBB55_131:
	s_waitcnt lgkmcnt(0)
	v_mul_hi_u32 v2, s17, v11
	s_andn2_b64 vcc, exec, s[58:59]
	v_add_u32_e32 v2, v11, v2
	v_lshrrev_b32_e32 v3, s18, v2
	v_mul_lo_u32 v2, v3, s16
	v_sub_u32_e32 v2, v11, v2
	v_mul_lo_u32 v2, v2, s56
	s_cbranch_vccnz .LBB55_133
; %bb.132:
	v_mul_hi_u32 v8, s62, v3
	v_add_u32_e32 v8, v3, v8
	v_lshrrev_b32_e32 v8, s63, v8
	v_mul_lo_u32 v8, v8, s19
	v_sub_u32_e32 v3, v3, v8
	v_mad_u64_u32 v[2:3], s[4:5], v3, s57, v[2:3]
.LBB55_133:
	v_mov_b32_e32 v3, s13
	s_and_b32 s10, s15, 0xff
	v_add_co_u32_e32 v8, vcc, s12, v2
	s_cmp_lt_i32 s10, 11
	v_addc_co_u32_e32 v9, vcc, 0, v3, vcc
	s_cbranch_scc1 .LBB55_140
; %bb.134:
	s_and_b32 s11, 0xffff, s10
	s_cmp_gt_i32 s11, 25
	s_cbranch_scc0 .LBB55_143
; %bb.135:
	s_cmp_gt_i32 s11, 28
	s_cbranch_scc0 .LBB55_144
; %bb.136:
	;; [unrolled: 3-line block ×4, first 2 shown]
	s_mov_b64 s[8:9], 0
	s_mov_b64 s[4:5], -1
	s_cmp_eq_u32 s11, 46
	s_mov_b64 s[6:7], 0
	s_cbranch_scc0 .LBB55_147
; %bb.139:
	v_mov_b32_e32 v2, s82
	global_store_dword v[8:9], v2, off
	s_mov_b64 s[6:7], -1
	s_mov_b64 s[4:5], 0
	s_branch .LBB55_147
.LBB55_140:
	s_mov_b64 s[6:7], 0
	s_mov_b64 s[4:5], s[66:67]
	s_cbranch_execnz .LBB55_192
.LBB55_141:
	s_andn2_b64 vcc, exec, s[6:7]
	s_cbranch_vccnz .LBB55_230
.LBB55_142:
	v_add_u32_e32 v11, 0x80, v11
	s_mov_b64 s[6:7], -1
	s_branch .LBB55_231
.LBB55_143:
	s_mov_b64 s[8:9], -1
	s_mov_b64 s[6:7], 0
	s_mov_b64 s[4:5], s[66:67]
	s_branch .LBB55_169
.LBB55_144:
	s_mov_b64 s[8:9], -1
	s_mov_b64 s[6:7], 0
	s_mov_b64 s[4:5], s[66:67]
	s_branch .LBB55_155
.LBB55_145:
	s_mov_b64 s[8:9], -1
	s_mov_b64 s[6:7], 0
	s_mov_b64 s[4:5], s[66:67]
	s_branch .LBB55_151
.LBB55_146:
	s_mov_b64 s[8:9], -1
	s_mov_b64 s[6:7], 0
	s_mov_b64 s[4:5], s[66:67]
.LBB55_147:
	s_and_b64 vcc, exec, s[8:9]
	s_cbranch_vccz .LBB55_150
; %bb.148:
	s_cmp_eq_u32 s11, 44
	s_mov_b64 s[4:5], -1
	s_cbranch_scc0 .LBB55_150
; %bb.149:
	v_mov_b32_e32 v2, 0xffff
	v_cndmask_b32_e64 v2, v15, v2, s[0:1]
	s_mov_b64 s[6:7], -1
	s_mov_b64 s[4:5], 0
	global_store_byte v[8:9], v2, off
.LBB55_150:
	s_mov_b64 s[8:9], 0
.LBB55_151:
	s_and_b64 vcc, exec, s[8:9]
	s_cbranch_vccz .LBB55_154
; %bb.152:
	s_cmp_eq_u32 s11, 29
	s_mov_b64 s[4:5], -1
	s_cbranch_scc0 .LBB55_154
; %bb.153:
	global_store_dwordx2 v[8:9], v[6:7], off
	s_mov_b64 s[6:7], -1
	s_mov_b64 s[4:5], 0
.LBB55_154:
	s_mov_b64 s[8:9], 0
.LBB55_155:
	s_and_b64 vcc, exec, s[8:9]
	s_cbranch_vccz .LBB55_168
; %bb.156:
	s_cmp_lt_i32 s11, 27
	s_mov_b64 s[6:7], -1
	s_cbranch_scc1 .LBB55_162
; %bb.157:
	s_cmp_gt_i32 s11, 27
	s_cbranch_scc0 .LBB55_159
; %bb.158:
	s_mov_b64 s[6:7], 0
	global_store_dword v[8:9], v14, off
.LBB55_159:
	s_andn2_b64 vcc, exec, s[6:7]
	s_cbranch_vccnz .LBB55_161
; %bb.160:
	global_store_short v[8:9], v14, off
.LBB55_161:
	s_mov_b64 s[6:7], 0
.LBB55_162:
	s_andn2_b64 vcc, exec, s[6:7]
	s_cbranch_vccnz .LBB55_167
; %bb.163:
	s_andn2_b64 vcc, exec, s[52:53]
	s_movk_i32 s6, 0x80
	s_cbranch_vccnz .LBB55_166
; %bb.164:
	s_or_b64 s[6:7], s[50:51], s[54:55]
	s_andn2_b64 vcc, exec, s[6:7]
	s_mov_b32 s6, 0
	s_cbranch_vccnz .LBB55_166
; %bb.165:
	s_and_b64 s[6:7], s[50:51], exec
	s_cselect_b32 s6, s91, s92
	s_or_b32 s6, s6, s81
.LBB55_166:
	v_mov_b32_e32 v2, s6
	global_store_byte v[8:9], v2, off
.LBB55_167:
	s_mov_b64 s[6:7], -1
.LBB55_168:
	s_mov_b64 s[8:9], 0
.LBB55_169:
	s_and_b64 vcc, exec, s[8:9]
	s_cbranch_vccz .LBB55_191
; %bb.170:
	s_cmp_gt_i32 s11, 22
	s_mov_b64 s[8:9], -1
	s_cbranch_scc0 .LBB55_183
; %bb.171:
	s_cmp_lt_i32 s11, 24
	s_mov_b64 s[6:7], -1
	s_cbranch_scc1 .LBB55_180
; %bb.172:
	s_cmp_gt_i32 s11, 24
	s_cbranch_scc0 .LBB55_177
; %bb.173:
	s_andn2_b64 vcc, exec, s[46:47]
	s_movk_i32 s6, 0x80
	s_cbranch_vccnz .LBB55_176
; %bb.174:
	s_or_b64 s[6:7], s[44:45], s[48:49]
	s_andn2_b64 vcc, exec, s[6:7]
	s_mov_b32 s6, 0
	s_cbranch_vccnz .LBB55_176
; %bb.175:
	s_and_b64 s[6:7], s[44:45], exec
	s_cselect_b32 s6, s88, s90
	s_or_b32 s6, s6, s81
.LBB55_176:
	v_mov_b32_e32 v2, s6
	s_mov_b64 s[6:7], 0
	global_store_byte v[8:9], v2, off
.LBB55_177:
	s_and_b64 vcc, exec, s[6:7]
	s_cbranch_vccz .LBB55_179
; %bb.178:
	s_and_b64 s[6:7], s[42:43], exec
	s_cselect_b32 s8, s87, s86
	s_and_b64 s[6:7], s[40:41], exec
	s_cselect_b32 s6, s89, s8
	s_or_b32 s6, s6, s81
	v_mov_b32_e32 v2, s6
	global_store_byte v[8:9], v2, off
.LBB55_179:
	s_mov_b64 s[6:7], 0
.LBB55_180:
	s_andn2_b64 vcc, exec, s[6:7]
	s_cbranch_vccnz .LBB55_182
; %bb.181:
	s_and_b64 s[6:7], s[38:39], exec
	s_cselect_b32 s8, s84, s83
	s_and_b64 s[6:7], s[36:37], exec
	s_cselect_b32 s6, s85, s8
	s_or_b32 s6, s6, s81
	v_mov_b32_e32 v2, s6
	global_store_byte v[8:9], v2, off
.LBB55_182:
	s_mov_b64 s[8:9], 0
	s_mov_b64 s[6:7], -1
.LBB55_183:
	s_andn2_b64 vcc, exec, s[8:9]
	s_cbranch_vccnz .LBB55_191
; %bb.184:
	s_cmp_gt_i32 s11, 14
	s_mov_b64 s[8:9], -1
	s_cbranch_scc0 .LBB55_188
; %bb.185:
	s_cmp_eq_u32 s11, 15
	s_mov_b64 s[4:5], -1
	s_cbranch_scc0 .LBB55_187
; %bb.186:
	v_mov_b32_e32 v2, s82
	global_store_short v[8:9], v2, off
	s_mov_b64 s[6:7], -1
	s_mov_b64 s[4:5], 0
.LBB55_187:
	s_mov_b64 s[8:9], 0
.LBB55_188:
	s_and_b64 vcc, exec, s[8:9]
	s_cbranch_vccz .LBB55_191
; %bb.189:
	s_cmp_eq_u32 s11, 11
	s_mov_b64 s[4:5], -1
	s_cbranch_scc0 .LBB55_191
; %bb.190:
	s_mov_b64 s[6:7], -1
	s_mov_b64 s[4:5], 0
	global_store_byte v[8:9], v13, off
.LBB55_191:
	s_branch .LBB55_141
.LBB55_192:
	s_and_b32 s8, 0xffff, s10
	s_cmp_lt_i32 s8, 5
	s_mov_b64 s[6:7], -1
	s_cbranch_scc1 .LBB55_213
; %bb.193:
	s_cmp_lt_i32 s8, 8
	s_cbranch_scc1 .LBB55_203
; %bb.194:
	s_cmp_lt_i32 s8, 9
	s_cbranch_scc1 .LBB55_200
; %bb.195:
	s_cmp_gt_i32 s8, 9
	s_cbranch_scc0 .LBB55_197
; %bb.196:
	v_mov_b32_e32 v2, 0
	v_mov_b32_e32 v3, v2
	s_mov_b64 s[6:7], 0
	global_store_dwordx4 v[8:9], v[0:3], off
.LBB55_197:
	s_andn2_b64 vcc, exec, s[6:7]
	s_cbranch_vccnz .LBB55_199
; %bb.198:
	v_mov_b32_e32 v2, s14
	v_mov_b32_e32 v3, 0
	global_store_dwordx2 v[8:9], v[2:3], off
.LBB55_199:
	s_mov_b64 s[6:7], 0
.LBB55_200:
	s_andn2_b64 vcc, exec, s[6:7]
	s_cbranch_vccnz .LBB55_202
; %bb.201:
	global_store_dword v[8:9], v12, off
.LBB55_202:
	s_mov_b64 s[6:7], 0
.LBB55_203:
	s_andn2_b64 vcc, exec, s[6:7]
	s_cbranch_vccnz .LBB55_212
; %bb.204:
	s_cmp_lt_i32 s8, 6
	s_mov_b64 s[6:7], -1
	s_cbranch_scc1 .LBB55_210
; %bb.205:
	s_cmp_gt_i32 s8, 6
	s_cbranch_scc0 .LBB55_207
; %bb.206:
	s_mov_b64 s[6:7], 0
	global_store_dwordx2 v[8:9], v[0:1], off
.LBB55_207:
	s_andn2_b64 vcc, exec, s[6:7]
	s_cbranch_vccnz .LBB55_209
; %bb.208:
	v_mov_b32_e32 v2, s14
	global_store_dword v[8:9], v2, off
.LBB55_209:
	s_mov_b64 s[6:7], 0
.LBB55_210:
	s_andn2_b64 vcc, exec, s[6:7]
	s_cbranch_vccnz .LBB55_212
; %bb.211:
	global_store_short v[8:9], v12, off
.LBB55_212:
	s_mov_b64 s[6:7], 0
.LBB55_213:
	s_andn2_b64 vcc, exec, s[6:7]
	s_cbranch_vccnz .LBB55_229
; %bb.214:
	s_cmp_lt_i32 s8, 2
	s_mov_b64 s[6:7], -1
	s_cbranch_scc1 .LBB55_224
; %bb.215:
	s_cmp_lt_i32 s8, 3
	s_cbranch_scc1 .LBB55_221
; %bb.216:
	s_cmp_gt_i32 s8, 3
	s_cbranch_scc0 .LBB55_218
; %bb.217:
	s_mov_b64 s[6:7], 0
	global_store_dwordx2 v[8:9], v[4:5], off
.LBB55_218:
	s_andn2_b64 vcc, exec, s[6:7]
	s_cbranch_vccnz .LBB55_220
; %bb.219:
	global_store_dword v[8:9], v10, off
.LBB55_220:
	s_mov_b64 s[6:7], 0
.LBB55_221:
	s_andn2_b64 vcc, exec, s[6:7]
	s_cbranch_vccnz .LBB55_223
; %bb.222:
	global_store_short v[8:9], v10, off
.LBB55_223:
	s_mov_b64 s[6:7], 0
.LBB55_224:
	s_andn2_b64 vcc, exec, s[6:7]
	s_cbranch_vccnz .LBB55_229
; %bb.225:
	s_cmp_gt_i32 s8, 0
	s_mov_b64 s[6:7], -1
	s_cbranch_scc0 .LBB55_227
; %bb.226:
	s_mov_b64 s[6:7], 0
	global_store_byte v[8:9], v10, off
.LBB55_227:
	s_andn2_b64 vcc, exec, s[6:7]
	s_cbranch_vccnz .LBB55_229
; %bb.228:
	global_store_byte v[8:9], v4, off
.LBB55_229:
	s_branch .LBB55_142
.LBB55_230:
	s_mov_b64 s[6:7], 0
                                        ; implicit-def: $vgpr11
.LBB55_231:
	s_andn2_b64 s[8:9], s[66:67], exec
	s_and_b64 s[4:5], s[4:5], exec
	s_or_b64 s[70:71], s[8:9], s[4:5]
	s_orn2_b64 s[4:5], s[6:7], exec
.LBB55_232:
	s_or_b64 exec, exec, s[72:73]
	s_mov_b64 s[6:7], 0
	s_mov_b64 s[8:9], 0
                                        ; implicit-def: $sgpr20
                                        ; implicit-def: $vgpr8_vgpr9
	s_and_saveexec_b64 s[72:73], s[4:5]
	s_cbranch_execz .LBB55_421
; %bb.233:
	v_cmp_gt_i32_e32 vcc, s93, v11
	s_mov_b64 s[6:7], -1
	s_mov_b64 s[76:77], s[70:71]
	s_and_saveexec_b64 s[74:75], vcc
	s_cbranch_execz .LBB55_349
; %bb.234:
	s_andn2_b64 vcc, exec, s[34:35]
	s_cbranch_vccnz .LBB55_239
; %bb.235:
	s_andn2_b64 vcc, exec, s[64:65]
	s_cbranch_vccnz .LBB55_240
; %bb.236:
	s_add_i32 vcc_lo, s94, 1
	s_cmp_eq_u32 s80, 2
	s_cbranch_scc1 .LBB55_241
; %bb.237:
	s_and_b32 s95, vcc_lo, 28
	s_mov_b32 vcc_hi, 0
	v_mov_b32_e32 v2, 0
	s_mov_b64 s[76:77], s[28:29]
	s_mov_b64 s[78:79], s[60:61]
	v_mov_b32_e32 v3, v11
.LBB55_238:                             ; =>This Inner Loop Header: Depth=1
	s_load_dwordx8 s[4:11], s[76:77], 0x4
	s_load_dwordx4 s[20:23], s[76:77], 0x24
	s_load_dwordx4 s[24:27], s[78:79], 0x0
	s_add_u32 s76, s76, 48
	s_addc_u32 s77, s77, 0
	s_waitcnt lgkmcnt(0)
	v_mul_hi_u32 v8, s5, v3
	s_add_i32 vcc_hi, vcc_hi, 4
	s_add_u32 s78, s78, 16
	s_addc_u32 s79, s79, 0
	v_add_u32_e32 v8, v3, v8
	v_lshrrev_b32_e32 v8, s6, v8
	v_mul_lo_u32 v9, v8, s4
	v_mul_hi_u32 v16, s8, v8
	s_cmp_eq_u32 s95, vcc_hi
	v_sub_u32_e32 v3, v3, v9
	v_add_u32_e32 v9, v8, v16
	v_lshrrev_b32_e32 v9, s9, v9
	v_mul_lo_u32 v16, v3, s24
	v_mul_hi_u32 v3, s11, v9
	v_mul_lo_u32 v18, v9, s7
	v_add_u32_e32 v3, v9, v3
	v_lshrrev_b32_e32 v17, s20, v3
	v_mul_hi_u32 v3, s22, v17
	v_sub_u32_e32 v8, v8, v18
	v_mul_lo_u32 v18, v17, s10
	v_mul_lo_u32 v8, v8, s25
	v_add_u32_e32 v3, v17, v3
	v_lshrrev_b32_e32 v3, s23, v3
	v_mul_lo_u32 v19, v3, s21
	v_sub_u32_e32 v9, v9, v18
	v_mul_lo_u32 v9, v9, s26
	v_add3_u32 v2, v16, v2, v8
	v_sub_u32_e32 v17, v17, v19
	v_mul_lo_u32 v17, v17, s27
	v_add3_u32 v2, v9, v2, v17
	s_cbranch_scc0 .LBB55_238
	s_branch .LBB55_242
.LBB55_239:
	s_mov_b64 s[4:5], -1
                                        ; implicit-def: $vgpr2
	s_branch .LBB55_246
.LBB55_240:
	v_mov_b32_e32 v2, 0
	s_branch .LBB55_245
.LBB55_241:
	v_mov_b32_e32 v2, 0
	s_mov_b32 s95, 0
	v_mov_b32_e32 v3, v11
.LBB55_242:
	s_and_b32 s8, vcc_lo, 3
	s_cmp_eq_u32 s8, 0
	s_cbranch_scc1 .LBB55_245
; %bb.243:
	s_lshl_b32 s4, s95, 2
	s_add_u32 s4, s28, s4
	s_addc_u32 s5, s29, 0
	s_add_u32 s4, s4, 0xc4
	s_addc_u32 s5, s5, 0
	s_mul_i32 s6, s95, 12
	s_add_u32 s6, s28, s6
	s_addc_u32 s7, s29, 0
.LBB55_244:                             ; =>This Inner Loop Header: Depth=1
	s_load_dwordx2 s[10:11], s[6:7], 0x4
	s_load_dword s9, s[6:7], 0xc
	s_add_u32 s6, s6, 12
	s_addc_u32 s7, s7, 0
	s_waitcnt lgkmcnt(0)
	v_mul_hi_u32 v8, s11, v3
	s_load_dword s11, s[4:5], 0x0
	s_add_u32 s4, s4, 4
	s_addc_u32 s5, s5, 0
	v_add_u32_e32 v8, v3, v8
	v_lshrrev_b32_e32 v8, s9, v8
	v_mul_lo_u32 v9, v8, s10
	s_add_i32 s8, s8, -1
	s_cmp_lg_u32 s8, 0
	v_sub_u32_e32 v3, v3, v9
	s_waitcnt lgkmcnt(0)
	v_mad_u64_u32 v[2:3], s[10:11], v3, s11, v[2:3]
	v_mov_b32_e32 v3, v8
	s_cbranch_scc1 .LBB55_244
.LBB55_245:
	s_mov_b64 s[4:5], 0
.LBB55_246:
	s_andn2_b64 vcc, exec, s[4:5]
	s_cbranch_vccnz .LBB55_249
; %bb.247:
	s_waitcnt lgkmcnt(0)
	v_mul_hi_u32 v2, s17, v11
	s_andn2_b64 vcc, exec, s[58:59]
	v_add_u32_e32 v2, v11, v2
	v_lshrrev_b32_e32 v3, s18, v2
	v_mul_lo_u32 v2, v3, s16
	v_sub_u32_e32 v2, v11, v2
	v_mul_lo_u32 v2, v2, s56
	s_cbranch_vccnz .LBB55_249
; %bb.248:
	v_mul_hi_u32 v8, s62, v3
	v_add_u32_e32 v8, v3, v8
	v_lshrrev_b32_e32 v8, s63, v8
	v_mul_lo_u32 v8, v8, s19
	v_sub_u32_e32 v3, v3, v8
	v_mad_u64_u32 v[2:3], s[4:5], v3, s57, v[2:3]
.LBB55_249:
	v_mov_b32_e32 v3, s13
	s_and_b32 s10, s15, 0xff
	v_add_co_u32_e32 v8, vcc, s12, v2
	s_cmp_lt_i32 s10, 11
	v_addc_co_u32_e32 v9, vcc, 0, v3, vcc
	s_cbranch_scc1 .LBB55_256
; %bb.250:
	s_and_b32 s11, 0xffff, s10
	s_cmp_gt_i32 s11, 25
	s_cbranch_scc0 .LBB55_257
; %bb.251:
	s_cmp_gt_i32 s11, 28
	s_cbranch_scc0 .LBB55_258
; %bb.252:
	;; [unrolled: 3-line block ×4, first 2 shown]
	s_mov_b64 s[8:9], 0
	s_mov_b64 s[4:5], -1
	s_cmp_eq_u32 s11, 46
	s_mov_b64 s[6:7], 0
	s_cbranch_scc0 .LBB55_261
; %bb.255:
	v_mov_b32_e32 v2, s82
	global_store_dword v[8:9], v2, off
	s_mov_b64 s[6:7], -1
	s_mov_b64 s[4:5], 0
	s_branch .LBB55_261
.LBB55_256:
	s_mov_b64 s[8:9], -1
	s_mov_b64 s[6:7], 0
	s_mov_b64 s[4:5], s[70:71]
	s_branch .LBB55_306
.LBB55_257:
	s_mov_b64 s[8:9], -1
	s_mov_b64 s[6:7], 0
	s_mov_b64 s[4:5], s[70:71]
	s_branch .LBB55_283
.LBB55_258:
	s_mov_b64 s[8:9], -1
	s_mov_b64 s[6:7], 0
	s_mov_b64 s[4:5], s[70:71]
	s_branch .LBB55_269
.LBB55_259:
	s_mov_b64 s[8:9], -1
	s_mov_b64 s[6:7], 0
	s_mov_b64 s[4:5], s[70:71]
	s_branch .LBB55_265
.LBB55_260:
	s_mov_b64 s[8:9], -1
	s_mov_b64 s[6:7], 0
	s_mov_b64 s[4:5], s[70:71]
.LBB55_261:
	s_and_b64 vcc, exec, s[8:9]
	s_cbranch_vccz .LBB55_264
; %bb.262:
	s_cmp_eq_u32 s11, 44
	s_mov_b64 s[4:5], -1
	s_cbranch_scc0 .LBB55_264
; %bb.263:
	v_mov_b32_e32 v2, 0xffff
	v_cndmask_b32_e64 v2, v15, v2, s[0:1]
	s_mov_b64 s[6:7], -1
	s_mov_b64 s[4:5], 0
	global_store_byte v[8:9], v2, off
.LBB55_264:
	s_mov_b64 s[8:9], 0
.LBB55_265:
	s_and_b64 vcc, exec, s[8:9]
	s_cbranch_vccz .LBB55_268
; %bb.266:
	s_cmp_eq_u32 s11, 29
	s_mov_b64 s[4:5], -1
	s_cbranch_scc0 .LBB55_268
; %bb.267:
	global_store_dwordx2 v[8:9], v[6:7], off
	s_mov_b64 s[6:7], -1
	s_mov_b64 s[4:5], 0
.LBB55_268:
	s_mov_b64 s[8:9], 0
.LBB55_269:
	s_and_b64 vcc, exec, s[8:9]
	s_cbranch_vccz .LBB55_282
; %bb.270:
	s_cmp_lt_i32 s11, 27
	s_mov_b64 s[6:7], -1
	s_cbranch_scc1 .LBB55_276
; %bb.271:
	s_cmp_gt_i32 s11, 27
	s_cbranch_scc0 .LBB55_273
; %bb.272:
	s_mov_b64 s[6:7], 0
	global_store_dword v[8:9], v14, off
.LBB55_273:
	s_andn2_b64 vcc, exec, s[6:7]
	s_cbranch_vccnz .LBB55_275
; %bb.274:
	global_store_short v[8:9], v14, off
.LBB55_275:
	s_mov_b64 s[6:7], 0
.LBB55_276:
	s_andn2_b64 vcc, exec, s[6:7]
	s_cbranch_vccnz .LBB55_281
; %bb.277:
	s_andn2_b64 vcc, exec, s[52:53]
	s_movk_i32 s6, 0x80
	s_cbranch_vccnz .LBB55_280
; %bb.278:
	s_or_b64 s[6:7], s[50:51], s[54:55]
	s_andn2_b64 vcc, exec, s[6:7]
	s_mov_b32 s6, 0
	s_cbranch_vccnz .LBB55_280
; %bb.279:
	s_and_b64 s[6:7], s[50:51], exec
	s_cselect_b32 s6, s91, s92
	s_or_b32 s6, s6, s81
.LBB55_280:
	v_mov_b32_e32 v2, s6
	global_store_byte v[8:9], v2, off
.LBB55_281:
	s_mov_b64 s[6:7], -1
.LBB55_282:
	s_mov_b64 s[8:9], 0
.LBB55_283:
	s_and_b64 vcc, exec, s[8:9]
	s_cbranch_vccz .LBB55_305
; %bb.284:
	s_cmp_gt_i32 s11, 22
	s_mov_b64 s[8:9], -1
	s_cbranch_scc0 .LBB55_297
; %bb.285:
	s_cmp_lt_i32 s11, 24
	s_mov_b64 s[6:7], -1
	s_cbranch_scc1 .LBB55_294
; %bb.286:
	s_cmp_gt_i32 s11, 24
	s_cbranch_scc0 .LBB55_291
; %bb.287:
	s_andn2_b64 vcc, exec, s[46:47]
	s_movk_i32 s6, 0x80
	s_cbranch_vccnz .LBB55_290
; %bb.288:
	s_or_b64 s[6:7], s[44:45], s[48:49]
	s_andn2_b64 vcc, exec, s[6:7]
	s_mov_b32 s6, 0
	s_cbranch_vccnz .LBB55_290
; %bb.289:
	s_and_b64 s[6:7], s[44:45], exec
	s_cselect_b32 s6, s88, s90
	s_or_b32 s6, s6, s81
.LBB55_290:
	v_mov_b32_e32 v2, s6
	s_mov_b64 s[6:7], 0
	global_store_byte v[8:9], v2, off
.LBB55_291:
	s_and_b64 vcc, exec, s[6:7]
	s_cbranch_vccz .LBB55_293
; %bb.292:
	s_and_b64 s[6:7], s[42:43], exec
	s_cselect_b32 s8, s87, s86
	s_and_b64 s[6:7], s[40:41], exec
	s_cselect_b32 s6, s89, s8
	s_or_b32 s6, s6, s81
	v_mov_b32_e32 v2, s6
	global_store_byte v[8:9], v2, off
.LBB55_293:
	s_mov_b64 s[6:7], 0
.LBB55_294:
	s_andn2_b64 vcc, exec, s[6:7]
	s_cbranch_vccnz .LBB55_296
; %bb.295:
	s_and_b64 s[6:7], s[38:39], exec
	s_cselect_b32 s8, s84, s83
	s_and_b64 s[6:7], s[36:37], exec
	s_cselect_b32 s6, s85, s8
	s_or_b32 s6, s6, s81
	v_mov_b32_e32 v2, s6
	global_store_byte v[8:9], v2, off
.LBB55_296:
	s_mov_b64 s[8:9], 0
	s_mov_b64 s[6:7], -1
.LBB55_297:
	s_andn2_b64 vcc, exec, s[8:9]
	s_cbranch_vccnz .LBB55_305
; %bb.298:
	s_cmp_gt_i32 s11, 14
	s_mov_b64 s[8:9], -1
	s_cbranch_scc0 .LBB55_302
; %bb.299:
	s_cmp_eq_u32 s11, 15
	s_mov_b64 s[4:5], -1
	s_cbranch_scc0 .LBB55_301
; %bb.300:
	v_mov_b32_e32 v2, s82
	global_store_short v[8:9], v2, off
	s_mov_b64 s[6:7], -1
	s_mov_b64 s[4:5], 0
.LBB55_301:
	s_mov_b64 s[8:9], 0
.LBB55_302:
	s_and_b64 vcc, exec, s[8:9]
	s_cbranch_vccz .LBB55_305
; %bb.303:
	s_cmp_eq_u32 s11, 11
	s_mov_b64 s[4:5], -1
	s_cbranch_scc0 .LBB55_305
; %bb.304:
	s_mov_b64 s[6:7], -1
	s_mov_b64 s[4:5], 0
	global_store_byte v[8:9], v13, off
.LBB55_305:
	s_mov_b64 s[8:9], 0
.LBB55_306:
	s_and_b64 vcc, exec, s[8:9]
	s_cbranch_vccz .LBB55_345
; %bb.307:
	s_and_b32 s8, 0xffff, s10
	s_cmp_lt_i32 s8, 5
	s_mov_b64 s[6:7], -1
	s_cbranch_scc1 .LBB55_328
; %bb.308:
	s_cmp_lt_i32 s8, 8
	s_cbranch_scc1 .LBB55_318
; %bb.309:
	s_cmp_lt_i32 s8, 9
	s_cbranch_scc1 .LBB55_315
; %bb.310:
	s_cmp_gt_i32 s8, 9
	s_cbranch_scc0 .LBB55_312
; %bb.311:
	v_mov_b32_e32 v2, 0
	v_mov_b32_e32 v3, v2
	s_mov_b64 s[6:7], 0
	global_store_dwordx4 v[8:9], v[0:3], off
.LBB55_312:
	s_andn2_b64 vcc, exec, s[6:7]
	s_cbranch_vccnz .LBB55_314
; %bb.313:
	v_mov_b32_e32 v2, s14
	v_mov_b32_e32 v3, 0
	global_store_dwordx2 v[8:9], v[2:3], off
.LBB55_314:
	s_mov_b64 s[6:7], 0
.LBB55_315:
	s_andn2_b64 vcc, exec, s[6:7]
	s_cbranch_vccnz .LBB55_317
; %bb.316:
	global_store_dword v[8:9], v12, off
.LBB55_317:
	s_mov_b64 s[6:7], 0
.LBB55_318:
	s_andn2_b64 vcc, exec, s[6:7]
	s_cbranch_vccnz .LBB55_327
; %bb.319:
	s_cmp_lt_i32 s8, 6
	s_mov_b64 s[6:7], -1
	s_cbranch_scc1 .LBB55_325
; %bb.320:
	s_cmp_gt_i32 s8, 6
	s_cbranch_scc0 .LBB55_322
; %bb.321:
	s_mov_b64 s[6:7], 0
	global_store_dwordx2 v[8:9], v[0:1], off
.LBB55_322:
	s_andn2_b64 vcc, exec, s[6:7]
	s_cbranch_vccnz .LBB55_324
; %bb.323:
	v_mov_b32_e32 v2, s14
	global_store_dword v[8:9], v2, off
.LBB55_324:
	s_mov_b64 s[6:7], 0
.LBB55_325:
	s_andn2_b64 vcc, exec, s[6:7]
	s_cbranch_vccnz .LBB55_327
; %bb.326:
	global_store_short v[8:9], v12, off
.LBB55_327:
	s_mov_b64 s[6:7], 0
.LBB55_328:
	s_andn2_b64 vcc, exec, s[6:7]
	s_cbranch_vccnz .LBB55_344
; %bb.329:
	s_cmp_lt_i32 s8, 2
	s_mov_b64 s[6:7], -1
	s_cbranch_scc1 .LBB55_339
; %bb.330:
	s_cmp_lt_i32 s8, 3
	s_cbranch_scc1 .LBB55_336
; %bb.331:
	s_cmp_gt_i32 s8, 3
	s_cbranch_scc0 .LBB55_333
; %bb.332:
	s_mov_b64 s[6:7], 0
	global_store_dwordx2 v[8:9], v[4:5], off
.LBB55_333:
	s_andn2_b64 vcc, exec, s[6:7]
	s_cbranch_vccnz .LBB55_335
; %bb.334:
	global_store_dword v[8:9], v10, off
.LBB55_335:
	s_mov_b64 s[6:7], 0
.LBB55_336:
	s_andn2_b64 vcc, exec, s[6:7]
	s_cbranch_vccnz .LBB55_338
; %bb.337:
	global_store_short v[8:9], v10, off
.LBB55_338:
	s_mov_b64 s[6:7], 0
.LBB55_339:
	s_andn2_b64 vcc, exec, s[6:7]
	s_cbranch_vccnz .LBB55_344
; %bb.340:
	s_cmp_gt_i32 s8, 0
	s_mov_b64 s[6:7], -1
	s_cbranch_scc0 .LBB55_342
; %bb.341:
	s_mov_b64 s[6:7], 0
	global_store_byte v[8:9], v10, off
.LBB55_342:
	s_andn2_b64 vcc, exec, s[6:7]
	s_cbranch_vccnz .LBB55_344
; %bb.343:
	global_store_byte v[8:9], v4, off
.LBB55_344:
	s_mov_b64 s[6:7], -1
.LBB55_345:
	s_andn2_b64 vcc, exec, s[6:7]
	s_cbranch_vccnz .LBB55_347
; %bb.346:
	v_add_u32_e32 v11, 0x80, v11
	s_mov_b64 s[6:7], -1
	s_branch .LBB55_348
.LBB55_347:
	s_mov_b64 s[6:7], 0
                                        ; implicit-def: $vgpr11
.LBB55_348:
	s_andn2_b64 s[8:9], s[70:71], exec
	s_and_b64 s[4:5], s[4:5], exec
	s_or_b64 s[76:77], s[8:9], s[4:5]
	s_orn2_b64 s[6:7], s[6:7], exec
.LBB55_349:
	s_or_b64 exec, exec, s[74:75]
	s_mov_b64 s[4:5], 0
	s_mov_b64 s[10:11], 0
                                        ; implicit-def: $sgpr20
                                        ; implicit-def: $vgpr8_vgpr9
	s_and_saveexec_b64 s[74:75], s[6:7]
	s_cbranch_execz .LBB55_420
; %bb.350:
	v_cmp_gt_i32_e32 vcc, s93, v11
	s_mov_b64 s[6:7], 0
	s_mov_b64 s[8:9], s[76:77]
                                        ; implicit-def: $sgpr20
                                        ; implicit-def: $vgpr8_vgpr9
	s_and_saveexec_b64 s[78:79], vcc
	s_cbranch_execz .LBB55_419
; %bb.351:
	s_andn2_b64 vcc, exec, s[34:35]
	s_cbranch_vccnz .LBB55_356
; %bb.352:
	s_andn2_b64 vcc, exec, s[64:65]
	s_cbranch_vccnz .LBB55_357
; %bb.353:
	s_add_i32 s94, s94, 1
	s_cmp_eq_u32 s80, 2
	s_cbranch_scc1 .LBB55_358
; %bb.354:
	s_and_b32 s93, s94, 28
	s_mov_b32 s95, 0
	v_mov_b32_e32 v2, 0
	s_mov_b64 s[64:65], s[28:29]
	v_mov_b32_e32 v3, v11
.LBB55_355:                             ; =>This Inner Loop Header: Depth=1
	s_load_dwordx8 s[4:11], s[64:65], 0x4
	s_load_dwordx4 s[20:23], s[64:65], 0x24
	s_load_dwordx4 s[24:27], s[60:61], 0x0
	s_add_u32 s64, s64, 48
	s_addc_u32 s65, s65, 0
	s_waitcnt lgkmcnt(0)
	v_mul_hi_u32 v8, s5, v3
	s_add_i32 s95, s95, 4
	s_add_u32 s60, s60, 16
	s_addc_u32 s61, s61, 0
	v_add_u32_e32 v8, v3, v8
	v_lshrrev_b32_e32 v8, s6, v8
	v_mul_lo_u32 v9, v8, s4
	v_mul_hi_u32 v16, s8, v8
	s_cmp_eq_u32 s93, s95
	v_sub_u32_e32 v3, v3, v9
	v_add_u32_e32 v9, v8, v16
	v_lshrrev_b32_e32 v9, s9, v9
	v_mul_lo_u32 v16, v3, s24
	v_mul_hi_u32 v3, s11, v9
	v_mul_lo_u32 v18, v9, s7
	v_add_u32_e32 v3, v9, v3
	v_lshrrev_b32_e32 v17, s20, v3
	v_mul_hi_u32 v3, s22, v17
	v_sub_u32_e32 v8, v8, v18
	v_mul_lo_u32 v18, v17, s10
	v_mul_lo_u32 v8, v8, s25
	v_add_u32_e32 v3, v17, v3
	v_lshrrev_b32_e32 v3, s23, v3
	v_mul_lo_u32 v19, v3, s21
	v_sub_u32_e32 v9, v9, v18
	v_mul_lo_u32 v9, v9, s26
	v_add3_u32 v2, v16, v2, v8
	v_sub_u32_e32 v17, v17, v19
	v_mul_lo_u32 v17, v17, s27
	v_add3_u32 v2, v9, v2, v17
	s_cbranch_scc0 .LBB55_355
	s_branch .LBB55_359
.LBB55_356:
	s_mov_b64 s[4:5], -1
                                        ; implicit-def: $vgpr2
	s_branch .LBB55_363
.LBB55_357:
	v_mov_b32_e32 v2, 0
	s_branch .LBB55_362
.LBB55_358:
	v_mov_b32_e32 v2, 0
	s_mov_b32 s93, 0
	v_mov_b32_e32 v3, v11
.LBB55_359:
	s_and_b32 s8, s94, 3
	s_cmp_eq_u32 s8, 0
	s_cbranch_scc1 .LBB55_362
; %bb.360:
	s_lshl_b32 s4, s93, 2
	s_add_u32 s4, s28, s4
	s_addc_u32 s5, s29, 0
	s_add_u32 s4, s4, 0xc4
	s_addc_u32 s5, s5, 0
	s_mul_i32 s6, s93, 12
	s_add_u32 s6, s28, s6
	s_addc_u32 s7, s29, 0
.LBB55_361:                             ; =>This Inner Loop Header: Depth=1
	s_load_dwordx2 s[10:11], s[6:7], 0x4
	s_load_dword s9, s[6:7], 0xc
	s_add_u32 s6, s6, 12
	s_addc_u32 s7, s7, 0
	s_waitcnt lgkmcnt(0)
	v_mul_hi_u32 v8, s11, v3
	s_load_dword s11, s[4:5], 0x0
	s_add_u32 s4, s4, 4
	s_addc_u32 s5, s5, 0
	v_add_u32_e32 v8, v3, v8
	v_lshrrev_b32_e32 v8, s9, v8
	v_mul_lo_u32 v9, v8, s10
	s_add_i32 s8, s8, -1
	s_cmp_lg_u32 s8, 0
	v_sub_u32_e32 v3, v3, v9
	s_waitcnt lgkmcnt(0)
	v_mad_u64_u32 v[2:3], s[10:11], v3, s11, v[2:3]
	v_mov_b32_e32 v3, v8
	s_cbranch_scc1 .LBB55_361
.LBB55_362:
	s_mov_b64 s[4:5], 0
.LBB55_363:
	s_andn2_b64 vcc, exec, s[4:5]
	s_cbranch_vccnz .LBB55_366
; %bb.364:
	s_waitcnt lgkmcnt(0)
	v_mul_hi_u32 v2, s17, v11
	s_andn2_b64 vcc, exec, s[58:59]
	v_add_u32_e32 v2, v11, v2
	v_lshrrev_b32_e32 v3, s18, v2
	v_mul_lo_u32 v2, v3, s16
	v_sub_u32_e32 v2, v11, v2
	v_mul_lo_u32 v2, v2, s56
	s_cbranch_vccnz .LBB55_366
; %bb.365:
	v_mul_hi_u32 v8, s62, v3
	v_add_u32_e32 v8, v3, v8
	v_lshrrev_b32_e32 v8, s63, v8
	v_mul_lo_u32 v8, v8, s19
	v_sub_u32_e32 v3, v3, v8
	v_mad_u64_u32 v[2:3], s[4:5], v3, s57, v[2:3]
.LBB55_366:
	v_mov_b32_e32 v3, s13
	s_and_b32 s20, s15, 0xff
	v_add_co_u32_e32 v8, vcc, s12, v2
	s_cmp_lt_i32 s20, 11
	v_addc_co_u32_e32 v9, vcc, 0, v3, vcc
	s_cbranch_scc1 .LBB55_416
; %bb.367:
	s_and_b32 s10, 0xffff, s20
	s_mov_b64 s[6:7], -1
	s_cmp_gt_i32 s10, 25
	s_mov_b64 s[4:5], s[76:77]
	s_cbranch_scc0 .LBB55_395
; %bb.368:
	s_cmp_gt_i32 s10, 28
	s_mov_b64 s[4:5], s[76:77]
	s_cbranch_scc0 .LBB55_382
; %bb.369:
	;; [unrolled: 4-line block ×4, first 2 shown]
	s_cmp_eq_u32 s10, 46
	s_mov_b64 s[4:5], -1
	s_cbranch_scc0 .LBB55_373
; %bb.372:
	v_mov_b32_e32 v2, s82
	global_store_dword v[8:9], v2, off
	s_mov_b64 s[4:5], 0
.LBB55_373:
	s_mov_b64 s[6:7], 0
.LBB55_374:
	s_and_b64 vcc, exec, s[6:7]
	s_cbranch_vccz .LBB55_377
; %bb.375:
	s_cmp_eq_u32 s10, 44
	s_mov_b64 s[4:5], -1
	s_cbranch_scc0 .LBB55_377
; %bb.376:
	v_mov_b32_e32 v2, 0xffff
	v_cndmask_b32_e64 v2, v15, v2, s[0:1]
	global_store_byte v[8:9], v2, off
	s_mov_b64 s[4:5], 0
.LBB55_377:
	s_mov_b64 s[6:7], 0
.LBB55_378:
	s_and_b64 vcc, exec, s[6:7]
	s_cbranch_vccz .LBB55_381
; %bb.379:
	s_cmp_eq_u32 s10, 29
	s_mov_b64 s[4:5], -1
	s_cbranch_scc0 .LBB55_381
; %bb.380:
	global_store_dwordx2 v[8:9], v[6:7], off
	s_mov_b64 s[4:5], 0
.LBB55_381:
	s_mov_b64 s[6:7], 0
.LBB55_382:
	s_and_b64 vcc, exec, s[6:7]
	s_cbranch_vccz .LBB55_394
; %bb.383:
	s_cmp_lt_i32 s10, 27
	s_mov_b64 s[0:1], -1
	s_cbranch_scc1 .LBB55_389
; %bb.384:
	s_cmp_gt_i32 s10, 27
	s_cbranch_scc0 .LBB55_386
; %bb.385:
	s_mov_b64 s[0:1], 0
	global_store_dword v[8:9], v14, off
.LBB55_386:
	s_andn2_b64 vcc, exec, s[0:1]
	s_cbranch_vccnz .LBB55_388
; %bb.387:
	global_store_short v[8:9], v14, off
.LBB55_388:
	s_mov_b64 s[0:1], 0
.LBB55_389:
	s_andn2_b64 vcc, exec, s[0:1]
	s_cbranch_vccnz .LBB55_394
; %bb.390:
	s_andn2_b64 vcc, exec, s[52:53]
	s_movk_i32 s0, 0x80
	s_cbranch_vccnz .LBB55_393
; %bb.391:
	s_or_b64 s[0:1], s[50:51], s[54:55]
	s_andn2_b64 vcc, exec, s[0:1]
	s_mov_b32 s0, 0
	s_cbranch_vccnz .LBB55_393
; %bb.392:
	s_and_b64 s[0:1], s[50:51], exec
	s_cselect_b32 s0, s91, s92
	s_or_b32 s0, s0, s81
.LBB55_393:
	v_mov_b32_e32 v2, s0
	global_store_byte v[8:9], v2, off
.LBB55_394:
	s_mov_b64 s[6:7], 0
.LBB55_395:
	s_mov_b64 s[0:1], 0
	s_and_b64 vcc, exec, s[6:7]
	s_cbranch_vccz .LBB55_417
; %bb.396:
	s_cmp_gt_i32 s10, 22
	s_mov_b64 s[6:7], -1
	s_cbranch_scc0 .LBB55_409
; %bb.397:
	s_cmp_lt_i32 s10, 24
	s_cbranch_scc1 .LBB55_406
; %bb.398:
	s_cmp_gt_i32 s10, 24
	s_cbranch_scc0 .LBB55_403
; %bb.399:
	s_andn2_b64 vcc, exec, s[46:47]
	s_movk_i32 s6, 0x80
	s_cbranch_vccnz .LBB55_402
; %bb.400:
	s_or_b64 s[6:7], s[44:45], s[48:49]
	s_andn2_b64 vcc, exec, s[6:7]
	s_mov_b32 s6, 0
	s_cbranch_vccnz .LBB55_402
; %bb.401:
	s_and_b64 s[6:7], s[44:45], exec
	s_cselect_b32 s6, s88, s90
	s_or_b32 s6, s6, s81
.LBB55_402:
	v_mov_b32_e32 v2, s6
	s_mov_b64 s[6:7], 0
	global_store_byte v[8:9], v2, off
.LBB55_403:
	s_and_b64 vcc, exec, s[6:7]
	s_cbranch_vccz .LBB55_405
; %bb.404:
	s_and_b64 s[6:7], s[42:43], exec
	s_cselect_b32 s8, s87, s86
	s_and_b64 s[6:7], s[40:41], exec
	s_cselect_b32 s6, s89, s8
	s_or_b32 s6, s6, s81
	v_mov_b32_e32 v2, s6
	global_store_byte v[8:9], v2, off
.LBB55_405:
	s_mov_b64 s[6:7], 0
.LBB55_406:
	s_andn2_b64 vcc, exec, s[6:7]
	s_cbranch_vccnz .LBB55_408
; %bb.407:
	s_and_b64 s[6:7], s[38:39], exec
	s_cselect_b32 s8, s84, s83
	s_and_b64 s[6:7], s[36:37], exec
	s_cselect_b32 s6, s85, s8
	s_or_b32 s6, s6, s81
	v_mov_b32_e32 v2, s6
	global_store_byte v[8:9], v2, off
.LBB55_408:
	s_mov_b64 s[6:7], 0
.LBB55_409:
	s_andn2_b64 vcc, exec, s[6:7]
	s_mov_b64 s[6:7], 0
	s_cbranch_vccnz .LBB55_418
; %bb.410:
	s_cmp_gt_i32 s10, 14
	s_mov_b64 s[8:9], -1
	s_cbranch_scc0 .LBB55_414
; %bb.411:
	s_cmp_eq_u32 s10, 15
	s_mov_b64 s[4:5], -1
	s_cbranch_scc0 .LBB55_413
; %bb.412:
	v_mov_b32_e32 v2, s82
	global_store_short v[8:9], v2, off
	s_mov_b64 s[4:5], 0
.LBB55_413:
	s_mov_b64 s[8:9], 0
.LBB55_414:
	s_and_b64 vcc, exec, s[8:9]
	s_cbranch_vccz .LBB55_418
; %bb.415:
	s_cmp_lg_u32 s10, 11
	s_cselect_b64 s[8:9], -1, 0
	s_andn2_b64 s[4:5], s[4:5], exec
	s_and_b64 s[8:9], s[8:9], exec
	s_mov_b64 s[6:7], -1
	s_or_b64 s[4:5], s[4:5], s[8:9]
	s_branch .LBB55_418
.LBB55_416:
	s_mov_b64 s[6:7], 0
	s_mov_b64 s[0:1], -1
	s_mov_b64 s[4:5], s[76:77]
	s_branch .LBB55_418
.LBB55_417:
	s_mov_b64 s[6:7], 0
.LBB55_418:
	s_and_b64 s[10:11], s[0:1], exec
	s_andn2_b64 s[0:1], s[76:77], exec
	s_and_b64 s[4:5], s[4:5], exec
	s_and_b64 s[6:7], s[6:7], exec
	s_or_b64 s[8:9], s[0:1], s[4:5]
.LBB55_419:
	s_or_b64 exec, exec, s[78:79]
	s_and_b64 s[4:5], s[6:7], exec
	s_andn2_b64 s[0:1], s[76:77], exec
	s_and_b64 s[6:7], s[8:9], exec
	s_and_b64 s[10:11], s[10:11], exec
	s_or_b64 s[76:77], s[0:1], s[6:7]
.LBB55_420:
	s_or_b64 exec, exec, s[74:75]
	s_and_b64 s[6:7], s[4:5], exec
	s_andn2_b64 s[0:1], s[70:71], exec
	s_and_b64 s[4:5], s[76:77], exec
	s_and_b64 s[8:9], s[10:11], exec
	s_or_b64 s[70:71], s[0:1], s[4:5]
.LBB55_421:
	s_or_b64 exec, exec, s[72:73]
	s_and_b64 s[72:73], s[6:7], exec
	s_andn2_b64 s[0:1], s[66:67], exec
	s_and_b64 s[6:7], s[70:71], exec
	s_and_b64 s[4:5], s[8:9], exec
	s_or_b64 s[66:67], s[0:1], s[6:7]
	s_or_b64 exec, exec, s[68:69]
	s_mov_b64 s[0:1], 0
	s_and_saveexec_b64 s[6:7], s[66:67]
	s_cbranch_execz .LBB55_122
.LBB55_422:
	s_mov_b64 s[0:1], exec
	s_andn2_b64 s[72:73], s[72:73], exec
	s_trap 2
	s_or_b64 exec, exec, s[6:7]
	s_and_saveexec_b64 s[6:7], s[72:73]
	s_xor_b64 s[6:7], exec, s[6:7]
	s_cbranch_execnz .LBB55_123
.LBB55_423:
	s_or_b64 exec, exec, s[6:7]
	s_and_saveexec_b64 s[6:7], s[4:5]
	s_xor_b64 s[4:5], exec, s[6:7]
	s_cbranch_execz .LBB55_461
.LBB55_424:
	s_sext_i32_i16 s8, s20
	s_cmp_lt_i32 s8, 5
	s_mov_b64 s[6:7], -1
	s_cbranch_scc1 .LBB55_445
; %bb.425:
	s_cmp_lt_i32 s8, 8
	s_cbranch_scc1 .LBB55_435
; %bb.426:
	s_cmp_lt_i32 s8, 9
	s_cbranch_scc1 .LBB55_432
; %bb.427:
	s_cmp_gt_i32 s8, 9
	s_cbranch_scc0 .LBB55_429
; %bb.428:
	v_mov_b32_e32 v2, 0
	v_mov_b32_e32 v3, v2
	s_mov_b64 s[6:7], 0
	global_store_dwordx4 v[8:9], v[0:3], off
.LBB55_429:
	s_andn2_b64 vcc, exec, s[6:7]
	s_cbranch_vccnz .LBB55_431
; %bb.430:
	v_mov_b32_e32 v2, s14
	v_mov_b32_e32 v3, 0
	global_store_dwordx2 v[8:9], v[2:3], off
.LBB55_431:
	s_mov_b64 s[6:7], 0
.LBB55_432:
	s_andn2_b64 vcc, exec, s[6:7]
	s_cbranch_vccnz .LBB55_434
; %bb.433:
	global_store_dword v[8:9], v12, off
.LBB55_434:
	s_mov_b64 s[6:7], 0
.LBB55_435:
	s_andn2_b64 vcc, exec, s[6:7]
	s_cbranch_vccnz .LBB55_444
; %bb.436:
	s_sext_i32_i16 s8, s20
	s_cmp_lt_i32 s8, 6
	s_mov_b64 s[6:7], -1
	s_cbranch_scc1 .LBB55_442
; %bb.437:
	s_cmp_gt_i32 s8, 6
	s_cbranch_scc0 .LBB55_439
; %bb.438:
	s_mov_b64 s[6:7], 0
	global_store_dwordx2 v[8:9], v[0:1], off
.LBB55_439:
	s_andn2_b64 vcc, exec, s[6:7]
	s_cbranch_vccnz .LBB55_441
; %bb.440:
	v_mov_b32_e32 v0, s14
	global_store_dword v[8:9], v0, off
.LBB55_441:
	s_mov_b64 s[6:7], 0
.LBB55_442:
	s_andn2_b64 vcc, exec, s[6:7]
	s_cbranch_vccnz .LBB55_444
; %bb.443:
	global_store_short v[8:9], v12, off
.LBB55_444:
	s_mov_b64 s[6:7], 0
.LBB55_445:
	s_andn2_b64 vcc, exec, s[6:7]
	s_cbranch_vccnz .LBB55_461
; %bb.446:
	s_sext_i32_i16 s8, s20
	s_cmp_lt_i32 s8, 2
	s_mov_b64 s[6:7], -1
	s_cbranch_scc1 .LBB55_456
; %bb.447:
	s_cmp_lt_i32 s8, 3
	s_cbranch_scc1 .LBB55_453
; %bb.448:
	s_cmp_gt_i32 s8, 3
	s_cbranch_scc0 .LBB55_450
; %bb.449:
	s_mov_b64 s[6:7], 0
	global_store_dwordx2 v[8:9], v[4:5], off
.LBB55_450:
	s_andn2_b64 vcc, exec, s[6:7]
	s_cbranch_vccnz .LBB55_452
; %bb.451:
	global_store_dword v[8:9], v10, off
.LBB55_452:
	s_mov_b64 s[6:7], 0
.LBB55_453:
	s_andn2_b64 vcc, exec, s[6:7]
	s_cbranch_vccnz .LBB55_455
; %bb.454:
	global_store_short v[8:9], v10, off
.LBB55_455:
	s_mov_b64 s[6:7], 0
.LBB55_456:
	s_andn2_b64 vcc, exec, s[6:7]
	s_cbranch_vccnz .LBB55_461
; %bb.457:
	s_sext_i32_i16 s6, s20
	s_cmp_gt_i32 s6, 0
	s_mov_b64 s[6:7], -1
	s_cbranch_scc0 .LBB55_459
; %bb.458:
	s_mov_b64 s[6:7], 0
	global_store_byte v[8:9], v10, off
.LBB55_459:
	s_andn2_b64 vcc, exec, s[6:7]
	s_cbranch_vccnz .LBB55_461
; %bb.460:
	global_store_byte v[8:9], v4, off
.LBB55_461:
	s_or_b64 exec, exec, s[4:5]
	s_and_b64 s[20:21], s[0:1], exec
                                        ; implicit-def: $vgpr8
                                        ; implicit-def: $vgpr11
.LBB55_462:
	s_or_saveexec_b64 s[22:23], s[2:3]
	s_mov_b64 s[0:1], 0
                                        ; implicit-def: $sgpr3
                                        ; implicit-def: $vgpr0_vgpr1
                                        ; implicit-def: $sgpr2
	s_xor_b64 exec, exec, s[22:23]
	s_cbranch_execz .LBB55_945
; %bb.463:
	v_cndmask_b32_e64 v0, 0, 1, s[34:35]
	v_cmp_ne_u32_e64 s[0:1], 1, v0
	s_andn2_b64 vcc, exec, s[34:35]
	s_cbranch_vccnz .LBB55_469
; %bb.464:
	s_cmp_lg_u32 s33, 0
	s_mov_b32 s26, 0
	s_cbranch_scc0 .LBB55_470
; %bb.465:
	s_min_u32 s27, s80, 15
	s_add_i32 s27, s27, 1
	s_cmp_eq_u32 s80, 2
	s_cbranch_scc1 .LBB55_471
; %bb.466:
	s_and_b32 s26, s27, 28
	s_add_u32 s2, s28, 0xc4
	s_addc_u32 s3, s29, 0
	s_mov_b32 s30, 0
	v_mov_b32_e32 v6, 0
	s_mov_b64 s[24:25], s[28:29]
	v_mov_b32_e32 v0, v11
.LBB55_467:                             ; =>This Inner Loop Header: Depth=1
	s_load_dwordx8 s[4:11], s[24:25], 0x4
	s_load_dwordx4 s[12:15], s[24:25], 0x24
	s_waitcnt lgkmcnt(0)
	s_load_dwordx4 s[16:19], s[2:3], 0x0
	s_add_u32 s24, s24, 48
	s_addc_u32 s25, s25, 0
	v_mul_hi_u32 v1, s5, v0
	s_add_i32 s30, s30, 4
	s_add_u32 s2, s2, 16
	s_addc_u32 s3, s3, 0
	v_add_u32_e32 v1, v0, v1
	v_lshrrev_b32_e32 v1, s6, v1
	v_mul_lo_u32 v2, v1, s4
	v_mul_hi_u32 v3, s8, v1
	s_cmp_lg_u32 s26, s30
	v_sub_u32_e32 v0, v0, v2
	v_add_u32_e32 v2, v1, v3
	v_lshrrev_b32_e32 v2, s9, v2
	s_waitcnt lgkmcnt(0)
	v_mul_lo_u32 v3, v0, s16
	v_mul_hi_u32 v0, s11, v2
	v_mul_lo_u32 v5, v2, s7
	v_add_u32_e32 v0, v2, v0
	v_lshrrev_b32_e32 v4, s12, v0
	v_mul_hi_u32 v0, s14, v4
	v_sub_u32_e32 v1, v1, v5
	v_mul_lo_u32 v5, v4, s10
	v_mul_lo_u32 v1, v1, s17
	v_add_u32_e32 v0, v4, v0
	v_lshrrev_b32_e32 v0, s15, v0
	v_mul_lo_u32 v7, v0, s13
	v_sub_u32_e32 v2, v2, v5
	v_mul_lo_u32 v2, v2, s18
	v_add3_u32 v1, v3, v6, v1
	v_sub_u32_e32 v4, v4, v7
	v_mul_lo_u32 v4, v4, s19
	v_add3_u32 v6, v2, v1, v4
	s_cbranch_scc1 .LBB55_467
; %bb.468:
	s_and_b32 s6, s27, 3
	s_cmp_eq_u32 s6, 0
	s_cbranch_scc0 .LBB55_472
	s_branch .LBB55_474
.LBB55_469:
                                        ; implicit-def: $vgpr6
	s_branch .LBB55_475
.LBB55_470:
	v_mov_b32_e32 v6, 0
	s_branch .LBB55_474
.LBB55_471:
	v_mov_b32_e32 v6, 0
	v_mov_b32_e32 v0, v11
	s_and_b32 s6, s27, 3
	s_cmp_eq_u32 s6, 0
	s_cbranch_scc1 .LBB55_474
.LBB55_472:
	s_lshl_b32 s2, s26, 2
	s_add_u32 s2, s28, s2
	s_addc_u32 s3, s29, 0
	s_add_u32 s2, s2, 0xc4
	s_addc_u32 s3, s3, 0
	s_mul_i32 s4, s26, 12
	s_add_u32 s4, s28, s4
	s_addc_u32 s5, s29, 0
.LBB55_473:                             ; =>This Inner Loop Header: Depth=1
	s_load_dwordx2 s[8:9], s[4:5], 0x4
	s_load_dword s7, s[4:5], 0xc
	s_add_u32 s4, s4, 12
	s_addc_u32 s5, s5, 0
	s_waitcnt lgkmcnt(0)
	v_mul_hi_u32 v1, s9, v0
	s_load_dword s9, s[2:3], 0x0
	s_add_u32 s2, s2, 4
	s_addc_u32 s3, s3, 0
	v_add_u32_e32 v1, v0, v1
	v_lshrrev_b32_e32 v1, s7, v1
	v_mul_lo_u32 v2, v1, s8
	s_add_i32 s6, s6, -1
	s_cmp_lg_u32 s6, 0
	v_sub_u32_e32 v0, v0, v2
	s_waitcnt lgkmcnt(0)
	v_mad_u64_u32 v[6:7], s[8:9], v0, s9, v[6:7]
	v_mov_b32_e32 v0, v1
	s_cbranch_scc1 .LBB55_473
.LBB55_474:
	s_cbranch_execnz .LBB55_477
.LBB55_475:
	s_load_dwordx4 s[4:7], s[28:29], 0x4
	s_load_dword s2, s[28:29], 0xc4
	s_cmp_lt_u32 s33, 2
	s_waitcnt lgkmcnt(0)
	v_mul_hi_u32 v0, s5, v11
	v_add_u32_e32 v0, v11, v0
	v_lshrrev_b32_e32 v0, s6, v0
	v_mul_lo_u32 v1, v0, s4
	v_sub_u32_e32 v1, v11, v1
	v_mul_lo_u32 v6, v1, s2
	s_cbranch_scc1 .LBB55_477
; %bb.476:
	s_load_dwordx4 s[4:7], s[28:29], 0x10
	s_load_dword s2, s[28:29], 0xc8
	s_waitcnt lgkmcnt(0)
	v_mul_hi_u32 v1, s5, v0
	v_add_u32_e32 v1, v0, v1
	v_lshrrev_b32_e32 v1, s6, v1
	v_mul_lo_u32 v1, v1, s4
	v_sub_u32_e32 v0, v0, v1
	v_mad_u64_u32 v[6:7], s[2:3], v0, s2, v[6:7]
.LBB55_477:
	s_and_b64 vcc, exec, s[0:1]
	v_add_u32_e32 v0, 0x80, v11
	s_cbranch_vccnz .LBB55_483
; %bb.478:
	s_cmp_lg_u32 s33, 0
	s_mov_b32 s26, 0
	s_cbranch_scc0 .LBB55_484
; %bb.479:
	s_min_u32 s27, s80, 15
	s_add_i32 s27, s27, 1
	s_cmp_eq_u32 s80, 2
	s_cbranch_scc1 .LBB55_485
; %bb.480:
	s_and_b32 s26, s27, 28
	s_add_u32 s2, s28, 0xc4
	s_addc_u32 s3, s29, 0
	s_mov_b32 s30, 0
	v_mov_b32_e32 v4, 0
	s_mov_b64 s[24:25], s[28:29]
	v_mov_b32_e32 v1, v0
.LBB55_481:                             ; =>This Inner Loop Header: Depth=1
	s_load_dwordx8 s[4:11], s[24:25], 0x4
	s_load_dwordx4 s[12:15], s[24:25], 0x24
	s_waitcnt lgkmcnt(0)
	s_load_dwordx4 s[16:19], s[2:3], 0x0
	s_add_u32 s24, s24, 48
	s_addc_u32 s25, s25, 0
	v_mul_hi_u32 v2, s5, v1
	s_add_i32 s30, s30, 4
	s_add_u32 s2, s2, 16
	s_addc_u32 s3, s3, 0
	v_add_u32_e32 v2, v1, v2
	v_lshrrev_b32_e32 v2, s6, v2
	v_mul_lo_u32 v3, v2, s4
	v_mul_hi_u32 v5, s8, v2
	s_cmp_lg_u32 s26, s30
	v_sub_u32_e32 v1, v1, v3
	v_add_u32_e32 v3, v2, v5
	v_lshrrev_b32_e32 v3, s9, v3
	s_waitcnt lgkmcnt(0)
	v_mul_lo_u32 v5, v1, s16
	v_mul_hi_u32 v1, s11, v3
	v_mul_lo_u32 v9, v3, s7
	v_add_u32_e32 v1, v3, v1
	v_lshrrev_b32_e32 v7, s12, v1
	v_mul_hi_u32 v1, s14, v7
	v_sub_u32_e32 v2, v2, v9
	v_mul_lo_u32 v9, v7, s10
	v_mul_lo_u32 v2, v2, s17
	v_add_u32_e32 v1, v7, v1
	v_lshrrev_b32_e32 v1, s15, v1
	v_mul_lo_u32 v10, v1, s13
	v_sub_u32_e32 v3, v3, v9
	v_mul_lo_u32 v3, v3, s18
	v_add3_u32 v2, v5, v4, v2
	v_sub_u32_e32 v7, v7, v10
	v_mul_lo_u32 v7, v7, s19
	v_add3_u32 v4, v3, v2, v7
	s_cbranch_scc1 .LBB55_481
; %bb.482:
	s_and_b32 s6, s27, 3
	s_cmp_eq_u32 s6, 0
	s_cbranch_scc0 .LBB55_486
	s_branch .LBB55_488
.LBB55_483:
                                        ; implicit-def: $vgpr4
	s_branch .LBB55_489
.LBB55_484:
	v_mov_b32_e32 v4, 0
	s_branch .LBB55_488
.LBB55_485:
	v_mov_b32_e32 v4, 0
	v_mov_b32_e32 v1, v0
	s_and_b32 s6, s27, 3
	s_cmp_eq_u32 s6, 0
	s_cbranch_scc1 .LBB55_488
.LBB55_486:
	s_lshl_b32 s2, s26, 2
	s_add_u32 s2, s28, s2
	s_addc_u32 s3, s29, 0
	s_add_u32 s2, s2, 0xc4
	s_addc_u32 s3, s3, 0
	s_mul_i32 s4, s26, 12
	s_add_u32 s4, s28, s4
	s_addc_u32 s5, s29, 0
.LBB55_487:                             ; =>This Inner Loop Header: Depth=1
	s_load_dwordx2 s[8:9], s[4:5], 0x4
	s_load_dword s7, s[4:5], 0xc
	s_add_u32 s4, s4, 12
	s_addc_u32 s5, s5, 0
	s_waitcnt lgkmcnt(0)
	v_mul_hi_u32 v2, s9, v1
	s_load_dword s9, s[2:3], 0x0
	s_add_u32 s2, s2, 4
	s_addc_u32 s3, s3, 0
	v_add_u32_e32 v2, v1, v2
	v_lshrrev_b32_e32 v2, s7, v2
	v_mul_lo_u32 v3, v2, s8
	s_add_i32 s6, s6, -1
	s_cmp_lg_u32 s6, 0
	v_sub_u32_e32 v1, v1, v3
	s_waitcnt lgkmcnt(0)
	v_mad_u64_u32 v[4:5], s[8:9], v1, s9, v[4:5]
	v_mov_b32_e32 v1, v2
	s_cbranch_scc1 .LBB55_487
.LBB55_488:
	s_cbranch_execnz .LBB55_491
.LBB55_489:
	s_load_dwordx4 s[4:7], s[28:29], 0x4
	s_load_dword s2, s[28:29], 0xc4
	s_cmp_lt_u32 s33, 2
	s_waitcnt lgkmcnt(0)
	v_mul_hi_u32 v1, s5, v0
	v_add_u32_e32 v1, v0, v1
	v_lshrrev_b32_e32 v1, s6, v1
	v_mul_lo_u32 v2, v1, s4
	v_sub_u32_e32 v0, v0, v2
	v_mul_lo_u32 v4, v0, s2
	s_cbranch_scc1 .LBB55_491
; %bb.490:
	s_load_dwordx4 s[4:7], s[28:29], 0x10
	s_load_dword s2, s[28:29], 0xc8
	s_waitcnt lgkmcnt(0)
	v_mul_hi_u32 v0, s5, v1
	v_add_u32_e32 v0, v1, v0
	v_lshrrev_b32_e32 v0, s6, v0
	v_mul_lo_u32 v0, v0, s4
	v_sub_u32_e32 v0, v1, v0
	v_mad_u64_u32 v[4:5], s[2:3], v0, s2, v[4:5]
.LBB55_491:
	s_and_b64 vcc, exec, s[0:1]
	v_add_u32_e32 v0, 0x100, v11
	s_cbranch_vccnz .LBB55_497
; %bb.492:
	s_cmp_lg_u32 s33, 0
	s_mov_b32 s26, 0
	s_cbranch_scc0 .LBB55_498
; %bb.493:
	s_min_u32 s27, s80, 15
	s_add_i32 s27, s27, 1
	s_cmp_eq_u32 s80, 2
	s_cbranch_scc1 .LBB55_499
; %bb.494:
	s_and_b32 s26, s27, 28
	s_add_u32 s2, s28, 0xc4
	s_addc_u32 s3, s29, 0
	s_mov_b32 s30, 0
	v_mov_b32_e32 v2, 0
	s_mov_b64 s[24:25], s[28:29]
	v_mov_b32_e32 v1, v0
.LBB55_495:                             ; =>This Inner Loop Header: Depth=1
	s_load_dwordx8 s[4:11], s[24:25], 0x4
	s_load_dwordx4 s[12:15], s[24:25], 0x24
	s_waitcnt lgkmcnt(0)
	s_load_dwordx4 s[16:19], s[2:3], 0x0
	s_add_u32 s24, s24, 48
	s_addc_u32 s25, s25, 0
	v_mul_hi_u32 v3, s5, v1
	s_add_i32 s30, s30, 4
	s_add_u32 s2, s2, 16
	s_addc_u32 s3, s3, 0
	v_add_u32_e32 v3, v1, v3
	v_lshrrev_b32_e32 v3, s6, v3
	v_mul_lo_u32 v5, v3, s4
	v_mul_hi_u32 v7, s8, v3
	s_cmp_lg_u32 s26, s30
	v_sub_u32_e32 v1, v1, v5
	v_add_u32_e32 v5, v3, v7
	v_lshrrev_b32_e32 v5, s9, v5
	s_waitcnt lgkmcnt(0)
	v_mul_lo_u32 v7, v1, s16
	v_mul_hi_u32 v1, s11, v5
	v_mul_lo_u32 v10, v5, s7
	v_add_u32_e32 v1, v5, v1
	v_lshrrev_b32_e32 v9, s12, v1
	v_mul_hi_u32 v1, s14, v9
	v_sub_u32_e32 v3, v3, v10
	v_mul_lo_u32 v10, v9, s10
	v_mul_lo_u32 v3, v3, s17
	v_add_u32_e32 v1, v9, v1
	v_lshrrev_b32_e32 v1, s15, v1
	v_mul_lo_u32 v11, v1, s13
	v_sub_u32_e32 v5, v5, v10
	v_mul_lo_u32 v5, v5, s18
	v_add3_u32 v2, v7, v2, v3
	v_sub_u32_e32 v9, v9, v11
	v_mul_lo_u32 v9, v9, s19
	v_add3_u32 v2, v5, v2, v9
	s_cbranch_scc1 .LBB55_495
; %bb.496:
	s_and_b32 s6, s27, 3
	s_cmp_eq_u32 s6, 0
	s_cbranch_scc0 .LBB55_500
	s_branch .LBB55_502
.LBB55_497:
                                        ; implicit-def: $vgpr2
	s_branch .LBB55_503
.LBB55_498:
	v_mov_b32_e32 v2, 0
	s_branch .LBB55_502
.LBB55_499:
	v_mov_b32_e32 v2, 0
	v_mov_b32_e32 v1, v0
	s_and_b32 s6, s27, 3
	s_cmp_eq_u32 s6, 0
	s_cbranch_scc1 .LBB55_502
.LBB55_500:
	s_lshl_b32 s2, s26, 2
	s_add_u32 s2, s28, s2
	s_addc_u32 s3, s29, 0
	s_add_u32 s2, s2, 0xc4
	s_addc_u32 s3, s3, 0
	s_mul_i32 s4, s26, 12
	s_add_u32 s4, s28, s4
	s_addc_u32 s5, s29, 0
.LBB55_501:                             ; =>This Inner Loop Header: Depth=1
	s_load_dwordx2 s[8:9], s[4:5], 0x4
	s_load_dword s7, s[4:5], 0xc
	s_add_u32 s4, s4, 12
	s_addc_u32 s5, s5, 0
	s_waitcnt lgkmcnt(0)
	v_mul_hi_u32 v3, s9, v1
	s_load_dword s9, s[2:3], 0x0
	s_add_u32 s2, s2, 4
	s_addc_u32 s3, s3, 0
	v_add_u32_e32 v3, v1, v3
	v_lshrrev_b32_e32 v5, s7, v3
	v_mul_lo_u32 v3, v5, s8
	s_add_i32 s6, s6, -1
	s_cmp_lg_u32 s6, 0
	v_sub_u32_e32 v1, v1, v3
	s_waitcnt lgkmcnt(0)
	v_mad_u64_u32 v[2:3], s[8:9], v1, s9, v[2:3]
	v_mov_b32_e32 v1, v5
	s_cbranch_scc1 .LBB55_501
.LBB55_502:
	s_cbranch_execnz .LBB55_505
.LBB55_503:
	s_load_dwordx4 s[4:7], s[28:29], 0x4
	s_load_dword s2, s[28:29], 0xc4
	s_cmp_lt_u32 s33, 2
	s_waitcnt lgkmcnt(0)
	v_mul_hi_u32 v1, s5, v0
	v_add_u32_e32 v1, v0, v1
	v_lshrrev_b32_e32 v1, s6, v1
	v_mul_lo_u32 v2, v1, s4
	v_sub_u32_e32 v0, v0, v2
	v_mul_lo_u32 v2, v0, s2
	s_cbranch_scc1 .LBB55_505
; %bb.504:
	s_load_dwordx4 s[4:7], s[28:29], 0x10
	s_load_dword s2, s[28:29], 0xc8
	s_waitcnt lgkmcnt(0)
	v_mul_hi_u32 v0, s5, v1
	v_add_u32_e32 v0, v1, v0
	v_lshrrev_b32_e32 v0, s6, v0
	v_mul_lo_u32 v0, v0, s4
	v_sub_u32_e32 v0, v1, v0
	v_mad_u64_u32 v[2:3], s[2:3], v0, s2, v[2:3]
.LBB55_505:
	s_and_b64 vcc, exec, s[0:1]
	s_cbranch_vccnz .LBB55_511
; %bb.506:
	s_cmp_lg_u32 s33, 0
	s_mov_b32 s24, 0
	s_cbranch_scc0 .LBB55_512
; %bb.507:
	s_min_u32 s25, s80, 15
	s_add_i32 s25, s25, 1
	s_cmp_eq_u32 s80, 2
	s_cbranch_scc1 .LBB55_513
; %bb.508:
	s_and_b32 s24, s25, 28
	s_waitcnt lgkmcnt(0)
	s_add_u32 s16, s28, 0xc4
	s_addc_u32 s17, s29, 0
	s_mov_b32 s26, 0
	v_mov_b32_e32 v0, 0
	s_mov_b64 s[18:19], s[28:29]
	v_mov_b32_e32 v1, v8
.LBB55_509:                             ; =>This Inner Loop Header: Depth=1
	s_load_dwordx8 s[0:7], s[18:19], 0x4
	s_load_dwordx4 s[8:11], s[18:19], 0x24
	s_load_dwordx4 s[12:15], s[16:17], 0x0
	s_add_u32 s18, s18, 48
	s_addc_u32 s19, s19, 0
	s_waitcnt lgkmcnt(0)
	v_mul_hi_u32 v3, s1, v1
	s_add_i32 s26, s26, 4
	s_add_u32 s16, s16, 16
	s_addc_u32 s17, s17, 0
	v_add_u32_e32 v3, v1, v3
	v_lshrrev_b32_e32 v3, s2, v3
	v_mul_lo_u32 v5, v3, s0
	v_mul_hi_u32 v7, s4, v3
	s_cmp_lg_u32 s24, s26
	v_sub_u32_e32 v1, v1, v5
	v_add_u32_e32 v5, v3, v7
	v_lshrrev_b32_e32 v5, s5, v5
	v_mul_lo_u32 v7, v1, s12
	v_mul_hi_u32 v1, s7, v5
	v_mul_lo_u32 v10, v5, s3
	v_add_u32_e32 v1, v5, v1
	v_lshrrev_b32_e32 v9, s8, v1
	v_mul_hi_u32 v1, s10, v9
	v_sub_u32_e32 v3, v3, v10
	v_mul_lo_u32 v10, v9, s6
	v_mul_lo_u32 v3, v3, s13
	v_add_u32_e32 v1, v9, v1
	v_lshrrev_b32_e32 v1, s11, v1
	v_mul_lo_u32 v11, v1, s9
	v_sub_u32_e32 v5, v5, v10
	v_mul_lo_u32 v5, v5, s14
	v_add3_u32 v0, v7, v0, v3
	v_sub_u32_e32 v9, v9, v11
	v_mul_lo_u32 v9, v9, s15
	v_add3_u32 v0, v5, v0, v9
	s_cbranch_scc1 .LBB55_509
; %bb.510:
	s_and_b32 s4, s25, 3
	s_cmp_eq_u32 s4, 0
	s_cbranch_scc0 .LBB55_514
	s_branch .LBB55_516
.LBB55_511:
                                        ; implicit-def: $vgpr0
	s_branch .LBB55_517
.LBB55_512:
	v_mov_b32_e32 v0, 0
	s_branch .LBB55_516
.LBB55_513:
	v_mov_b32_e32 v0, 0
	v_mov_b32_e32 v1, v8
	s_and_b32 s4, s25, 3
	s_cmp_eq_u32 s4, 0
	s_cbranch_scc1 .LBB55_516
.LBB55_514:
	s_lshl_b32 s0, s24, 2
	s_add_u32 s0, s28, s0
	s_addc_u32 s1, s29, 0
	s_add_u32 s0, s0, 0xc4
	s_addc_u32 s1, s1, 0
	s_mul_i32 s2, s24, 12
	s_add_u32 s2, s28, s2
	s_addc_u32 s3, s29, 0
.LBB55_515:                             ; =>This Inner Loop Header: Depth=1
	s_load_dwordx2 s[6:7], s[2:3], 0x4
	s_load_dword s5, s[2:3], 0xc
	s_add_u32 s2, s2, 12
	s_addc_u32 s3, s3, 0
	s_waitcnt lgkmcnt(0)
	v_mul_hi_u32 v3, s7, v1
	s_load_dword s7, s[0:1], 0x0
	s_add_u32 s0, s0, 4
	s_addc_u32 s1, s1, 0
	v_add_u32_e32 v3, v1, v3
	v_lshrrev_b32_e32 v3, s5, v3
	v_mul_lo_u32 v5, v3, s6
	s_add_i32 s4, s4, -1
	s_cmp_lg_u32 s4, 0
	v_sub_u32_e32 v1, v1, v5
	s_waitcnt lgkmcnt(0)
	v_mad_u64_u32 v[0:1], s[6:7], v1, s7, v[0:1]
	v_mov_b32_e32 v1, v3
	s_cbranch_scc1 .LBB55_515
.LBB55_516:
	s_cbranch_execnz .LBB55_519
.LBB55_517:
	s_load_dwordx4 s[0:3], s[28:29], 0x4
	s_waitcnt lgkmcnt(0)
	s_load_dword s3, s[28:29], 0xc4
	s_cmp_lt_u32 s33, 2
	v_mul_hi_u32 v0, s1, v8
	v_add_u32_e32 v0, v8, v0
	v_lshrrev_b32_e32 v1, s2, v0
	v_mul_lo_u32 v0, v1, s0
	v_sub_u32_e32 v0, v8, v0
	s_waitcnt lgkmcnt(0)
	v_mul_lo_u32 v0, v0, s3
	s_cbranch_scc1 .LBB55_519
; %bb.518:
	s_load_dwordx4 s[0:3], s[28:29], 0x10
	s_waitcnt lgkmcnt(0)
	s_load_dword s3, s[28:29], 0xc8
	v_mul_hi_u32 v3, s1, v1
	v_add_u32_e32 v3, v1, v3
	v_lshrrev_b32_e32 v3, s2, v3
	v_mul_lo_u32 v3, v3, s0
	v_sub_u32_e32 v1, v1, v3
	s_waitcnt lgkmcnt(0)
	v_mad_u64_u32 v[0:1], s[0:1], v1, s3, v[0:1]
.LBB55_519:
	s_load_dwordx4 s[0:3], s[28:29], 0x108
	s_waitcnt lgkmcnt(0)
	v_mov_b32_e32 v1, s1
	s_and_b32 s3, s3, 0xff
	v_add_co_u32_e32 v5, vcc, s0, v6
	s_cmp_lt_i32 s3, 11
	v_addc_co_u32_e32 v6, vcc, 0, v1, vcc
	s_cbranch_scc1 .LBB55_547
; %bb.520:
	s_and_b32 s12, 0xffff, s3
	s_mov_b64 s[10:11], -1
	s_mov_b64 s[6:7], 0
	s_cmp_gt_i32 s12, 25
	s_mov_b64 s[8:9], 0
	s_mov_b64 s[4:5], 0
	s_cbranch_scc0 .LBB55_557
; %bb.521:
	s_cmp_gt_i32 s12, 28
	s_cbranch_scc0 .LBB55_536
; %bb.522:
	s_cmp_gt_i32 s12, 43
	;; [unrolled: 3-line block ×3, first 2 shown]
	s_cbranch_scc0 .LBB55_526
; %bb.524:
	s_mov_b64 s[4:5], -1
	s_mov_b64 s[10:11], 0
	s_cmp_eq_u32 s12, 46
	s_cbranch_scc0 .LBB55_526
; %bb.525:
	s_bfe_u32 s4, s2, 0x10010
	s_add_i32 s4, s2, s4
	s_addk_i32 s4, 0x7fff
	s_lshr_b32 s8, s4, 16
	v_cmp_o_f32_e64 s[4:5], s2, s2
	s_and_b64 s[4:5], s[4:5], exec
	s_cselect_b32 s4, s8, 0x7fc0
	v_mov_b32_e32 v1, s4
	global_store_dword v[5:6], v1, off
	s_mov_b64 s[4:5], 0
	s_mov_b64 s[8:9], -1
.LBB55_526:
	s_and_b64 vcc, exec, s[10:11]
	s_cbranch_vccz .LBB55_531
; %bb.527:
	s_cmp_eq_u32 s12, 44
	s_mov_b64 s[4:5], -1
	s_cbranch_scc0 .LBB55_531
; %bb.528:
	s_bfe_u32 s4, s2, 0x80017
	s_cmpk_eq_i32 s4, 0xff
	v_mov_b32_e32 v1, 0xff
	s_cbranch_scc1 .LBB55_530
; %bb.529:
	s_lshr_b32 s10, s2, 23
	s_bitcmp1_b32 s2, 22
	s_cselect_b64 s[8:9], -1, 0
	s_and_b32 s5, s2, 0x3fffff
	s_or_b32 s4, s4, s5
	s_cmp_lg_u32 s4, 0
	s_cselect_b64 s[4:5], -1, 0
	s_and_b64 s[4:5], s[8:9], s[4:5]
	v_cndmask_b32_e64 v1, 0, 1, s[4:5]
	v_add_u32_e32 v1, s10, v1
.LBB55_530:
	s_mov_b64 s[4:5], 0
	s_mov_b64 s[8:9], -1
	global_store_byte v[5:6], v1, off
.LBB55_531:
	s_mov_b64 s[10:11], 0
.LBB55_532:
	s_and_b64 vcc, exec, s[10:11]
	s_cbranch_vccz .LBB55_535
; %bb.533:
	s_cmp_eq_u32 s12, 29
	s_mov_b64 s[4:5], -1
	s_cbranch_scc0 .LBB55_535
; %bb.534:
	v_trunc_f32_e32 v1, s2
	v_mul_f32_e32 v3, 0x2f800000, v1
	v_floor_f32_e32 v3, v3
	v_fmac_f32_e32 v1, 0xcf800000, v3
	v_cvt_u32_f32_e32 v8, v3
	v_cvt_u32_f32_e32 v7, v1
	s_mov_b64 s[4:5], 0
	s_mov_b64 s[8:9], -1
	global_store_dwordx2 v[5:6], v[7:8], off
.LBB55_535:
	s_mov_b64 s[10:11], 0
.LBB55_536:
	s_and_b64 vcc, exec, s[10:11]
	s_cbranch_vccz .LBB55_556
; %bb.537:
	s_cmp_lt_i32 s12, 27
	s_mov_b64 s[8:9], -1
	s_cbranch_scc1 .LBB55_543
; %bb.538:
	s_cmp_gt_i32 s12, 27
	s_cbranch_scc0 .LBB55_540
; %bb.539:
	v_cvt_u32_f32_e32 v1, s2
	s_mov_b64 s[8:9], 0
	global_store_dword v[5:6], v1, off
.LBB55_540:
	s_andn2_b64 vcc, exec, s[8:9]
	s_cbranch_vccnz .LBB55_542
; %bb.541:
	v_cvt_u32_f32_e32 v1, s2
	global_store_short v[5:6], v1, off
.LBB55_542:
	s_mov_b64 s[8:9], 0
.LBB55_543:
	s_andn2_b64 vcc, exec, s[8:9]
	s_cbranch_vccnz .LBB55_555
; %bb.544:
	s_and_b32 s8, s2, 0x7fffffff
	s_cmp_gt_u32 s8, 0x437fffff
	v_mov_b32_e32 v3, 0x80
	s_cbranch_scc1 .LBB55_554
; %bb.545:
	s_cmp_gt_u32 s8, 0x3bffffff
	s_cbranch_scc0 .LBB55_549
; %bb.546:
	s_bfe_u32 s8, s2, 0x10014
	s_add_i32 s8, s2, s8
	s_add_i32 s8, s8, 0x487ffff
	s_lshr_b32 s13, s8, 20
	s_mov_b64 s[10:11], 0
	s_mov_b64 s[8:9], -1
	s_branch .LBB55_550
.LBB55_547:
	s_mov_b64 s[8:9], 0
	s_mov_b64 s[4:5], s[20:21]
	s_cbranch_execnz .LBB55_607
.LBB55_548:
	s_andn2_b64 vcc, exec, s[8:9]
	s_cbranch_vccz .LBB55_645
	s_branch .LBB55_943
.LBB55_549:
	s_mov_b64 s[10:11], -1
	s_mov_b64 s[8:9], 0
                                        ; implicit-def: $sgpr13
.LBB55_550:
	s_andn2_b64 vcc, exec, s[10:11]
	v_mov_b32_e32 v1, s13
	s_cbranch_vccnz .LBB55_552
; %bb.551:
	v_mov_b32_e32 v1, 0x46000000
	v_add_f32_e64 v1, |s2|, v1
	v_and_b32_e32 v1, 0xff, v1
	v_cmp_ne_u32_e64 s[8:9], 0, v1
.LBB55_552:
	s_andn2_b64 vcc, exec, s[8:9]
	v_mov_b32_e32 v3, 0
	s_cbranch_vccnz .LBB55_554
; %bb.553:
	s_lshr_b32 s8, s2, 24
	s_and_b32 s8, s8, 0x80
	v_or_b32_e32 v3, s8, v1
.LBB55_554:
	global_store_byte v[5:6], v3, off
.LBB55_555:
	s_mov_b64 s[8:9], -1
.LBB55_556:
	s_mov_b64 s[10:11], 0
.LBB55_557:
	s_and_b64 vcc, exec, s[10:11]
	s_cbranch_vccz .LBB55_603
; %bb.558:
	s_cmp_gt_i32 s12, 22
	s_mov_b64 s[6:7], -1
	s_cbranch_scc0 .LBB55_596
; %bb.559:
	s_cmp_lt_i32 s12, 24
	s_cbranch_scc1 .LBB55_583
; %bb.560:
	s_cmp_gt_i32 s12, 24
	s_cbranch_scc0 .LBB55_570
; %bb.561:
	s_and_b32 s6, s2, 0x7fffffff
	s_cmp_gt_u32 s6, 0x477fffff
	v_mov_b32_e32 v3, 0x80
	s_cbranch_scc1 .LBB55_569
; %bb.562:
	s_cmp_gt_u32 s6, 0x37ffffff
	s_cbranch_scc0 .LBB55_564
; %bb.563:
	s_bfe_u32 s6, s2, 0x10015
	s_add_i32 s6, s2, s6
	s_add_i32 s6, s6, 0x88fffff
	s_lshr_b32 s10, s6, 21
	s_mov_b64 s[8:9], 0
	s_mov_b64 s[6:7], -1
	s_branch .LBB55_565
.LBB55_564:
	s_mov_b64 s[8:9], -1
	s_mov_b64 s[6:7], 0
                                        ; implicit-def: $sgpr10
.LBB55_565:
	s_andn2_b64 vcc, exec, s[8:9]
	v_mov_b32_e32 v1, s10
	s_cbranch_vccnz .LBB55_567
; %bb.566:
	v_mov_b32_e32 v1, 0x42800000
	v_add_f32_e64 v1, |s2|, v1
	v_and_b32_e32 v1, 0xff, v1
	v_cmp_ne_u32_e64 s[6:7], 0, v1
.LBB55_567:
	s_andn2_b64 vcc, exec, s[6:7]
	v_mov_b32_e32 v3, 0
	s_cbranch_vccnz .LBB55_569
; %bb.568:
	s_lshr_b32 s6, s2, 24
	s_and_b32 s6, s6, 0x80
	v_or_b32_e32 v3, s6, v1
.LBB55_569:
	s_mov_b64 s[6:7], 0
	global_store_byte v[5:6], v3, off
.LBB55_570:
	s_and_b64 vcc, exec, s[6:7]
	s_cbranch_vccz .LBB55_582
; %bb.571:
	s_and_b32 s8, s2, 0x7fffffff
	s_cmp_lt_u32 s8, 0x43f00000
	s_cbranch_scc0 .LBB55_574
; %bb.572:
	s_cmp_gt_u32 s8, 0x3c7fffff
	s_cbranch_scc0 .LBB55_575
; %bb.573:
	s_bfe_u32 s6, s2, 0x10014
	s_add_i32 s6, s2, s6
	s_add_i32 s6, s6, 0x407ffff
	s_lshr_b32 s7, s6, 20
	s_and_b32 s6, s6, 0xff00000
	s_cmp_lg_u32 s6, 0x7f00000
	s_cselect_b32 s9, s7, 0x7e
	s_mov_b64 s[6:7], 0
	s_branch .LBB55_576
.LBB55_574:
	s_mov_b64 s[6:7], -1
                                        ; implicit-def: $vgpr1
	s_branch .LBB55_579
.LBB55_575:
	s_mov_b64 s[6:7], -1
                                        ; implicit-def: $sgpr9
.LBB55_576:
	s_andn2_b64 vcc, exec, s[6:7]
	v_mov_b32_e32 v1, s9
	s_cbranch_vccnz .LBB55_578
; %bb.577:
	v_mov_b32_e32 v1, 0x46800000
	v_add_f32_e64 v1, |s2|, v1
.LBB55_578:
	s_mov_b64 s[6:7], 0
.LBB55_579:
	s_andn2_b64 vcc, exec, s[6:7]
	s_cbranch_vccnz .LBB55_581
; %bb.580:
	s_cmp_gt_u32 s8, 0x7f800000
	s_movk_i32 s6, 0x7f
	s_cselect_b32 s6, s6, 0x7e
	v_mov_b32_e32 v1, s6
.LBB55_581:
	s_lshr_b32 s6, s2, 24
	s_and_b32 s6, s6, 0x80
	v_or_b32_e32 v1, s6, v1
	global_store_byte v[5:6], v1, off
.LBB55_582:
	s_mov_b64 s[6:7], 0
.LBB55_583:
	s_andn2_b64 vcc, exec, s[6:7]
	s_cbranch_vccnz .LBB55_595
; %bb.584:
	s_and_b32 s8, s2, 0x7fffffff
	s_cmp_lt_u32 s8, 0x47800000
	s_cbranch_scc0 .LBB55_587
; %bb.585:
	s_cmp_gt_u32 s8, 0x387fffff
	s_cbranch_scc0 .LBB55_588
; %bb.586:
	s_bfe_u32 s6, s2, 0x10015
	s_add_i32 s6, s2, s6
	s_add_i32 s6, s6, 0x80fffff
	s_lshr_b32 s9, s6, 21
	s_mov_b64 s[6:7], 0
	s_branch .LBB55_589
.LBB55_587:
	s_mov_b64 s[6:7], -1
                                        ; implicit-def: $vgpr1
	s_branch .LBB55_592
.LBB55_588:
	s_mov_b64 s[6:7], -1
                                        ; implicit-def: $sgpr9
.LBB55_589:
	s_andn2_b64 vcc, exec, s[6:7]
	v_mov_b32_e32 v1, s9
	s_cbranch_vccnz .LBB55_591
; %bb.590:
	v_mov_b32_e32 v1, 0x43000000
	v_add_f32_e64 v1, |s2|, v1
.LBB55_591:
	s_mov_b64 s[6:7], 0
.LBB55_592:
	s_andn2_b64 vcc, exec, s[6:7]
	s_cbranch_vccnz .LBB55_594
; %bb.593:
	s_cmp_gt_u32 s8, 0x7f800000
	s_movk_i32 s6, 0x7f
	s_cselect_b32 s6, s6, 0x7c
	v_mov_b32_e32 v1, s6
.LBB55_594:
	s_lshr_b32 s6, s2, 24
	s_and_b32 s6, s6, 0x80
	v_or_b32_e32 v1, s6, v1
	global_store_byte v[5:6], v1, off
.LBB55_595:
	s_mov_b64 s[6:7], 0
	s_mov_b64 s[8:9], -1
.LBB55_596:
	s_andn2_b64 vcc, exec, s[6:7]
	s_mov_b64 s[6:7], 0
	s_cbranch_vccnz .LBB55_603
; %bb.597:
	s_cmp_gt_i32 s12, 14
	s_mov_b64 s[10:11], -1
	s_cbranch_scc0 .LBB55_601
; %bb.598:
	s_cmp_eq_u32 s12, 15
	s_mov_b64 s[4:5], -1
	s_cbranch_scc0 .LBB55_600
; %bb.599:
	s_bfe_u32 s4, s2, 0x10010
	s_add_i32 s4, s2, s4
	s_addk_i32 s4, 0x7fff
	s_lshr_b32 s6, s4, 16
	v_cmp_o_f32_e64 s[4:5], s2, s2
	s_and_b64 s[4:5], s[4:5], exec
	s_cselect_b32 s4, s6, 0x7fc0
	v_mov_b32_e32 v1, s4
	global_store_short v[5:6], v1, off
	s_mov_b64 s[4:5], 0
	s_mov_b64 s[8:9], -1
.LBB55_600:
	s_mov_b64 s[10:11], 0
.LBB55_601:
	s_mov_b64 s[6:7], 0
	s_and_b64 vcc, exec, s[10:11]
	s_cbranch_vccz .LBB55_603
; %bb.602:
	s_cmp_lg_u32 s12, 11
	s_mov_b64 s[6:7], -1
	s_cselect_b64 s[4:5], -1, 0
.LBB55_603:
	s_and_b64 vcc, exec, s[4:5]
	s_mov_b64 s[4:5], s[20:21]
	s_cbranch_vccnz .LBB55_675
; %bb.604:
	s_andn2_b64 vcc, exec, s[6:7]
	s_cbranch_vccnz .LBB55_606
.LBB55_605:
	v_cmp_neq_f32_e64 s[6:7], s2, 0
	v_cndmask_b32_e64 v1, 0, 1, s[6:7]
	global_store_byte v[5:6], v1, off
	s_mov_b64 s[8:9], -1
.LBB55_606:
	s_branch .LBB55_548
.LBB55_607:
	s_and_b32 s8, 0xffff, s3
	s_cmp_lt_i32 s8, 5
	s_mov_b64 s[6:7], -1
	s_cbranch_scc1 .LBB55_628
; %bb.608:
	s_cmp_lt_i32 s8, 8
	s_cbranch_scc1 .LBB55_618
; %bb.609:
	s_cmp_lt_i32 s8, 9
	s_cbranch_scc1 .LBB55_615
; %bb.610:
	s_cmp_gt_i32 s8, 9
	s_cbranch_scc0 .LBB55_612
; %bb.611:
	v_cvt_f64_f32_e32 v[7:8], s2
	v_mov_b32_e32 v9, 0
	v_mov_b32_e32 v10, v9
	s_mov_b64 s[6:7], 0
	global_store_dwordx4 v[5:6], v[7:10], off
.LBB55_612:
	s_andn2_b64 vcc, exec, s[6:7]
	s_cbranch_vccnz .LBB55_614
; %bb.613:
	v_mov_b32_e32 v7, s2
	v_mov_b32_e32 v8, 0
	global_store_dwordx2 v[5:6], v[7:8], off
.LBB55_614:
	s_mov_b64 s[6:7], 0
.LBB55_615:
	s_andn2_b64 vcc, exec, s[6:7]
	s_cbranch_vccnz .LBB55_617
; %bb.616:
	v_cvt_f16_f32_e32 v1, s2
	global_store_dword v[5:6], v1, off
.LBB55_617:
	s_mov_b64 s[6:7], 0
.LBB55_618:
	s_andn2_b64 vcc, exec, s[6:7]
	s_cbranch_vccnz .LBB55_627
; %bb.619:
	s_cmp_lt_i32 s8, 6
	s_mov_b64 s[6:7], -1
	s_cbranch_scc1 .LBB55_625
; %bb.620:
	s_cmp_gt_i32 s8, 6
	s_cbranch_scc0 .LBB55_622
; %bb.621:
	v_cvt_f64_f32_e32 v[7:8], s2
	s_mov_b64 s[6:7], 0
	global_store_dwordx2 v[5:6], v[7:8], off
.LBB55_622:
	s_andn2_b64 vcc, exec, s[6:7]
	s_cbranch_vccnz .LBB55_624
; %bb.623:
	v_mov_b32_e32 v1, s2
	global_store_dword v[5:6], v1, off
.LBB55_624:
	s_mov_b64 s[6:7], 0
.LBB55_625:
	s_andn2_b64 vcc, exec, s[6:7]
	s_cbranch_vccnz .LBB55_627
; %bb.626:
	v_cvt_f16_f32_e32 v1, s2
	global_store_short v[5:6], v1, off
.LBB55_627:
	s_mov_b64 s[6:7], 0
.LBB55_628:
	s_andn2_b64 vcc, exec, s[6:7]
	s_cbranch_vccnz .LBB55_644
; %bb.629:
	s_cmp_lt_i32 s8, 2
	s_mov_b64 s[6:7], -1
	s_cbranch_scc1 .LBB55_639
; %bb.630:
	s_cmp_lt_i32 s8, 3
	s_cbranch_scc1 .LBB55_636
; %bb.631:
	s_cmp_gt_i32 s8, 3
	s_cbranch_scc0 .LBB55_633
; %bb.632:
	v_trunc_f32_e32 v1, s2
	s_mov_b32 s6, 0x2f800000
	v_mul_f32_e64 v3, |v1|, s6
	v_floor_f32_e32 v3, v3
	s_mov_b32 s6, 0xcf800000
	v_fma_f32 v7, v3, s6, |v1|
	v_cvt_u32_f32_e32 v7, v7
	v_cvt_u32_f32_e32 v3, v3
	v_ashrrev_i32_e32 v1, 31, v1
	s_mov_b64 s[6:7], 0
	v_xor_b32_e32 v7, v7, v1
	v_xor_b32_e32 v3, v3, v1
	v_sub_co_u32_e32 v7, vcc, v7, v1
	v_subb_co_u32_e32 v8, vcc, v3, v1, vcc
	global_store_dwordx2 v[5:6], v[7:8], off
.LBB55_633:
	s_andn2_b64 vcc, exec, s[6:7]
	s_cbranch_vccnz .LBB55_635
; %bb.634:
	v_cvt_i32_f32_e32 v1, s2
	global_store_dword v[5:6], v1, off
.LBB55_635:
	s_mov_b64 s[6:7], 0
.LBB55_636:
	s_andn2_b64 vcc, exec, s[6:7]
	s_cbranch_vccnz .LBB55_638
; %bb.637:
	v_cvt_i32_f32_e32 v1, s2
	global_store_short v[5:6], v1, off
.LBB55_638:
	s_mov_b64 s[6:7], 0
.LBB55_639:
	s_andn2_b64 vcc, exec, s[6:7]
	s_cbranch_vccnz .LBB55_644
; %bb.640:
	s_cmp_gt_i32 s8, 0
	s_mov_b64 s[6:7], -1
	s_cbranch_scc0 .LBB55_642
; %bb.641:
	v_cvt_i32_f32_e32 v1, s2
	s_mov_b64 s[6:7], 0
	global_store_byte v[5:6], v1, off
.LBB55_642:
	s_andn2_b64 vcc, exec, s[6:7]
	s_cbranch_vccnz .LBB55_644
; %bb.643:
	v_trunc_f32_e32 v1, s2
	s_mov_b32 s6, 0x2f800000
	v_mul_f32_e64 v3, |v1|, s6
	v_floor_f32_e32 v3, v3
	s_mov_b32 s6, 0xcf800000
	v_fma_f32 v3, v3, s6, |v1|
	v_cvt_u32_f32_e32 v3, v3
	v_ashrrev_i32_e32 v1, 31, v1
	v_xor_b32_e32 v3, v3, v1
	v_sub_u32_e32 v1, v3, v1
	global_store_byte v[5:6], v1, off
.LBB55_644:
.LBB55_645:
	v_mov_b32_e32 v1, s1
	s_and_b32 s14, 0xffff, s3
	v_add_co_u32_e32 v3, vcc, s0, v4
	s_cmp_lt_i32 s14, 11
	v_addc_co_u32_e32 v4, vcc, 0, v1, vcc
	s_cbranch_scc1 .LBB55_673
; %bb.646:
	s_mov_b64 s[12:13], -1
	s_mov_b64 s[8:9], 0
	s_cmp_gt_i32 s14, 25
	s_mov_b64 s[10:11], 0
	s_mov_b64 s[6:7], 0
	s_cbranch_scc0 .LBB55_684
; %bb.647:
	s_cmp_gt_i32 s14, 28
	s_cbranch_scc0 .LBB55_662
; %bb.648:
	s_cmp_gt_i32 s14, 43
	;; [unrolled: 3-line block ×3, first 2 shown]
	s_cbranch_scc0 .LBB55_652
; %bb.650:
	s_mov_b64 s[6:7], -1
	s_mov_b64 s[12:13], 0
	s_cmp_eq_u32 s14, 46
	s_cbranch_scc0 .LBB55_652
; %bb.651:
	s_bfe_u32 s6, s2, 0x10010
	s_add_i32 s6, s2, s6
	s_addk_i32 s6, 0x7fff
	s_lshr_b32 s10, s6, 16
	v_cmp_o_f32_e64 s[6:7], s2, s2
	s_and_b64 s[6:7], s[6:7], exec
	s_cselect_b32 s6, s10, 0x7fc0
	v_mov_b32_e32 v1, s6
	global_store_dword v[3:4], v1, off
	s_mov_b64 s[6:7], 0
	s_mov_b64 s[10:11], -1
.LBB55_652:
	s_and_b64 vcc, exec, s[12:13]
	s_cbranch_vccz .LBB55_657
; %bb.653:
	s_cmp_eq_u32 s14, 44
	s_mov_b64 s[6:7], -1
	s_cbranch_scc0 .LBB55_657
; %bb.654:
	s_bfe_u32 s6, s2, 0x80017
	s_cmpk_eq_i32 s6, 0xff
	v_mov_b32_e32 v1, 0xff
	s_cbranch_scc1 .LBB55_656
; %bb.655:
	s_lshr_b32 s12, s2, 23
	s_bitcmp1_b32 s2, 22
	s_cselect_b64 s[10:11], -1, 0
	s_and_b32 s7, s2, 0x3fffff
	s_or_b32 s6, s6, s7
	s_cmp_lg_u32 s6, 0
	s_cselect_b64 s[6:7], -1, 0
	s_and_b64 s[6:7], s[10:11], s[6:7]
	v_cndmask_b32_e64 v1, 0, 1, s[6:7]
	v_add_u32_e32 v1, s12, v1
.LBB55_656:
	s_mov_b64 s[6:7], 0
	s_mov_b64 s[10:11], -1
	global_store_byte v[3:4], v1, off
.LBB55_657:
	s_mov_b64 s[12:13], 0
.LBB55_658:
	s_and_b64 vcc, exec, s[12:13]
	s_cbranch_vccz .LBB55_661
; %bb.659:
	s_cmp_eq_u32 s14, 29
	s_mov_b64 s[6:7], -1
	s_cbranch_scc0 .LBB55_661
; %bb.660:
	v_trunc_f32_e32 v1, s2
	v_mul_f32_e32 v5, 0x2f800000, v1
	v_floor_f32_e32 v5, v5
	v_fmac_f32_e32 v1, 0xcf800000, v5
	v_cvt_u32_f32_e32 v6, v5
	v_cvt_u32_f32_e32 v5, v1
	s_mov_b64 s[6:7], 0
	s_mov_b64 s[10:11], -1
	global_store_dwordx2 v[3:4], v[5:6], off
.LBB55_661:
	s_mov_b64 s[12:13], 0
.LBB55_662:
	s_and_b64 vcc, exec, s[12:13]
	s_cbranch_vccz .LBB55_683
; %bb.663:
	s_cmp_lt_i32 s14, 27
	s_mov_b64 s[10:11], -1
	s_cbranch_scc1 .LBB55_669
; %bb.664:
	s_cmp_gt_i32 s14, 27
	s_cbranch_scc0 .LBB55_666
; %bb.665:
	v_cvt_u32_f32_e32 v1, s2
	s_mov_b64 s[10:11], 0
	global_store_dword v[3:4], v1, off
.LBB55_666:
	s_andn2_b64 vcc, exec, s[10:11]
	s_cbranch_vccnz .LBB55_668
; %bb.667:
	v_cvt_u32_f32_e32 v1, s2
	global_store_short v[3:4], v1, off
.LBB55_668:
	s_mov_b64 s[10:11], 0
.LBB55_669:
	s_andn2_b64 vcc, exec, s[10:11]
	s_cbranch_vccnz .LBB55_682
; %bb.670:
	s_and_b32 s10, s2, 0x7fffffff
	s_cmp_gt_u32 s10, 0x437fffff
	v_mov_b32_e32 v5, 0x80
	s_cbranch_scc1 .LBB55_681
; %bb.671:
	s_cmp_gt_u32 s10, 0x3bffffff
	s_cbranch_scc0 .LBB55_676
; %bb.672:
	s_bfe_u32 s10, s2, 0x10014
	s_add_i32 s10, s2, s10
	s_add_i32 s10, s10, 0x487ffff
	s_lshr_b32 s15, s10, 20
	s_mov_b64 s[12:13], 0
	s_mov_b64 s[10:11], -1
	s_branch .LBB55_677
.LBB55_673:
	s_mov_b64 s[10:11], 0
	s_cbranch_execnz .LBB55_734
.LBB55_674:
	s_andn2_b64 vcc, exec, s[10:11]
	s_cbranch_vccz .LBB55_772
	s_branch .LBB55_943
.LBB55_675:
	s_or_b64 s[4:5], s[20:21], exec
	s_trap 2
	s_cbranch_execz .LBB55_605
	s_branch .LBB55_606
.LBB55_676:
	s_mov_b64 s[12:13], -1
	s_mov_b64 s[10:11], 0
                                        ; implicit-def: $sgpr15
.LBB55_677:
	s_andn2_b64 vcc, exec, s[12:13]
	v_mov_b32_e32 v1, s15
	s_cbranch_vccnz .LBB55_679
; %bb.678:
	v_mov_b32_e32 v1, 0x46000000
	v_add_f32_e64 v1, |s2|, v1
	v_and_b32_e32 v1, 0xff, v1
	v_cmp_ne_u32_e64 s[10:11], 0, v1
.LBB55_679:
	s_andn2_b64 vcc, exec, s[10:11]
	v_mov_b32_e32 v5, 0
	s_cbranch_vccnz .LBB55_681
; %bb.680:
	s_lshr_b32 s10, s2, 24
	s_and_b32 s10, s10, 0x80
	v_or_b32_e32 v5, s10, v1
.LBB55_681:
	global_store_byte v[3:4], v5, off
.LBB55_682:
	s_mov_b64 s[10:11], -1
.LBB55_683:
	s_mov_b64 s[12:13], 0
.LBB55_684:
	s_and_b64 vcc, exec, s[12:13]
	s_cbranch_vccz .LBB55_730
; %bb.685:
	s_cmp_gt_i32 s14, 22
	s_mov_b64 s[8:9], -1
	s_cbranch_scc0 .LBB55_723
; %bb.686:
	s_cmp_lt_i32 s14, 24
	s_cbranch_scc1 .LBB55_710
; %bb.687:
	s_cmp_gt_i32 s14, 24
	s_cbranch_scc0 .LBB55_697
; %bb.688:
	s_and_b32 s8, s2, 0x7fffffff
	s_cmp_gt_u32 s8, 0x477fffff
	v_mov_b32_e32 v5, 0x80
	s_cbranch_scc1 .LBB55_696
; %bb.689:
	s_cmp_gt_u32 s8, 0x37ffffff
	s_cbranch_scc0 .LBB55_691
; %bb.690:
	s_bfe_u32 s8, s2, 0x10015
	s_add_i32 s8, s2, s8
	s_add_i32 s8, s8, 0x88fffff
	s_lshr_b32 s12, s8, 21
	s_mov_b64 s[10:11], 0
	s_mov_b64 s[8:9], -1
	s_branch .LBB55_692
.LBB55_691:
	s_mov_b64 s[10:11], -1
	s_mov_b64 s[8:9], 0
                                        ; implicit-def: $sgpr12
.LBB55_692:
	s_andn2_b64 vcc, exec, s[10:11]
	v_mov_b32_e32 v1, s12
	s_cbranch_vccnz .LBB55_694
; %bb.693:
	v_mov_b32_e32 v1, 0x42800000
	v_add_f32_e64 v1, |s2|, v1
	v_and_b32_e32 v1, 0xff, v1
	v_cmp_ne_u32_e64 s[8:9], 0, v1
.LBB55_694:
	s_andn2_b64 vcc, exec, s[8:9]
	v_mov_b32_e32 v5, 0
	s_cbranch_vccnz .LBB55_696
; %bb.695:
	s_lshr_b32 s8, s2, 24
	s_and_b32 s8, s8, 0x80
	v_or_b32_e32 v5, s8, v1
.LBB55_696:
	s_mov_b64 s[8:9], 0
	global_store_byte v[3:4], v5, off
.LBB55_697:
	s_and_b64 vcc, exec, s[8:9]
	s_cbranch_vccz .LBB55_709
; %bb.698:
	s_and_b32 s10, s2, 0x7fffffff
	s_cmp_lt_u32 s10, 0x43f00000
	s_cbranch_scc0 .LBB55_701
; %bb.699:
	s_cmp_gt_u32 s10, 0x3c7fffff
	s_cbranch_scc0 .LBB55_702
; %bb.700:
	s_bfe_u32 s8, s2, 0x10014
	s_add_i32 s8, s2, s8
	s_add_i32 s8, s8, 0x407ffff
	s_lshr_b32 s9, s8, 20
	s_and_b32 s8, s8, 0xff00000
	s_cmp_lg_u32 s8, 0x7f00000
	s_cselect_b32 s11, s9, 0x7e
	s_mov_b64 s[8:9], 0
	s_branch .LBB55_703
.LBB55_701:
	s_mov_b64 s[8:9], -1
                                        ; implicit-def: $vgpr1
	s_branch .LBB55_706
.LBB55_702:
	s_mov_b64 s[8:9], -1
                                        ; implicit-def: $sgpr11
.LBB55_703:
	s_andn2_b64 vcc, exec, s[8:9]
	v_mov_b32_e32 v1, s11
	s_cbranch_vccnz .LBB55_705
; %bb.704:
	v_mov_b32_e32 v1, 0x46800000
	v_add_f32_e64 v1, |s2|, v1
.LBB55_705:
	s_mov_b64 s[8:9], 0
.LBB55_706:
	s_andn2_b64 vcc, exec, s[8:9]
	s_cbranch_vccnz .LBB55_708
; %bb.707:
	s_cmp_gt_u32 s10, 0x7f800000
	s_movk_i32 s8, 0x7f
	s_cselect_b32 s8, s8, 0x7e
	v_mov_b32_e32 v1, s8
.LBB55_708:
	s_lshr_b32 s8, s2, 24
	s_and_b32 s8, s8, 0x80
	v_or_b32_e32 v1, s8, v1
	global_store_byte v[3:4], v1, off
.LBB55_709:
	s_mov_b64 s[8:9], 0
.LBB55_710:
	s_andn2_b64 vcc, exec, s[8:9]
	s_cbranch_vccnz .LBB55_722
; %bb.711:
	s_and_b32 s10, s2, 0x7fffffff
	s_cmp_lt_u32 s10, 0x47800000
	s_cbranch_scc0 .LBB55_714
; %bb.712:
	s_cmp_gt_u32 s10, 0x387fffff
	s_cbranch_scc0 .LBB55_715
; %bb.713:
	s_bfe_u32 s8, s2, 0x10015
	s_add_i32 s8, s2, s8
	s_add_i32 s8, s8, 0x80fffff
	s_lshr_b32 s11, s8, 21
	s_mov_b64 s[8:9], 0
	s_branch .LBB55_716
.LBB55_714:
	s_mov_b64 s[8:9], -1
                                        ; implicit-def: $vgpr1
	s_branch .LBB55_719
.LBB55_715:
	s_mov_b64 s[8:9], -1
                                        ; implicit-def: $sgpr11
.LBB55_716:
	s_andn2_b64 vcc, exec, s[8:9]
	v_mov_b32_e32 v1, s11
	s_cbranch_vccnz .LBB55_718
; %bb.717:
	v_mov_b32_e32 v1, 0x43000000
	v_add_f32_e64 v1, |s2|, v1
.LBB55_718:
	s_mov_b64 s[8:9], 0
.LBB55_719:
	s_andn2_b64 vcc, exec, s[8:9]
	s_cbranch_vccnz .LBB55_721
; %bb.720:
	s_cmp_gt_u32 s10, 0x7f800000
	s_movk_i32 s8, 0x7f
	s_cselect_b32 s8, s8, 0x7c
	v_mov_b32_e32 v1, s8
.LBB55_721:
	s_lshr_b32 s8, s2, 24
	s_and_b32 s8, s8, 0x80
	v_or_b32_e32 v1, s8, v1
	global_store_byte v[3:4], v1, off
.LBB55_722:
	s_mov_b64 s[8:9], 0
	s_mov_b64 s[10:11], -1
.LBB55_723:
	s_andn2_b64 vcc, exec, s[8:9]
	s_mov_b64 s[8:9], 0
	s_cbranch_vccnz .LBB55_730
; %bb.724:
	s_cmp_gt_i32 s14, 14
	s_mov_b64 s[12:13], -1
	s_cbranch_scc0 .LBB55_728
; %bb.725:
	s_cmp_eq_u32 s14, 15
	s_mov_b64 s[6:7], -1
	s_cbranch_scc0 .LBB55_727
; %bb.726:
	s_bfe_u32 s6, s2, 0x10010
	s_add_i32 s6, s2, s6
	s_addk_i32 s6, 0x7fff
	s_lshr_b32 s8, s6, 16
	v_cmp_o_f32_e64 s[6:7], s2, s2
	s_and_b64 s[6:7], s[6:7], exec
	s_cselect_b32 s6, s8, 0x7fc0
	v_mov_b32_e32 v1, s6
	global_store_short v[3:4], v1, off
	s_mov_b64 s[6:7], 0
	s_mov_b64 s[10:11], -1
.LBB55_727:
	s_mov_b64 s[12:13], 0
.LBB55_728:
	s_mov_b64 s[8:9], 0
	s_and_b64 vcc, exec, s[12:13]
	s_cbranch_vccz .LBB55_730
; %bb.729:
	s_cmp_lg_u32 s14, 11
	s_mov_b64 s[8:9], -1
	s_cselect_b64 s[6:7], -1, 0
.LBB55_730:
	s_and_b64 vcc, exec, s[6:7]
	s_cbranch_vccnz .LBB55_832
; %bb.731:
	s_andn2_b64 vcc, exec, s[8:9]
	s_cbranch_vccnz .LBB55_733
.LBB55_732:
	v_cmp_neq_f32_e64 s[6:7], s2, 0
	v_cndmask_b32_e64 v1, 0, 1, s[6:7]
	s_mov_b64 s[10:11], -1
	global_store_byte v[3:4], v1, off
.LBB55_733:
	s_branch .LBB55_674
.LBB55_734:
	s_cmp_lt_i32 s14, 5
	s_mov_b64 s[6:7], -1
	s_cbranch_scc1 .LBB55_755
; %bb.735:
	s_cmp_lt_i32 s14, 8
	s_cbranch_scc1 .LBB55_745
; %bb.736:
	s_cmp_lt_i32 s14, 9
	s_cbranch_scc1 .LBB55_742
; %bb.737:
	s_cmp_gt_i32 s14, 9
	s_cbranch_scc0 .LBB55_739
; %bb.738:
	v_cvt_f64_f32_e32 v[5:6], s2
	v_mov_b32_e32 v7, 0
	v_mov_b32_e32 v8, v7
	s_mov_b64 s[6:7], 0
	global_store_dwordx4 v[3:4], v[5:8], off
.LBB55_739:
	s_andn2_b64 vcc, exec, s[6:7]
	s_cbranch_vccnz .LBB55_741
; %bb.740:
	v_mov_b32_e32 v5, s2
	v_mov_b32_e32 v6, 0
	global_store_dwordx2 v[3:4], v[5:6], off
.LBB55_741:
	s_mov_b64 s[6:7], 0
.LBB55_742:
	s_andn2_b64 vcc, exec, s[6:7]
	s_cbranch_vccnz .LBB55_744
; %bb.743:
	v_cvt_f16_f32_e32 v1, s2
	global_store_dword v[3:4], v1, off
.LBB55_744:
	s_mov_b64 s[6:7], 0
.LBB55_745:
	s_andn2_b64 vcc, exec, s[6:7]
	s_cbranch_vccnz .LBB55_754
; %bb.746:
	s_cmp_lt_i32 s14, 6
	s_mov_b64 s[6:7], -1
	s_cbranch_scc1 .LBB55_752
; %bb.747:
	s_cmp_gt_i32 s14, 6
	s_cbranch_scc0 .LBB55_749
; %bb.748:
	v_cvt_f64_f32_e32 v[5:6], s2
	s_mov_b64 s[6:7], 0
	global_store_dwordx2 v[3:4], v[5:6], off
.LBB55_749:
	s_andn2_b64 vcc, exec, s[6:7]
	s_cbranch_vccnz .LBB55_751
; %bb.750:
	v_mov_b32_e32 v1, s2
	global_store_dword v[3:4], v1, off
.LBB55_751:
	s_mov_b64 s[6:7], 0
.LBB55_752:
	s_andn2_b64 vcc, exec, s[6:7]
	s_cbranch_vccnz .LBB55_754
; %bb.753:
	v_cvt_f16_f32_e32 v1, s2
	global_store_short v[3:4], v1, off
.LBB55_754:
	s_mov_b64 s[6:7], 0
.LBB55_755:
	s_andn2_b64 vcc, exec, s[6:7]
	s_cbranch_vccnz .LBB55_771
; %bb.756:
	s_cmp_lt_i32 s14, 2
	s_mov_b64 s[6:7], -1
	s_cbranch_scc1 .LBB55_766
; %bb.757:
	s_cmp_lt_i32 s14, 3
	s_cbranch_scc1 .LBB55_763
; %bb.758:
	s_cmp_gt_i32 s14, 3
	s_cbranch_scc0 .LBB55_760
; %bb.759:
	v_trunc_f32_e32 v1, s2
	s_mov_b32 s6, 0x2f800000
	v_mul_f32_e64 v5, |v1|, s6
	v_floor_f32_e32 v5, v5
	s_mov_b32 s6, 0xcf800000
	v_fma_f32 v6, v5, s6, |v1|
	v_cvt_u32_f32_e32 v6, v6
	v_cvt_u32_f32_e32 v5, v5
	v_ashrrev_i32_e32 v1, 31, v1
	s_mov_b64 s[6:7], 0
	v_xor_b32_e32 v6, v6, v1
	v_xor_b32_e32 v7, v5, v1
	v_sub_co_u32_e32 v5, vcc, v6, v1
	v_subb_co_u32_e32 v6, vcc, v7, v1, vcc
	global_store_dwordx2 v[3:4], v[5:6], off
.LBB55_760:
	s_andn2_b64 vcc, exec, s[6:7]
	s_cbranch_vccnz .LBB55_762
; %bb.761:
	v_cvt_i32_f32_e32 v1, s2
	global_store_dword v[3:4], v1, off
.LBB55_762:
	s_mov_b64 s[6:7], 0
.LBB55_763:
	s_andn2_b64 vcc, exec, s[6:7]
	s_cbranch_vccnz .LBB55_765
; %bb.764:
	v_cvt_i32_f32_e32 v1, s2
	global_store_short v[3:4], v1, off
.LBB55_765:
	s_mov_b64 s[6:7], 0
.LBB55_766:
	s_andn2_b64 vcc, exec, s[6:7]
	s_cbranch_vccnz .LBB55_771
; %bb.767:
	s_cmp_gt_i32 s14, 0
	s_mov_b64 s[6:7], -1
	s_cbranch_scc0 .LBB55_769
; %bb.768:
	v_cvt_i32_f32_e32 v1, s2
	s_mov_b64 s[6:7], 0
	global_store_byte v[3:4], v1, off
.LBB55_769:
	s_andn2_b64 vcc, exec, s[6:7]
	s_cbranch_vccnz .LBB55_771
; %bb.770:
	v_trunc_f32_e32 v1, s2
	s_mov_b32 s6, 0x2f800000
	v_mul_f32_e64 v5, |v1|, s6
	v_floor_f32_e32 v5, v5
	s_mov_b32 s6, 0xcf800000
	v_fma_f32 v5, v5, s6, |v1|
	v_cvt_u32_f32_e32 v5, v5
	v_ashrrev_i32_e32 v1, 31, v1
	v_xor_b32_e32 v5, v5, v1
	v_sub_u32_e32 v1, v5, v1
	global_store_byte v[3:4], v1, off
.LBB55_771:
.LBB55_772:
	v_mov_b32_e32 v3, s1
	v_add_co_u32_e32 v1, vcc, s0, v2
	s_cmp_lt_i32 s14, 11
	v_addc_co_u32_e32 v2, vcc, 0, v3, vcc
	s_cbranch_scc1 .LBB55_800
; %bb.773:
	s_mov_b64 s[12:13], -1
	s_mov_b64 s[8:9], 0
	s_cmp_gt_i32 s14, 25
	s_mov_b64 s[10:11], 0
	s_mov_b64 s[6:7], 0
	s_cbranch_scc0 .LBB55_841
; %bb.774:
	s_cmp_gt_i32 s14, 28
	s_cbranch_scc0 .LBB55_789
; %bb.775:
	s_cmp_gt_i32 s14, 43
	;; [unrolled: 3-line block ×3, first 2 shown]
	s_cbranch_scc0 .LBB55_779
; %bb.777:
	s_mov_b64 s[6:7], -1
	s_mov_b64 s[12:13], 0
	s_cmp_eq_u32 s14, 46
	s_cbranch_scc0 .LBB55_779
; %bb.778:
	s_bfe_u32 s6, s2, 0x10010
	s_add_i32 s6, s2, s6
	s_addk_i32 s6, 0x7fff
	s_lshr_b32 s10, s6, 16
	v_cmp_o_f32_e64 s[6:7], s2, s2
	s_and_b64 s[6:7], s[6:7], exec
	s_cselect_b32 s6, s10, 0x7fc0
	v_mov_b32_e32 v3, s6
	global_store_dword v[1:2], v3, off
	s_mov_b64 s[6:7], 0
	s_mov_b64 s[10:11], -1
.LBB55_779:
	s_and_b64 vcc, exec, s[12:13]
	s_cbranch_vccz .LBB55_784
; %bb.780:
	s_cmp_eq_u32 s14, 44
	s_mov_b64 s[6:7], -1
	s_cbranch_scc0 .LBB55_784
; %bb.781:
	s_bfe_u32 s6, s2, 0x80017
	s_cmpk_eq_i32 s6, 0xff
	v_mov_b32_e32 v3, 0xff
	s_cbranch_scc1 .LBB55_783
; %bb.782:
	s_lshr_b32 s12, s2, 23
	s_bitcmp1_b32 s2, 22
	s_cselect_b64 s[10:11], -1, 0
	s_and_b32 s7, s2, 0x3fffff
	s_or_b32 s6, s6, s7
	s_cmp_lg_u32 s6, 0
	s_cselect_b64 s[6:7], -1, 0
	s_and_b64 s[6:7], s[10:11], s[6:7]
	v_cndmask_b32_e64 v3, 0, 1, s[6:7]
	v_add_u32_e32 v3, s12, v3
.LBB55_783:
	s_mov_b64 s[6:7], 0
	s_mov_b64 s[10:11], -1
	global_store_byte v[1:2], v3, off
.LBB55_784:
	s_mov_b64 s[12:13], 0
.LBB55_785:
	s_and_b64 vcc, exec, s[12:13]
	s_cbranch_vccz .LBB55_788
; %bb.786:
	s_cmp_eq_u32 s14, 29
	s_mov_b64 s[6:7], -1
	s_cbranch_scc0 .LBB55_788
; %bb.787:
	v_trunc_f32_e32 v3, s2
	v_mul_f32_e32 v4, 0x2f800000, v3
	v_floor_f32_e32 v5, v4
	v_fmac_f32_e32 v3, 0xcf800000, v5
	v_cvt_u32_f32_e32 v4, v5
	v_cvt_u32_f32_e32 v3, v3
	s_mov_b64 s[6:7], 0
	s_mov_b64 s[10:11], -1
	global_store_dwordx2 v[1:2], v[3:4], off
.LBB55_788:
	s_mov_b64 s[12:13], 0
.LBB55_789:
	s_and_b64 vcc, exec, s[12:13]
	s_cbranch_vccz .LBB55_840
; %bb.790:
	s_cmp_lt_i32 s14, 27
	s_mov_b64 s[10:11], -1
	s_cbranch_scc1 .LBB55_796
; %bb.791:
	s_cmp_gt_i32 s14, 27
	s_cbranch_scc0 .LBB55_793
; %bb.792:
	v_cvt_u32_f32_e32 v3, s2
	s_mov_b64 s[10:11], 0
	global_store_dword v[1:2], v3, off
.LBB55_793:
	s_andn2_b64 vcc, exec, s[10:11]
	s_cbranch_vccnz .LBB55_795
; %bb.794:
	v_cvt_u32_f32_e32 v3, s2
	global_store_short v[1:2], v3, off
.LBB55_795:
	s_mov_b64 s[10:11], 0
.LBB55_796:
	s_andn2_b64 vcc, exec, s[10:11]
	s_cbranch_vccnz .LBB55_839
; %bb.797:
	s_and_b32 s10, s2, 0x7fffffff
	s_cmp_gt_u32 s10, 0x437fffff
	v_mov_b32_e32 v4, 0x80
	s_cbranch_scc1 .LBB55_838
; %bb.798:
	s_cmp_gt_u32 s10, 0x3bffffff
	s_cbranch_scc0 .LBB55_833
; %bb.799:
	s_bfe_u32 s10, s2, 0x10014
	s_add_i32 s10, s2, s10
	s_add_i32 s10, s10, 0x487ffff
	s_lshr_b32 s15, s10, 20
	s_mov_b64 s[12:13], 0
	s_mov_b64 s[10:11], -1
	s_branch .LBB55_834
.LBB55_800:
	s_mov_b64 s[10:11], 0
	s_cbranch_execnz .LBB55_905
.LBB55_801:
	s_andn2_b64 vcc, exec, s[10:11]
	s_cbranch_vccnz .LBB55_943
.LBB55_802:
	v_mov_b32_e32 v1, s1
	v_add_co_u32_e32 v0, vcc, s0, v0
	s_cmp_lt_i32 s14, 11
	v_addc_co_u32_e32 v1, vcc, 0, v1, vcc
	s_cbranch_scc1 .LBB55_831
; %bb.803:
	s_mov_b64 s[8:9], -1
	s_mov_b64 s[6:7], 0
	s_cmp_gt_i32 s14, 25
	s_mov_b64 s[0:1], 0
	s_cbranch_scc0 .LBB55_855
; %bb.804:
	s_cmp_gt_i32 s14, 28
	s_cbranch_scc0 .LBB55_820
; %bb.805:
	s_cmp_gt_i32 s14, 43
	;; [unrolled: 3-line block ×3, first 2 shown]
	s_cbranch_scc0 .LBB55_810
; %bb.807:
	s_cmp_eq_u32 s14, 46
	s_mov_b64 s[0:1], -1
	s_cbranch_scc0 .LBB55_809
; %bb.808:
	s_bfe_u32 s0, s2, 0x10010
	s_add_i32 s0, s2, s0
	s_addk_i32 s0, 0x7fff
	s_lshr_b32 s8, s0, 16
	v_cmp_o_f32_e64 s[0:1], s2, s2
	s_and_b64 s[0:1], s[0:1], exec
	s_cselect_b32 s0, s8, 0x7fc0
	v_mov_b32_e32 v2, s0
	global_store_dword v[0:1], v2, off
	s_mov_b64 s[0:1], 0
.LBB55_809:
	s_mov_b64 s[8:9], 0
.LBB55_810:
	s_and_b64 vcc, exec, s[8:9]
	s_cbranch_vccz .LBB55_815
; %bb.811:
	s_cmp_eq_u32 s14, 44
	s_mov_b64 s[0:1], -1
	s_cbranch_scc0 .LBB55_815
; %bb.812:
	s_bfe_u32 s0, s2, 0x80017
	s_cmpk_eq_i32 s0, 0xff
	v_mov_b32_e32 v2, 0xff
	s_cbranch_scc1 .LBB55_814
; %bb.813:
	s_lshr_b32 s10, s2, 23
	s_bitcmp1_b32 s2, 22
	s_cselect_b64 s[8:9], -1, 0
	s_and_b32 s1, s2, 0x3fffff
	s_or_b32 s0, s0, s1
	s_cmp_lg_u32 s0, 0
	s_cselect_b64 s[0:1], -1, 0
	s_and_b64 s[0:1], s[8:9], s[0:1]
	v_cndmask_b32_e64 v2, 0, 1, s[0:1]
	v_add_u32_e32 v2, s10, v2
.LBB55_814:
	s_mov_b64 s[0:1], 0
	global_store_byte v[0:1], v2, off
.LBB55_815:
	s_mov_b64 s[8:9], 0
.LBB55_816:
	s_and_b64 vcc, exec, s[8:9]
	s_cbranch_vccz .LBB55_819
; %bb.817:
	s_cmp_eq_u32 s14, 29
	s_mov_b64 s[0:1], -1
	s_cbranch_scc0 .LBB55_819
; %bb.818:
	v_trunc_f32_e32 v2, s2
	v_mul_f32_e32 v3, 0x2f800000, v2
	v_floor_f32_e32 v4, v3
	v_fmac_f32_e32 v2, 0xcf800000, v4
	v_cvt_u32_f32_e32 v3, v4
	v_cvt_u32_f32_e32 v2, v2
	s_mov_b64 s[0:1], 0
	global_store_dwordx2 v[0:1], v[2:3], off
.LBB55_819:
	s_mov_b64 s[8:9], 0
.LBB55_820:
	s_and_b64 vcc, exec, s[8:9]
	s_cbranch_vccz .LBB55_854
; %bb.821:
	s_cmp_lt_i32 s14, 27
	s_mov_b64 s[8:9], -1
	s_cbranch_scc1 .LBB55_827
; %bb.822:
	v_cvt_u32_f32_e32 v2, s2
	s_cmp_gt_i32 s14, 27
	s_cbranch_scc0 .LBB55_824
; %bb.823:
	global_store_dword v[0:1], v2, off
	s_mov_b64 s[8:9], 0
.LBB55_824:
	s_andn2_b64 vcc, exec, s[8:9]
	s_cbranch_vccnz .LBB55_826
; %bb.825:
	global_store_short v[0:1], v2, off
.LBB55_826:
	s_mov_b64 s[8:9], 0
.LBB55_827:
	s_andn2_b64 vcc, exec, s[8:9]
	s_cbranch_vccnz .LBB55_854
; %bb.828:
	s_and_b32 s8, s2, 0x7fffffff
	s_cmp_gt_u32 s8, 0x437fffff
	v_mov_b32_e32 v3, 0x80
	s_cbranch_scc1 .LBB55_853
; %bb.829:
	s_cmp_gt_u32 s8, 0x3bffffff
	s_cbranch_scc0 .LBB55_848
; %bb.830:
	s_bfe_u32 s8, s2, 0x10014
	s_add_i32 s8, s2, s8
	s_add_i32 s8, s8, 0x487ffff
	s_lshr_b32 s12, s8, 20
	s_mov_b64 s[10:11], 0
	s_mov_b64 s[8:9], -1
	s_branch .LBB55_849
.LBB55_831:
	s_mov_b64 s[6:7], 0
	s_mov_b64 s[0:1], -1
	s_branch .LBB55_944
.LBB55_832:
	s_trap 2
	s_or_b64 s[4:5], s[4:5], exec
	s_cbranch_execz .LBB55_732
	s_branch .LBB55_733
.LBB55_833:
	s_mov_b64 s[12:13], -1
	s_mov_b64 s[10:11], 0
                                        ; implicit-def: $sgpr15
.LBB55_834:
	s_andn2_b64 vcc, exec, s[12:13]
	v_mov_b32_e32 v3, s15
	s_cbranch_vccnz .LBB55_836
; %bb.835:
	v_mov_b32_e32 v3, 0x46000000
	v_add_f32_e64 v3, |s2|, v3
	v_and_b32_e32 v3, 0xff, v3
	v_cmp_ne_u32_e64 s[10:11], 0, v3
.LBB55_836:
	s_andn2_b64 vcc, exec, s[10:11]
	v_mov_b32_e32 v4, 0
	s_cbranch_vccnz .LBB55_838
; %bb.837:
	s_lshr_b32 s10, s2, 24
	s_and_b32 s10, s10, 0x80
	v_or_b32_e32 v4, s10, v3
.LBB55_838:
	global_store_byte v[1:2], v4, off
.LBB55_839:
	s_mov_b64 s[10:11], -1
.LBB55_840:
	s_mov_b64 s[12:13], 0
.LBB55_841:
	s_and_b64 vcc, exec, s[12:13]
	s_cbranch_vccz .LBB55_901
; %bb.842:
	s_cmp_gt_i32 s14, 22
	s_mov_b64 s[8:9], -1
	s_cbranch_scc0 .LBB55_894
; %bb.843:
	s_cmp_lt_i32 s14, 24
	s_cbranch_scc1 .LBB55_881
; %bb.844:
	s_cmp_gt_i32 s14, 24
	s_cbranch_scc0 .LBB55_868
; %bb.845:
	s_and_b32 s8, s2, 0x7fffffff
	s_cmp_gt_u32 s8, 0x477fffff
	v_mov_b32_e32 v4, 0x80
	s_cbranch_scc1 .LBB55_867
; %bb.846:
	s_cmp_gt_u32 s8, 0x37ffffff
	s_cbranch_scc0 .LBB55_862
; %bb.847:
	s_bfe_u32 s8, s2, 0x10015
	s_add_i32 s8, s2, s8
	s_add_i32 s8, s8, 0x88fffff
	s_lshr_b32 s12, s8, 21
	s_mov_b64 s[10:11], 0
	s_mov_b64 s[8:9], -1
	s_branch .LBB55_863
.LBB55_848:
	s_mov_b64 s[10:11], -1
	s_mov_b64 s[8:9], 0
                                        ; implicit-def: $sgpr12
.LBB55_849:
	s_andn2_b64 vcc, exec, s[10:11]
	v_mov_b32_e32 v2, s12
	s_cbranch_vccnz .LBB55_851
; %bb.850:
	v_mov_b32_e32 v2, 0x46000000
	v_add_f32_e64 v2, |s2|, v2
	v_and_b32_e32 v2, 0xff, v2
	v_cmp_ne_u32_e64 s[8:9], 0, v2
.LBB55_851:
	s_andn2_b64 vcc, exec, s[8:9]
	v_mov_b32_e32 v3, 0
	s_cbranch_vccnz .LBB55_853
; %bb.852:
	s_lshr_b32 s8, s2, 24
	s_and_b32 s8, s8, 0x80
	v_or_b32_e32 v3, s8, v2
.LBB55_853:
	global_store_byte v[0:1], v3, off
.LBB55_854:
	s_mov_b64 s[8:9], 0
.LBB55_855:
	s_and_b64 vcc, exec, s[8:9]
	s_cbranch_vccz .LBB55_1028
; %bb.856:
	s_cmp_gt_i32 s14, 22
	s_mov_b64 s[6:7], -1
	s_cbranch_scc0 .LBB55_1021
; %bb.857:
	s_cmp_lt_i32 s14, 24
	s_cbranch_scc1 .LBB55_1008
; %bb.858:
	s_cmp_gt_i32 s14, 24
	s_cbranch_scc0 .LBB55_995
; %bb.859:
	s_and_b32 s6, s2, 0x7fffffff
	s_cmp_gt_u32 s6, 0x477fffff
	v_mov_b32_e32 v3, 0x80
	s_cbranch_scc1 .LBB55_994
; %bb.860:
	s_cmp_gt_u32 s6, 0x37ffffff
	s_cbranch_scc0 .LBB55_989
; %bb.861:
	s_bfe_u32 s6, s2, 0x10015
	s_add_i32 s6, s2, s6
	s_add_i32 s6, s6, 0x88fffff
	s_lshr_b32 s10, s6, 21
	s_mov_b64 s[8:9], 0
	s_mov_b64 s[6:7], -1
	s_branch .LBB55_990
.LBB55_862:
	s_mov_b64 s[10:11], -1
	s_mov_b64 s[8:9], 0
                                        ; implicit-def: $sgpr12
.LBB55_863:
	s_andn2_b64 vcc, exec, s[10:11]
	v_mov_b32_e32 v3, s12
	s_cbranch_vccnz .LBB55_865
; %bb.864:
	v_mov_b32_e32 v3, 0x42800000
	v_add_f32_e64 v3, |s2|, v3
	v_and_b32_e32 v3, 0xff, v3
	v_cmp_ne_u32_e64 s[8:9], 0, v3
.LBB55_865:
	s_andn2_b64 vcc, exec, s[8:9]
	v_mov_b32_e32 v4, 0
	s_cbranch_vccnz .LBB55_867
; %bb.866:
	s_lshr_b32 s8, s2, 24
	s_and_b32 s8, s8, 0x80
	v_or_b32_e32 v4, s8, v3
.LBB55_867:
	s_mov_b64 s[8:9], 0
	global_store_byte v[1:2], v4, off
.LBB55_868:
	s_and_b64 vcc, exec, s[8:9]
	s_cbranch_vccz .LBB55_880
; %bb.869:
	s_and_b32 s10, s2, 0x7fffffff
	s_cmp_lt_u32 s10, 0x43f00000
	s_cbranch_scc0 .LBB55_872
; %bb.870:
	s_cmp_gt_u32 s10, 0x3c7fffff
	s_cbranch_scc0 .LBB55_873
; %bb.871:
	s_bfe_u32 s8, s2, 0x10014
	s_add_i32 s8, s2, s8
	s_add_i32 s8, s8, 0x407ffff
	s_lshr_b32 s9, s8, 20
	s_and_b32 s8, s8, 0xff00000
	s_cmp_lg_u32 s8, 0x7f00000
	s_cselect_b32 s11, s9, 0x7e
	s_mov_b64 s[8:9], 0
	s_branch .LBB55_874
.LBB55_872:
	s_mov_b64 s[8:9], -1
                                        ; implicit-def: $vgpr3
	s_branch .LBB55_877
.LBB55_873:
	s_mov_b64 s[8:9], -1
                                        ; implicit-def: $sgpr11
.LBB55_874:
	s_andn2_b64 vcc, exec, s[8:9]
	v_mov_b32_e32 v3, s11
	s_cbranch_vccnz .LBB55_876
; %bb.875:
	v_mov_b32_e32 v3, 0x46800000
	v_add_f32_e64 v3, |s2|, v3
.LBB55_876:
	s_mov_b64 s[8:9], 0
.LBB55_877:
	s_andn2_b64 vcc, exec, s[8:9]
	s_cbranch_vccnz .LBB55_879
; %bb.878:
	s_cmp_gt_u32 s10, 0x7f800000
	s_movk_i32 s8, 0x7f
	s_cselect_b32 s8, s8, 0x7e
	v_mov_b32_e32 v3, s8
.LBB55_879:
	s_lshr_b32 s8, s2, 24
	s_and_b32 s8, s8, 0x80
	v_or_b32_e32 v3, s8, v3
	global_store_byte v[1:2], v3, off
.LBB55_880:
	s_mov_b64 s[8:9], 0
.LBB55_881:
	s_andn2_b64 vcc, exec, s[8:9]
	s_cbranch_vccnz .LBB55_893
; %bb.882:
	s_and_b32 s10, s2, 0x7fffffff
	s_cmp_lt_u32 s10, 0x47800000
	s_cbranch_scc0 .LBB55_885
; %bb.883:
	s_cmp_gt_u32 s10, 0x387fffff
	s_cbranch_scc0 .LBB55_886
; %bb.884:
	s_bfe_u32 s8, s2, 0x10015
	s_add_i32 s8, s2, s8
	s_add_i32 s8, s8, 0x80fffff
	s_lshr_b32 s11, s8, 21
	s_mov_b64 s[8:9], 0
	s_branch .LBB55_887
.LBB55_885:
	s_mov_b64 s[8:9], -1
                                        ; implicit-def: $vgpr3
	s_branch .LBB55_890
.LBB55_886:
	s_mov_b64 s[8:9], -1
                                        ; implicit-def: $sgpr11
.LBB55_887:
	s_andn2_b64 vcc, exec, s[8:9]
	v_mov_b32_e32 v3, s11
	s_cbranch_vccnz .LBB55_889
; %bb.888:
	v_mov_b32_e32 v3, 0x43000000
	v_add_f32_e64 v3, |s2|, v3
.LBB55_889:
	s_mov_b64 s[8:9], 0
.LBB55_890:
	s_andn2_b64 vcc, exec, s[8:9]
	s_cbranch_vccnz .LBB55_892
; %bb.891:
	s_cmp_gt_u32 s10, 0x7f800000
	s_movk_i32 s8, 0x7f
	s_cselect_b32 s8, s8, 0x7c
	v_mov_b32_e32 v3, s8
.LBB55_892:
	s_lshr_b32 s8, s2, 24
	s_and_b32 s8, s8, 0x80
	v_or_b32_e32 v3, s8, v3
	global_store_byte v[1:2], v3, off
.LBB55_893:
	s_mov_b64 s[8:9], 0
	s_mov_b64 s[10:11], -1
.LBB55_894:
	s_andn2_b64 vcc, exec, s[8:9]
	s_mov_b64 s[8:9], 0
	s_cbranch_vccnz .LBB55_901
; %bb.895:
	s_cmp_gt_i32 s14, 14
	s_mov_b64 s[12:13], -1
	s_cbranch_scc0 .LBB55_899
; %bb.896:
	s_cmp_eq_u32 s14, 15
	s_mov_b64 s[6:7], -1
	s_cbranch_scc0 .LBB55_898
; %bb.897:
	s_bfe_u32 s6, s2, 0x10010
	s_add_i32 s6, s2, s6
	s_addk_i32 s6, 0x7fff
	s_lshr_b32 s8, s6, 16
	v_cmp_o_f32_e64 s[6:7], s2, s2
	s_and_b64 s[6:7], s[6:7], exec
	s_cselect_b32 s6, s8, 0x7fc0
	v_mov_b32_e32 v3, s6
	global_store_short v[1:2], v3, off
	s_mov_b64 s[6:7], 0
	s_mov_b64 s[10:11], -1
.LBB55_898:
	s_mov_b64 s[12:13], 0
.LBB55_899:
	s_mov_b64 s[8:9], 0
	s_and_b64 vcc, exec, s[12:13]
	s_cbranch_vccz .LBB55_901
; %bb.900:
	s_cmp_lg_u32 s14, 11
	s_mov_b64 s[8:9], -1
	s_cselect_b64 s[6:7], -1, 0
.LBB55_901:
	s_and_b64 vcc, exec, s[6:7]
	s_cbranch_vccnz .LBB55_988
; %bb.902:
	s_andn2_b64 vcc, exec, s[8:9]
	s_cbranch_vccnz .LBB55_904
.LBB55_903:
	v_cmp_neq_f32_e64 s[6:7], s2, 0
	v_cndmask_b32_e64 v3, 0, 1, s[6:7]
	s_mov_b64 s[10:11], -1
	global_store_byte v[1:2], v3, off
.LBB55_904:
	s_branch .LBB55_801
.LBB55_905:
	s_cmp_lt_i32 s14, 5
	s_mov_b64 s[6:7], -1
	s_cbranch_scc1 .LBB55_926
; %bb.906:
	s_cmp_lt_i32 s14, 8
	s_cbranch_scc1 .LBB55_916
; %bb.907:
	s_cmp_lt_i32 s14, 9
	s_cbranch_scc1 .LBB55_913
; %bb.908:
	s_cmp_gt_i32 s14, 9
	s_cbranch_scc0 .LBB55_910
; %bb.909:
	v_cvt_f64_f32_e32 v[3:4], s2
	v_mov_b32_e32 v5, 0
	v_mov_b32_e32 v6, v5
	s_mov_b64 s[6:7], 0
	global_store_dwordx4 v[1:2], v[3:6], off
.LBB55_910:
	s_andn2_b64 vcc, exec, s[6:7]
	s_cbranch_vccnz .LBB55_912
; %bb.911:
	v_mov_b32_e32 v3, s2
	v_mov_b32_e32 v4, 0
	global_store_dwordx2 v[1:2], v[3:4], off
.LBB55_912:
	s_mov_b64 s[6:7], 0
.LBB55_913:
	s_andn2_b64 vcc, exec, s[6:7]
	s_cbranch_vccnz .LBB55_915
; %bb.914:
	v_cvt_f16_f32_e32 v3, s2
	global_store_dword v[1:2], v3, off
.LBB55_915:
	s_mov_b64 s[6:7], 0
.LBB55_916:
	s_andn2_b64 vcc, exec, s[6:7]
	s_cbranch_vccnz .LBB55_925
; %bb.917:
	s_cmp_lt_i32 s14, 6
	s_mov_b64 s[6:7], -1
	s_cbranch_scc1 .LBB55_923
; %bb.918:
	s_cmp_gt_i32 s14, 6
	s_cbranch_scc0 .LBB55_920
; %bb.919:
	v_cvt_f64_f32_e32 v[3:4], s2
	s_mov_b64 s[6:7], 0
	global_store_dwordx2 v[1:2], v[3:4], off
.LBB55_920:
	s_andn2_b64 vcc, exec, s[6:7]
	s_cbranch_vccnz .LBB55_922
; %bb.921:
	v_mov_b32_e32 v3, s2
	global_store_dword v[1:2], v3, off
.LBB55_922:
	s_mov_b64 s[6:7], 0
.LBB55_923:
	s_andn2_b64 vcc, exec, s[6:7]
	s_cbranch_vccnz .LBB55_925
; %bb.924:
	v_cvt_f16_f32_e32 v3, s2
	global_store_short v[1:2], v3, off
.LBB55_925:
	s_mov_b64 s[6:7], 0
.LBB55_926:
	s_andn2_b64 vcc, exec, s[6:7]
	s_cbranch_vccnz .LBB55_942
; %bb.927:
	s_cmp_lt_i32 s14, 2
	s_mov_b64 s[6:7], -1
	s_cbranch_scc1 .LBB55_937
; %bb.928:
	s_cmp_lt_i32 s14, 3
	s_cbranch_scc1 .LBB55_934
; %bb.929:
	s_cmp_gt_i32 s14, 3
	s_cbranch_scc0 .LBB55_931
; %bb.930:
	v_trunc_f32_e32 v3, s2
	s_mov_b32 s6, 0x2f800000
	v_mul_f32_e64 v4, |v3|, s6
	v_floor_f32_e32 v4, v4
	s_mov_b32 s6, 0xcf800000
	v_fma_f32 v5, v4, s6, |v3|
	v_cvt_u32_f32_e32 v5, v5
	v_cvt_u32_f32_e32 v4, v4
	v_ashrrev_i32_e32 v6, 31, v3
	s_mov_b64 s[6:7], 0
	v_xor_b32_e32 v3, v5, v6
	v_xor_b32_e32 v4, v4, v6
	v_sub_co_u32_e32 v3, vcc, v3, v6
	v_subb_co_u32_e32 v4, vcc, v4, v6, vcc
	global_store_dwordx2 v[1:2], v[3:4], off
.LBB55_931:
	s_andn2_b64 vcc, exec, s[6:7]
	s_cbranch_vccnz .LBB55_933
; %bb.932:
	v_cvt_i32_f32_e32 v3, s2
	global_store_dword v[1:2], v3, off
.LBB55_933:
	s_mov_b64 s[6:7], 0
.LBB55_934:
	s_andn2_b64 vcc, exec, s[6:7]
	s_cbranch_vccnz .LBB55_936
; %bb.935:
	v_cvt_i32_f32_e32 v3, s2
	global_store_short v[1:2], v3, off
.LBB55_936:
	s_mov_b64 s[6:7], 0
.LBB55_937:
	s_andn2_b64 vcc, exec, s[6:7]
	s_cbranch_vccnz .LBB55_942
; %bb.938:
	s_cmp_gt_i32 s14, 0
	s_mov_b64 s[6:7], -1
	s_cbranch_scc0 .LBB55_940
; %bb.939:
	v_cvt_i32_f32_e32 v3, s2
	s_mov_b64 s[6:7], 0
	global_store_byte v[1:2], v3, off
.LBB55_940:
	s_andn2_b64 vcc, exec, s[6:7]
	s_cbranch_vccnz .LBB55_942
; %bb.941:
	v_trunc_f32_e32 v3, s2
	s_mov_b32 s6, 0x2f800000
	v_mul_f32_e64 v4, |v3|, s6
	v_floor_f32_e32 v4, v4
	s_mov_b32 s6, 0xcf800000
	v_fma_f32 v4, v4, s6, |v3|
	v_cvt_u32_f32_e32 v4, v4
	v_ashrrev_i32_e32 v3, 31, v3
	v_xor_b32_e32 v4, v4, v3
	v_sub_u32_e32 v3, v4, v3
	global_store_byte v[1:2], v3, off
.LBB55_942:
	s_branch .LBB55_802
.LBB55_943:
	s_mov_b64 s[0:1], 0
	s_mov_b64 s[6:7], 0
                                        ; implicit-def: $sgpr3
                                        ; implicit-def: $vgpr0_vgpr1
.LBB55_944:
	s_and_b64 s[30:31], s[6:7], exec
	s_andn2_b64 s[6:7], s[20:21], exec
	s_and_b64 s[4:5], s[4:5], exec
	s_and_b64 s[0:1], s[0:1], exec
	s_or_b64 s[20:21], s[6:7], s[4:5]
.LBB55_945:
	s_or_b64 exec, exec, s[22:23]
	s_and_saveexec_b64 s[4:5], s[20:21]
	s_cbranch_execz .LBB55_948
; %bb.946:
	; divergent unreachable
	s_or_b64 exec, exec, s[4:5]
	s_and_saveexec_b64 s[4:5], s[30:31]
	s_xor_b64 s[4:5], exec, s[4:5]
	s_cbranch_execnz .LBB55_949
.LBB55_947:
	s_or_b64 exec, exec, s[4:5]
	s_and_saveexec_b64 s[4:5], s[0:1]
	s_cbranch_execnz .LBB55_950
	s_branch .LBB55_987
.LBB55_948:
	s_or_b64 exec, exec, s[4:5]
	s_and_saveexec_b64 s[4:5], s[30:31]
	s_xor_b64 s[4:5], exec, s[4:5]
	s_cbranch_execz .LBB55_947
.LBB55_949:
	v_cmp_neq_f32_e64 s[6:7], s2, 0
	v_cndmask_b32_e64 v2, 0, 1, s[6:7]
	global_store_byte v[0:1], v2, off
	s_or_b64 exec, exec, s[4:5]
	s_and_saveexec_b64 s[4:5], s[0:1]
	s_cbranch_execz .LBB55_987
.LBB55_950:
	s_sext_i32_i16 s4, s3
	s_cmp_lt_i32 s4, 5
	s_mov_b64 s[0:1], -1
	s_cbranch_scc1 .LBB55_971
; %bb.951:
	s_cmp_lt_i32 s4, 8
	s_cbranch_scc1 .LBB55_961
; %bb.952:
	s_cmp_lt_i32 s4, 9
	s_cbranch_scc1 .LBB55_958
; %bb.953:
	s_cmp_gt_i32 s4, 9
	s_cbranch_scc0 .LBB55_955
; %bb.954:
	v_cvt_f64_f32_e32 v[2:3], s2
	v_mov_b32_e32 v4, 0
	v_mov_b32_e32 v5, v4
	s_mov_b64 s[0:1], 0
	global_store_dwordx4 v[0:1], v[2:5], off
.LBB55_955:
	s_andn2_b64 vcc, exec, s[0:1]
	s_cbranch_vccnz .LBB55_957
; %bb.956:
	v_mov_b32_e32 v2, s2
	v_mov_b32_e32 v3, 0
	global_store_dwordx2 v[0:1], v[2:3], off
.LBB55_957:
	s_mov_b64 s[0:1], 0
.LBB55_958:
	s_andn2_b64 vcc, exec, s[0:1]
	s_cbranch_vccnz .LBB55_960
; %bb.959:
	v_cvt_f16_f32_e32 v2, s2
	global_store_dword v[0:1], v2, off
.LBB55_960:
	s_mov_b64 s[0:1], 0
.LBB55_961:
	s_andn2_b64 vcc, exec, s[0:1]
	s_cbranch_vccnz .LBB55_970
; %bb.962:
	s_sext_i32_i16 s4, s3
	s_cmp_lt_i32 s4, 6
	s_mov_b64 s[0:1], -1
	s_cbranch_scc1 .LBB55_968
; %bb.963:
	s_cmp_gt_i32 s4, 6
	s_cbranch_scc0 .LBB55_965
; %bb.964:
	v_cvt_f64_f32_e32 v[2:3], s2
	s_mov_b64 s[0:1], 0
	global_store_dwordx2 v[0:1], v[2:3], off
.LBB55_965:
	s_andn2_b64 vcc, exec, s[0:1]
	s_cbranch_vccnz .LBB55_967
; %bb.966:
	v_mov_b32_e32 v2, s2
	global_store_dword v[0:1], v2, off
.LBB55_967:
	s_mov_b64 s[0:1], 0
.LBB55_968:
	s_andn2_b64 vcc, exec, s[0:1]
	s_cbranch_vccnz .LBB55_970
; %bb.969:
	v_cvt_f16_f32_e32 v2, s2
	global_store_short v[0:1], v2, off
.LBB55_970:
	s_mov_b64 s[0:1], 0
.LBB55_971:
	s_andn2_b64 vcc, exec, s[0:1]
	s_cbranch_vccnz .LBB55_987
; %bb.972:
	s_sext_i32_i16 s4, s3
	s_cmp_lt_i32 s4, 2
	s_mov_b64 s[0:1], -1
	s_cbranch_scc1 .LBB55_982
; %bb.973:
	s_cmp_lt_i32 s4, 3
	s_cbranch_scc1 .LBB55_979
; %bb.974:
	s_cmp_gt_i32 s4, 3
	s_cbranch_scc0 .LBB55_976
; %bb.975:
	v_trunc_f32_e32 v2, s2
	s_mov_b32 s0, 0x2f800000
	v_mul_f32_e64 v3, |v2|, s0
	v_floor_f32_e32 v3, v3
	s_mov_b32 s0, 0xcf800000
	v_fma_f32 v4, v3, s0, |v2|
	v_cvt_u32_f32_e32 v4, v4
	v_cvt_u32_f32_e32 v3, v3
	v_ashrrev_i32_e32 v5, 31, v2
	s_mov_b64 s[0:1], 0
	v_xor_b32_e32 v2, v4, v5
	v_xor_b32_e32 v3, v3, v5
	v_sub_co_u32_e32 v2, vcc, v2, v5
	v_subb_co_u32_e32 v3, vcc, v3, v5, vcc
	global_store_dwordx2 v[0:1], v[2:3], off
.LBB55_976:
	s_andn2_b64 vcc, exec, s[0:1]
	s_cbranch_vccnz .LBB55_978
; %bb.977:
	v_cvt_i32_f32_e32 v2, s2
	global_store_dword v[0:1], v2, off
.LBB55_978:
	s_mov_b64 s[0:1], 0
.LBB55_979:
	s_andn2_b64 vcc, exec, s[0:1]
	s_cbranch_vccnz .LBB55_981
; %bb.980:
	v_cvt_i32_f32_e32 v2, s2
	global_store_short v[0:1], v2, off
.LBB55_981:
	s_mov_b64 s[0:1], 0
.LBB55_982:
	s_andn2_b64 vcc, exec, s[0:1]
	s_cbranch_vccnz .LBB55_987
; %bb.983:
	s_sext_i32_i16 s0, s3
	s_cmp_gt_i32 s0, 0
	s_mov_b64 s[0:1], -1
	s_cbranch_scc0 .LBB55_985
; %bb.984:
	v_cvt_i32_f32_e32 v2, s2
	s_mov_b64 s[0:1], 0
	global_store_byte v[0:1], v2, off
.LBB55_985:
	s_andn2_b64 vcc, exec, s[0:1]
	s_cbranch_vccnz .LBB55_987
; %bb.986:
	v_trunc_f32_e32 v2, s2
	s_mov_b32 s0, 0x2f800000
	v_mul_f32_e64 v3, |v2|, s0
	v_floor_f32_e32 v3, v3
	s_mov_b32 s0, 0xcf800000
	v_fma_f32 v3, v3, s0, |v2|
	v_cvt_u32_f32_e32 v3, v3
	v_ashrrev_i32_e32 v2, 31, v2
	v_xor_b32_e32 v3, v3, v2
	v_sub_u32_e32 v2, v3, v2
	global_store_byte v[0:1], v2, off
	s_endpgm
.LBB55_987:
	s_endpgm
.LBB55_988:
	s_trap 2
	s_or_b64 s[4:5], s[4:5], exec
	s_cbranch_execz .LBB55_903
	s_branch .LBB55_904
.LBB55_989:
	s_mov_b64 s[8:9], -1
	s_mov_b64 s[6:7], 0
                                        ; implicit-def: $sgpr10
.LBB55_990:
	s_andn2_b64 vcc, exec, s[8:9]
	v_mov_b32_e32 v2, s10
	s_cbranch_vccnz .LBB55_992
; %bb.991:
	v_mov_b32_e32 v2, 0x42800000
	v_add_f32_e64 v2, |s2|, v2
	v_and_b32_e32 v2, 0xff, v2
	v_cmp_ne_u32_e64 s[6:7], 0, v2
.LBB55_992:
	s_andn2_b64 vcc, exec, s[6:7]
	v_mov_b32_e32 v3, 0
	s_cbranch_vccnz .LBB55_994
; %bb.993:
	s_lshr_b32 s6, s2, 24
	s_and_b32 s6, s6, 0x80
	v_or_b32_e32 v3, s6, v2
.LBB55_994:
	s_mov_b64 s[6:7], 0
	global_store_byte v[0:1], v3, off
.LBB55_995:
	s_and_b64 vcc, exec, s[6:7]
	s_cbranch_vccz .LBB55_1007
; %bb.996:
	s_and_b32 s8, s2, 0x7fffffff
	s_cmp_lt_u32 s8, 0x43f00000
	s_cbranch_scc0 .LBB55_999
; %bb.997:
	s_cmp_gt_u32 s8, 0x3c7fffff
	s_cbranch_scc0 .LBB55_1000
; %bb.998:
	s_bfe_u32 s6, s2, 0x10014
	s_add_i32 s6, s2, s6
	s_add_i32 s6, s6, 0x407ffff
	s_lshr_b32 s7, s6, 20
	s_and_b32 s6, s6, 0xff00000
	s_cmp_lg_u32 s6, 0x7f00000
	s_cselect_b32 s9, s7, 0x7e
	s_mov_b64 s[6:7], 0
	s_branch .LBB55_1001
.LBB55_999:
	s_mov_b64 s[6:7], -1
                                        ; implicit-def: $vgpr2
	s_branch .LBB55_1004
.LBB55_1000:
	s_mov_b64 s[6:7], -1
                                        ; implicit-def: $sgpr9
.LBB55_1001:
	s_andn2_b64 vcc, exec, s[6:7]
	v_mov_b32_e32 v2, s9
	s_cbranch_vccnz .LBB55_1003
; %bb.1002:
	v_mov_b32_e32 v2, 0x46800000
	v_add_f32_e64 v2, |s2|, v2
.LBB55_1003:
	s_mov_b64 s[6:7], 0
.LBB55_1004:
	s_andn2_b64 vcc, exec, s[6:7]
	s_cbranch_vccnz .LBB55_1006
; %bb.1005:
	s_cmp_gt_u32 s8, 0x7f800000
	s_movk_i32 s6, 0x7f
	s_cselect_b32 s6, s6, 0x7e
	v_mov_b32_e32 v2, s6
.LBB55_1006:
	s_lshr_b32 s6, s2, 24
	s_and_b32 s6, s6, 0x80
	v_or_b32_e32 v2, s6, v2
	global_store_byte v[0:1], v2, off
.LBB55_1007:
	s_mov_b64 s[6:7], 0
.LBB55_1008:
	s_andn2_b64 vcc, exec, s[6:7]
	s_cbranch_vccnz .LBB55_1020
; %bb.1009:
	s_and_b32 s8, s2, 0x7fffffff
	s_cmp_lt_u32 s8, 0x47800000
	s_cbranch_scc0 .LBB55_1012
; %bb.1010:
	s_cmp_gt_u32 s8, 0x387fffff
	s_cbranch_scc0 .LBB55_1013
; %bb.1011:
	s_bfe_u32 s6, s2, 0x10015
	s_add_i32 s6, s2, s6
	s_add_i32 s6, s6, 0x80fffff
	s_lshr_b32 s9, s6, 21
	s_mov_b64 s[6:7], 0
	s_branch .LBB55_1014
.LBB55_1012:
	s_mov_b64 s[6:7], -1
                                        ; implicit-def: $vgpr2
	s_branch .LBB55_1017
.LBB55_1013:
	s_mov_b64 s[6:7], -1
                                        ; implicit-def: $sgpr9
.LBB55_1014:
	s_andn2_b64 vcc, exec, s[6:7]
	v_mov_b32_e32 v2, s9
	s_cbranch_vccnz .LBB55_1016
; %bb.1015:
	v_mov_b32_e32 v2, 0x43000000
	v_add_f32_e64 v2, |s2|, v2
.LBB55_1016:
	s_mov_b64 s[6:7], 0
.LBB55_1017:
	s_andn2_b64 vcc, exec, s[6:7]
	s_cbranch_vccnz .LBB55_1019
; %bb.1018:
	s_cmp_gt_u32 s8, 0x7f800000
	s_movk_i32 s6, 0x7f
	s_cselect_b32 s6, s6, 0x7c
	v_mov_b32_e32 v2, s6
.LBB55_1019:
	s_lshr_b32 s6, s2, 24
	s_and_b32 s6, s6, 0x80
	v_or_b32_e32 v2, s6, v2
	global_store_byte v[0:1], v2, off
.LBB55_1020:
	s_mov_b64 s[6:7], 0
.LBB55_1021:
	s_andn2_b64 vcc, exec, s[6:7]
	s_mov_b64 s[6:7], 0
	s_cbranch_vccnz .LBB55_1028
; %bb.1022:
	s_cmp_gt_i32 s14, 14
	s_mov_b64 s[8:9], -1
	s_cbranch_scc0 .LBB55_1026
; %bb.1023:
	s_cmp_eq_u32 s14, 15
	s_mov_b64 s[0:1], -1
	s_cbranch_scc0 .LBB55_1025
; %bb.1024:
	s_bfe_u32 s0, s2, 0x10010
	s_add_i32 s0, s2, s0
	s_addk_i32 s0, 0x7fff
	s_lshr_b32 s6, s0, 16
	v_cmp_o_f32_e64 s[0:1], s2, s2
	s_and_b64 s[0:1], s[0:1], exec
	s_cselect_b32 s0, s6, 0x7fc0
	v_mov_b32_e32 v2, s0
	global_store_short v[0:1], v2, off
	s_mov_b64 s[0:1], 0
.LBB55_1025:
	s_mov_b64 s[8:9], 0
.LBB55_1026:
	s_mov_b64 s[6:7], 0
	s_and_b64 vcc, exec, s[8:9]
	s_cbranch_vccz .LBB55_1028
; %bb.1027:
	s_cmp_lg_u32 s14, 11
	s_mov_b64 s[6:7], -1
	s_cselect_b64 s[0:1], -1, 0
.LBB55_1028:
	s_and_b64 vcc, exec, s[0:1]
	s_cbranch_vccnz .LBB55_1030
.LBB55_1029:
	s_mov_b64 s[0:1], 0
	s_branch .LBB55_944
.LBB55_1030:
	s_mov_b64 s[6:7], 0
	s_or_b64 s[4:5], s[4:5], exec
	s_trap 2
	s_branch .LBB55_1029
	.section	.rodata,"a",@progbits
	.p2align	6, 0x0
	.amdhsa_kernel _ZN2at6native32elementwise_kernel_manual_unrollILi128ELi4EZNS0_15gpu_kernel_implINS0_11FillFunctorIfEEEEvRNS_18TensorIteratorBaseERKT_EUlibE0_EEviT1_
		.amdhsa_group_segment_fixed_size 0
		.amdhsa_private_segment_fixed_size 0
		.amdhsa_kernarg_size 288
		.amdhsa_user_sgpr_count 6
		.amdhsa_user_sgpr_private_segment_buffer 1
		.amdhsa_user_sgpr_dispatch_ptr 0
		.amdhsa_user_sgpr_queue_ptr 0
		.amdhsa_user_sgpr_kernarg_segment_ptr 1
		.amdhsa_user_sgpr_dispatch_id 0
		.amdhsa_user_sgpr_flat_scratch_init 0
		.amdhsa_user_sgpr_private_segment_size 0
		.amdhsa_uses_dynamic_stack 0
		.amdhsa_system_sgpr_private_segment_wavefront_offset 0
		.amdhsa_system_sgpr_workgroup_id_x 1
		.amdhsa_system_sgpr_workgroup_id_y 0
		.amdhsa_system_sgpr_workgroup_id_z 0
		.amdhsa_system_sgpr_workgroup_info 0
		.amdhsa_system_vgpr_workitem_id 0
		.amdhsa_next_free_vgpr 20
		.amdhsa_next_free_sgpr 96
		.amdhsa_reserve_vcc 1
		.amdhsa_reserve_flat_scratch 0
		.amdhsa_float_round_mode_32 0
		.amdhsa_float_round_mode_16_64 0
		.amdhsa_float_denorm_mode_32 3
		.amdhsa_float_denorm_mode_16_64 3
		.amdhsa_dx10_clamp 1
		.amdhsa_ieee_mode 1
		.amdhsa_fp16_overflow 0
		.amdhsa_exception_fp_ieee_invalid_op 0
		.amdhsa_exception_fp_denorm_src 0
		.amdhsa_exception_fp_ieee_div_zero 0
		.amdhsa_exception_fp_ieee_overflow 0
		.amdhsa_exception_fp_ieee_underflow 0
		.amdhsa_exception_fp_ieee_inexact 0
		.amdhsa_exception_int_div_zero 0
	.end_amdhsa_kernel
	.section	.text._ZN2at6native32elementwise_kernel_manual_unrollILi128ELi4EZNS0_15gpu_kernel_implINS0_11FillFunctorIfEEEEvRNS_18TensorIteratorBaseERKT_EUlibE0_EEviT1_,"axG",@progbits,_ZN2at6native32elementwise_kernel_manual_unrollILi128ELi4EZNS0_15gpu_kernel_implINS0_11FillFunctorIfEEEEvRNS_18TensorIteratorBaseERKT_EUlibE0_EEviT1_,comdat
.Lfunc_end55:
	.size	_ZN2at6native32elementwise_kernel_manual_unrollILi128ELi4EZNS0_15gpu_kernel_implINS0_11FillFunctorIfEEEEvRNS_18TensorIteratorBaseERKT_EUlibE0_EEviT1_, .Lfunc_end55-_ZN2at6native32elementwise_kernel_manual_unrollILi128ELi4EZNS0_15gpu_kernel_implINS0_11FillFunctorIfEEEEvRNS_18TensorIteratorBaseERKT_EUlibE0_EEviT1_
                                        ; -- End function
	.set _ZN2at6native32elementwise_kernel_manual_unrollILi128ELi4EZNS0_15gpu_kernel_implINS0_11FillFunctorIfEEEEvRNS_18TensorIteratorBaseERKT_EUlibE0_EEviT1_.num_vgpr, 20
	.set _ZN2at6native32elementwise_kernel_manual_unrollILi128ELi4EZNS0_15gpu_kernel_implINS0_11FillFunctorIfEEEEvRNS_18TensorIteratorBaseERKT_EUlibE0_EEviT1_.num_agpr, 0
	.set _ZN2at6native32elementwise_kernel_manual_unrollILi128ELi4EZNS0_15gpu_kernel_implINS0_11FillFunctorIfEEEEvRNS_18TensorIteratorBaseERKT_EUlibE0_EEviT1_.numbered_sgpr, 96
	.set _ZN2at6native32elementwise_kernel_manual_unrollILi128ELi4EZNS0_15gpu_kernel_implINS0_11FillFunctorIfEEEEvRNS_18TensorIteratorBaseERKT_EUlibE0_EEviT1_.num_named_barrier, 0
	.set _ZN2at6native32elementwise_kernel_manual_unrollILi128ELi4EZNS0_15gpu_kernel_implINS0_11FillFunctorIfEEEEvRNS_18TensorIteratorBaseERKT_EUlibE0_EEviT1_.private_seg_size, 0
	.set _ZN2at6native32elementwise_kernel_manual_unrollILi128ELi4EZNS0_15gpu_kernel_implINS0_11FillFunctorIfEEEEvRNS_18TensorIteratorBaseERKT_EUlibE0_EEviT1_.uses_vcc, 1
	.set _ZN2at6native32elementwise_kernel_manual_unrollILi128ELi4EZNS0_15gpu_kernel_implINS0_11FillFunctorIfEEEEvRNS_18TensorIteratorBaseERKT_EUlibE0_EEviT1_.uses_flat_scratch, 0
	.set _ZN2at6native32elementwise_kernel_manual_unrollILi128ELi4EZNS0_15gpu_kernel_implINS0_11FillFunctorIfEEEEvRNS_18TensorIteratorBaseERKT_EUlibE0_EEviT1_.has_dyn_sized_stack, 0
	.set _ZN2at6native32elementwise_kernel_manual_unrollILi128ELi4EZNS0_15gpu_kernel_implINS0_11FillFunctorIfEEEEvRNS_18TensorIteratorBaseERKT_EUlibE0_EEviT1_.has_recursion, 0
	.set _ZN2at6native32elementwise_kernel_manual_unrollILi128ELi4EZNS0_15gpu_kernel_implINS0_11FillFunctorIfEEEEvRNS_18TensorIteratorBaseERKT_EUlibE0_EEviT1_.has_indirect_call, 0
	.section	.AMDGPU.csdata,"",@progbits
; Kernel info:
; codeLenInByte = 17380
; TotalNumSgprs: 100
; NumVgprs: 20
; ScratchSize: 0
; MemoryBound: 0
; FloatMode: 240
; IeeeMode: 1
; LDSByteSize: 0 bytes/workgroup (compile time only)
; SGPRBlocks: 12
; VGPRBlocks: 4
; NumSGPRsForWavesPerEU: 100
; NumVGPRsForWavesPerEU: 20
; Occupancy: 8
; WaveLimiterHint : 1
; COMPUTE_PGM_RSRC2:SCRATCH_EN: 0
; COMPUTE_PGM_RSRC2:USER_SGPR: 6
; COMPUTE_PGM_RSRC2:TRAP_HANDLER: 0
; COMPUTE_PGM_RSRC2:TGID_X_EN: 1
; COMPUTE_PGM_RSRC2:TGID_Y_EN: 0
; COMPUTE_PGM_RSRC2:TGID_Z_EN: 0
; COMPUTE_PGM_RSRC2:TIDIG_COMP_CNT: 0
	.section	.text._ZN2at6native29vectorized_elementwise_kernelILi16ENS0_11FillFunctorIN3c107complexIdEEEESt5arrayIPcLm1EEEEviT0_T1_,"axG",@progbits,_ZN2at6native29vectorized_elementwise_kernelILi16ENS0_11FillFunctorIN3c107complexIdEEEESt5arrayIPcLm1EEEEviT0_T1_,comdat
	.protected	_ZN2at6native29vectorized_elementwise_kernelILi16ENS0_11FillFunctorIN3c107complexIdEEEESt5arrayIPcLm1EEEEviT0_T1_ ; -- Begin function _ZN2at6native29vectorized_elementwise_kernelILi16ENS0_11FillFunctorIN3c107complexIdEEEESt5arrayIPcLm1EEEEviT0_T1_
	.globl	_ZN2at6native29vectorized_elementwise_kernelILi16ENS0_11FillFunctorIN3c107complexIdEEEESt5arrayIPcLm1EEEEviT0_T1_
	.p2align	8
	.type	_ZN2at6native29vectorized_elementwise_kernelILi16ENS0_11FillFunctorIN3c107complexIdEEEESt5arrayIPcLm1EEEEviT0_T1_,@function
_ZN2at6native29vectorized_elementwise_kernelILi16ENS0_11FillFunctorIN3c107complexIdEEEESt5arrayIPcLm1EEEEviT0_T1_: ; @_ZN2at6native29vectorized_elementwise_kernelILi16ENS0_11FillFunctorIN3c107complexIdEEEESt5arrayIPcLm1EEEEviT0_T1_
; %bb.0:
	s_load_dword s7, s[4:5], 0x0
	s_load_dwordx4 s[0:3], s[4:5], 0x10
	s_load_dwordx2 s[8:9], s[4:5], 0x20
	s_lshl_b32 s4, s6, 10
	s_waitcnt lgkmcnt(0)
	s_sub_i32 s10, s7, s4
	s_cmpk_gt_i32 s10, 0x3ff
	s_mov_b64 s[6:7], -1
	s_cbranch_scc0 .LBB56_2
; %bb.1:
	s_ashr_i32 s5, s4, 31
	s_lshl_b64 s[6:7], s[4:5], 4
	s_add_u32 s6, s8, s6
	v_mov_b32_e32 v4, s3
	s_addc_u32 s7, s9, s7
	v_lshlrev_b32_e32 v5, 6, v0
	v_mov_b32_e32 v3, s2
	v_mov_b32_e32 v2, s1
	;; [unrolled: 1-line block ×3, first 2 shown]
	global_store_dwordx4 v5, v[1:4], s[6:7]
	global_store_dwordx4 v5, v[1:4], s[6:7] offset:16
	global_store_dwordx4 v5, v[1:4], s[6:7] offset:32
	;; [unrolled: 1-line block ×3, first 2 shown]
	s_mov_b64 s[6:7], 0
.LBB56_2:
	s_andn2_b64 vcc, exec, s[6:7]
	s_cbranch_vccnz .LBB56_8
; %bb.3:
	v_cmp_gt_i32_e32 vcc, s10, v0
	v_or_b32_e32 v2, 0x100, v0
	v_mov_b32_e32 v1, v0
	s_and_saveexec_b64 s[6:7], vcc
	s_cbranch_execnz .LBB56_9
; %bb.4:
	s_or_b64 exec, exec, s[6:7]
	v_cmp_gt_i32_e32 vcc, s10, v1
	s_and_saveexec_b64 s[6:7], vcc
	s_cbranch_execnz .LBB56_10
.LBB56_5:
	s_or_b64 exec, exec, s[6:7]
	v_cmp_gt_i32_e32 vcc, s10, v1
	s_and_saveexec_b64 s[6:7], vcc
	s_cbranch_execnz .LBB56_11
.LBB56_6:
	s_or_b64 exec, exec, s[6:7]
	v_cmp_gt_i32_e32 vcc, s10, v1
	s_and_saveexec_b64 s[6:7], vcc
	s_cbranch_execz .LBB56_8
.LBB56_7:
	v_or_b32_e32 v0, 0x300, v0
	v_cmp_gt_i32_e32 vcc, s10, v0
	v_mov_b32_e32 v0, s2
	v_cndmask_b32_e32 v4, 0, v0, vcc
	v_mov_b32_e32 v0, s1
	v_mov_b32_e32 v2, s3
	v_cndmask_b32_e32 v3, 0, v0, vcc
	v_mov_b32_e32 v0, s0
	v_cndmask_b32_e32 v5, 0, v2, vcc
	v_cndmask_b32_e32 v2, 0, v0, vcc
	v_add_u32_e32 v0, s4, v1
	v_mov_b32_e32 v1, 0
	v_lshlrev_b64 v[0:1], 4, v[0:1]
	v_mov_b32_e32 v6, s9
	v_add_co_u32_e32 v0, vcc, s8, v0
	v_addc_co_u32_e32 v1, vcc, v6, v1, vcc
	global_store_dwordx4 v[0:1], v[2:5], off
.LBB56_8:
	s_endpgm
.LBB56_9:
	v_or_b32_e32 v3, s4, v0
	v_mov_b32_e32 v4, 0
	v_lshlrev_b64 v[3:4], 4, v[3:4]
	v_mov_b32_e32 v1, s9
	v_add_co_u32_e32 v7, vcc, s8, v3
	v_addc_co_u32_e32 v8, vcc, v1, v4, vcc
	v_mov_b32_e32 v3, s0
	v_mov_b32_e32 v4, s1
	;; [unrolled: 1-line block ×5, first 2 shown]
	global_store_dwordx4 v[7:8], v[3:6], off
	s_or_b64 exec, exec, s[6:7]
	v_cmp_gt_i32_e32 vcc, s10, v1
	s_and_saveexec_b64 s[6:7], vcc
	s_cbranch_execz .LBB56_5
.LBB56_10:
	v_cmp_gt_i32_e32 vcc, s10, v2
	v_mov_b32_e32 v2, s2
	v_add_u32_e32 v6, s4, v1
	v_mov_b32_e32 v7, 0
	v_mov_b32_e32 v3, s3
	v_cndmask_b32_e32 v4, 0, v2, vcc
	v_mov_b32_e32 v2, s1
	v_lshlrev_b64 v[6:7], 4, v[6:7]
	v_cndmask_b32_e32 v5, 0, v3, vcc
	v_cndmask_b32_e32 v3, 0, v2, vcc
	v_mov_b32_e32 v2, s0
	v_cndmask_b32_e32 v2, 0, v2, vcc
	v_mov_b32_e32 v8, s9
	v_add_co_u32_e32 v6, vcc, s8, v6
	v_addc_co_u32_e32 v7, vcc, v8, v7, vcc
	v_add_u32_e32 v1, 0x100, v1
	global_store_dwordx4 v[6:7], v[2:5], off
	s_or_b64 exec, exec, s[6:7]
	v_cmp_gt_i32_e32 vcc, s10, v1
	s_and_saveexec_b64 s[6:7], vcc
	s_cbranch_execz .LBB56_6
.LBB56_11:
	v_or_b32_e32 v2, 0x200, v0
	v_cmp_gt_i32_e32 vcc, s10, v2
	v_mov_b32_e32 v2, s2
	v_add_u32_e32 v6, s4, v1
	v_mov_b32_e32 v7, 0
	v_mov_b32_e32 v3, s3
	v_cndmask_b32_e32 v4, 0, v2, vcc
	v_mov_b32_e32 v2, s1
	v_lshlrev_b64 v[6:7], 4, v[6:7]
	v_cndmask_b32_e32 v5, 0, v3, vcc
	v_cndmask_b32_e32 v3, 0, v2, vcc
	v_mov_b32_e32 v2, s0
	v_cndmask_b32_e32 v2, 0, v2, vcc
	v_mov_b32_e32 v8, s9
	v_add_co_u32_e32 v6, vcc, s8, v6
	v_addc_co_u32_e32 v7, vcc, v8, v7, vcc
	v_add_u32_e32 v1, 0x100, v1
	global_store_dwordx4 v[6:7], v[2:5], off
	s_or_b64 exec, exec, s[6:7]
	v_cmp_gt_i32_e32 vcc, s10, v1
	s_and_saveexec_b64 s[6:7], vcc
	s_cbranch_execnz .LBB56_7
	s_branch .LBB56_8
	.section	.rodata,"a",@progbits
	.p2align	6, 0x0
	.amdhsa_kernel _ZN2at6native29vectorized_elementwise_kernelILi16ENS0_11FillFunctorIN3c107complexIdEEEESt5arrayIPcLm1EEEEviT0_T1_
		.amdhsa_group_segment_fixed_size 0
		.amdhsa_private_segment_fixed_size 0
		.amdhsa_kernarg_size 40
		.amdhsa_user_sgpr_count 6
		.amdhsa_user_sgpr_private_segment_buffer 1
		.amdhsa_user_sgpr_dispatch_ptr 0
		.amdhsa_user_sgpr_queue_ptr 0
		.amdhsa_user_sgpr_kernarg_segment_ptr 1
		.amdhsa_user_sgpr_dispatch_id 0
		.amdhsa_user_sgpr_flat_scratch_init 0
		.amdhsa_user_sgpr_private_segment_size 0
		.amdhsa_uses_dynamic_stack 0
		.amdhsa_system_sgpr_private_segment_wavefront_offset 0
		.amdhsa_system_sgpr_workgroup_id_x 1
		.amdhsa_system_sgpr_workgroup_id_y 0
		.amdhsa_system_sgpr_workgroup_id_z 0
		.amdhsa_system_sgpr_workgroup_info 0
		.amdhsa_system_vgpr_workitem_id 0
		.amdhsa_next_free_vgpr 9
		.amdhsa_next_free_sgpr 11
		.amdhsa_reserve_vcc 1
		.amdhsa_reserve_flat_scratch 0
		.amdhsa_float_round_mode_32 0
		.amdhsa_float_round_mode_16_64 0
		.amdhsa_float_denorm_mode_32 3
		.amdhsa_float_denorm_mode_16_64 3
		.amdhsa_dx10_clamp 1
		.amdhsa_ieee_mode 1
		.amdhsa_fp16_overflow 0
		.amdhsa_exception_fp_ieee_invalid_op 0
		.amdhsa_exception_fp_denorm_src 0
		.amdhsa_exception_fp_ieee_div_zero 0
		.amdhsa_exception_fp_ieee_overflow 0
		.amdhsa_exception_fp_ieee_underflow 0
		.amdhsa_exception_fp_ieee_inexact 0
		.amdhsa_exception_int_div_zero 0
	.end_amdhsa_kernel
	.section	.text._ZN2at6native29vectorized_elementwise_kernelILi16ENS0_11FillFunctorIN3c107complexIdEEEESt5arrayIPcLm1EEEEviT0_T1_,"axG",@progbits,_ZN2at6native29vectorized_elementwise_kernelILi16ENS0_11FillFunctorIN3c107complexIdEEEESt5arrayIPcLm1EEEEviT0_T1_,comdat
.Lfunc_end56:
	.size	_ZN2at6native29vectorized_elementwise_kernelILi16ENS0_11FillFunctorIN3c107complexIdEEEESt5arrayIPcLm1EEEEviT0_T1_, .Lfunc_end56-_ZN2at6native29vectorized_elementwise_kernelILi16ENS0_11FillFunctorIN3c107complexIdEEEESt5arrayIPcLm1EEEEviT0_T1_
                                        ; -- End function
	.set _ZN2at6native29vectorized_elementwise_kernelILi16ENS0_11FillFunctorIN3c107complexIdEEEESt5arrayIPcLm1EEEEviT0_T1_.num_vgpr, 9
	.set _ZN2at6native29vectorized_elementwise_kernelILi16ENS0_11FillFunctorIN3c107complexIdEEEESt5arrayIPcLm1EEEEviT0_T1_.num_agpr, 0
	.set _ZN2at6native29vectorized_elementwise_kernelILi16ENS0_11FillFunctorIN3c107complexIdEEEESt5arrayIPcLm1EEEEviT0_T1_.numbered_sgpr, 11
	.set _ZN2at6native29vectorized_elementwise_kernelILi16ENS0_11FillFunctorIN3c107complexIdEEEESt5arrayIPcLm1EEEEviT0_T1_.num_named_barrier, 0
	.set _ZN2at6native29vectorized_elementwise_kernelILi16ENS0_11FillFunctorIN3c107complexIdEEEESt5arrayIPcLm1EEEEviT0_T1_.private_seg_size, 0
	.set _ZN2at6native29vectorized_elementwise_kernelILi16ENS0_11FillFunctorIN3c107complexIdEEEESt5arrayIPcLm1EEEEviT0_T1_.uses_vcc, 1
	.set _ZN2at6native29vectorized_elementwise_kernelILi16ENS0_11FillFunctorIN3c107complexIdEEEESt5arrayIPcLm1EEEEviT0_T1_.uses_flat_scratch, 0
	.set _ZN2at6native29vectorized_elementwise_kernelILi16ENS0_11FillFunctorIN3c107complexIdEEEESt5arrayIPcLm1EEEEviT0_T1_.has_dyn_sized_stack, 0
	.set _ZN2at6native29vectorized_elementwise_kernelILi16ENS0_11FillFunctorIN3c107complexIdEEEESt5arrayIPcLm1EEEEviT0_T1_.has_recursion, 0
	.set _ZN2at6native29vectorized_elementwise_kernelILi16ENS0_11FillFunctorIN3c107complexIdEEEESt5arrayIPcLm1EEEEviT0_T1_.has_indirect_call, 0
	.section	.AMDGPU.csdata,"",@progbits
; Kernel info:
; codeLenInByte = 560
; TotalNumSgprs: 15
; NumVgprs: 9
; ScratchSize: 0
; MemoryBound: 0
; FloatMode: 240
; IeeeMode: 1
; LDSByteSize: 0 bytes/workgroup (compile time only)
; SGPRBlocks: 1
; VGPRBlocks: 2
; NumSGPRsForWavesPerEU: 15
; NumVGPRsForWavesPerEU: 9
; Occupancy: 10
; WaveLimiterHint : 0
; COMPUTE_PGM_RSRC2:SCRATCH_EN: 0
; COMPUTE_PGM_RSRC2:USER_SGPR: 6
; COMPUTE_PGM_RSRC2:TRAP_HANDLER: 0
; COMPUTE_PGM_RSRC2:TGID_X_EN: 1
; COMPUTE_PGM_RSRC2:TGID_Y_EN: 0
; COMPUTE_PGM_RSRC2:TGID_Z_EN: 0
; COMPUTE_PGM_RSRC2:TIDIG_COMP_CNT: 0
	.section	.text._ZN2at6native29vectorized_elementwise_kernelILi8ENS0_11FillFunctorIN3c107complexIdEEEESt5arrayIPcLm1EEEEviT0_T1_,"axG",@progbits,_ZN2at6native29vectorized_elementwise_kernelILi8ENS0_11FillFunctorIN3c107complexIdEEEESt5arrayIPcLm1EEEEviT0_T1_,comdat
	.protected	_ZN2at6native29vectorized_elementwise_kernelILi8ENS0_11FillFunctorIN3c107complexIdEEEESt5arrayIPcLm1EEEEviT0_T1_ ; -- Begin function _ZN2at6native29vectorized_elementwise_kernelILi8ENS0_11FillFunctorIN3c107complexIdEEEESt5arrayIPcLm1EEEEviT0_T1_
	.globl	_ZN2at6native29vectorized_elementwise_kernelILi8ENS0_11FillFunctorIN3c107complexIdEEEESt5arrayIPcLm1EEEEviT0_T1_
	.p2align	8
	.type	_ZN2at6native29vectorized_elementwise_kernelILi8ENS0_11FillFunctorIN3c107complexIdEEEESt5arrayIPcLm1EEEEviT0_T1_,@function
_ZN2at6native29vectorized_elementwise_kernelILi8ENS0_11FillFunctorIN3c107complexIdEEEESt5arrayIPcLm1EEEEviT0_T1_: ; @_ZN2at6native29vectorized_elementwise_kernelILi8ENS0_11FillFunctorIN3c107complexIdEEEESt5arrayIPcLm1EEEEviT0_T1_
; %bb.0:
	s_load_dword s7, s[4:5], 0x0
	s_load_dwordx4 s[0:3], s[4:5], 0x10
	s_load_dwordx2 s[8:9], s[4:5], 0x20
	s_lshl_b32 s4, s6, 10
	s_waitcnt lgkmcnt(0)
	s_sub_i32 s10, s7, s4
	s_cmpk_gt_i32 s10, 0x3ff
	s_mov_b64 s[6:7], -1
	s_cbranch_scc0 .LBB57_2
; %bb.1:
	s_ashr_i32 s5, s4, 31
	s_lshl_b64 s[6:7], s[4:5], 4
	s_add_u32 s6, s8, s6
	v_mov_b32_e32 v4, s3
	s_addc_u32 s7, s9, s7
	v_lshlrev_b32_e32 v5, 6, v0
	v_mov_b32_e32 v3, s2
	v_mov_b32_e32 v2, s1
	;; [unrolled: 1-line block ×3, first 2 shown]
	global_store_dwordx4 v5, v[1:4], s[6:7]
	global_store_dwordx4 v5, v[1:4], s[6:7] offset:16
	global_store_dwordx4 v5, v[1:4], s[6:7] offset:32
	;; [unrolled: 1-line block ×3, first 2 shown]
	s_mov_b64 s[6:7], 0
.LBB57_2:
	s_andn2_b64 vcc, exec, s[6:7]
	s_cbranch_vccnz .LBB57_8
; %bb.3:
	v_cmp_gt_i32_e32 vcc, s10, v0
	v_or_b32_e32 v2, 0x100, v0
	v_mov_b32_e32 v1, v0
	s_and_saveexec_b64 s[6:7], vcc
	s_cbranch_execnz .LBB57_9
; %bb.4:
	s_or_b64 exec, exec, s[6:7]
	v_cmp_gt_i32_e32 vcc, s10, v1
	s_and_saveexec_b64 s[6:7], vcc
	s_cbranch_execnz .LBB57_10
.LBB57_5:
	s_or_b64 exec, exec, s[6:7]
	v_cmp_gt_i32_e32 vcc, s10, v1
	s_and_saveexec_b64 s[6:7], vcc
	s_cbranch_execnz .LBB57_11
.LBB57_6:
	s_or_b64 exec, exec, s[6:7]
	v_cmp_gt_i32_e32 vcc, s10, v1
	s_and_saveexec_b64 s[6:7], vcc
	s_cbranch_execz .LBB57_8
.LBB57_7:
	v_or_b32_e32 v0, 0x300, v0
	v_cmp_gt_i32_e32 vcc, s10, v0
	v_mov_b32_e32 v0, s2
	v_cndmask_b32_e32 v4, 0, v0, vcc
	v_mov_b32_e32 v0, s1
	v_mov_b32_e32 v2, s3
	v_cndmask_b32_e32 v3, 0, v0, vcc
	v_mov_b32_e32 v0, s0
	v_cndmask_b32_e32 v5, 0, v2, vcc
	v_cndmask_b32_e32 v2, 0, v0, vcc
	v_add_u32_e32 v0, s4, v1
	v_mov_b32_e32 v1, 0
	v_lshlrev_b64 v[0:1], 4, v[0:1]
	v_mov_b32_e32 v6, s9
	v_add_co_u32_e32 v0, vcc, s8, v0
	v_addc_co_u32_e32 v1, vcc, v6, v1, vcc
	global_store_dwordx4 v[0:1], v[2:5], off
.LBB57_8:
	s_endpgm
.LBB57_9:
	v_or_b32_e32 v3, s4, v0
	v_mov_b32_e32 v4, 0
	v_lshlrev_b64 v[3:4], 4, v[3:4]
	v_mov_b32_e32 v1, s9
	v_add_co_u32_e32 v7, vcc, s8, v3
	v_addc_co_u32_e32 v8, vcc, v1, v4, vcc
	v_mov_b32_e32 v3, s0
	v_mov_b32_e32 v4, s1
	;; [unrolled: 1-line block ×5, first 2 shown]
	global_store_dwordx4 v[7:8], v[3:6], off
	s_or_b64 exec, exec, s[6:7]
	v_cmp_gt_i32_e32 vcc, s10, v1
	s_and_saveexec_b64 s[6:7], vcc
	s_cbranch_execz .LBB57_5
.LBB57_10:
	v_cmp_gt_i32_e32 vcc, s10, v2
	v_mov_b32_e32 v2, s2
	v_add_u32_e32 v6, s4, v1
	v_mov_b32_e32 v7, 0
	v_mov_b32_e32 v3, s3
	v_cndmask_b32_e32 v4, 0, v2, vcc
	v_mov_b32_e32 v2, s1
	v_lshlrev_b64 v[6:7], 4, v[6:7]
	v_cndmask_b32_e32 v5, 0, v3, vcc
	v_cndmask_b32_e32 v3, 0, v2, vcc
	v_mov_b32_e32 v2, s0
	v_cndmask_b32_e32 v2, 0, v2, vcc
	v_mov_b32_e32 v8, s9
	v_add_co_u32_e32 v6, vcc, s8, v6
	v_addc_co_u32_e32 v7, vcc, v8, v7, vcc
	v_add_u32_e32 v1, 0x100, v1
	global_store_dwordx4 v[6:7], v[2:5], off
	s_or_b64 exec, exec, s[6:7]
	v_cmp_gt_i32_e32 vcc, s10, v1
	s_and_saveexec_b64 s[6:7], vcc
	s_cbranch_execz .LBB57_6
.LBB57_11:
	v_or_b32_e32 v2, 0x200, v0
	v_cmp_gt_i32_e32 vcc, s10, v2
	v_mov_b32_e32 v2, s2
	v_add_u32_e32 v6, s4, v1
	v_mov_b32_e32 v7, 0
	v_mov_b32_e32 v3, s3
	v_cndmask_b32_e32 v4, 0, v2, vcc
	v_mov_b32_e32 v2, s1
	v_lshlrev_b64 v[6:7], 4, v[6:7]
	v_cndmask_b32_e32 v5, 0, v3, vcc
	v_cndmask_b32_e32 v3, 0, v2, vcc
	v_mov_b32_e32 v2, s0
	v_cndmask_b32_e32 v2, 0, v2, vcc
	v_mov_b32_e32 v8, s9
	v_add_co_u32_e32 v6, vcc, s8, v6
	v_addc_co_u32_e32 v7, vcc, v8, v7, vcc
	v_add_u32_e32 v1, 0x100, v1
	global_store_dwordx4 v[6:7], v[2:5], off
	s_or_b64 exec, exec, s[6:7]
	v_cmp_gt_i32_e32 vcc, s10, v1
	s_and_saveexec_b64 s[6:7], vcc
	s_cbranch_execnz .LBB57_7
	s_branch .LBB57_8
	.section	.rodata,"a",@progbits
	.p2align	6, 0x0
	.amdhsa_kernel _ZN2at6native29vectorized_elementwise_kernelILi8ENS0_11FillFunctorIN3c107complexIdEEEESt5arrayIPcLm1EEEEviT0_T1_
		.amdhsa_group_segment_fixed_size 0
		.amdhsa_private_segment_fixed_size 0
		.amdhsa_kernarg_size 40
		.amdhsa_user_sgpr_count 6
		.amdhsa_user_sgpr_private_segment_buffer 1
		.amdhsa_user_sgpr_dispatch_ptr 0
		.amdhsa_user_sgpr_queue_ptr 0
		.amdhsa_user_sgpr_kernarg_segment_ptr 1
		.amdhsa_user_sgpr_dispatch_id 0
		.amdhsa_user_sgpr_flat_scratch_init 0
		.amdhsa_user_sgpr_private_segment_size 0
		.amdhsa_uses_dynamic_stack 0
		.amdhsa_system_sgpr_private_segment_wavefront_offset 0
		.amdhsa_system_sgpr_workgroup_id_x 1
		.amdhsa_system_sgpr_workgroup_id_y 0
		.amdhsa_system_sgpr_workgroup_id_z 0
		.amdhsa_system_sgpr_workgroup_info 0
		.amdhsa_system_vgpr_workitem_id 0
		.amdhsa_next_free_vgpr 9
		.amdhsa_next_free_sgpr 11
		.amdhsa_reserve_vcc 1
		.amdhsa_reserve_flat_scratch 0
		.amdhsa_float_round_mode_32 0
		.amdhsa_float_round_mode_16_64 0
		.amdhsa_float_denorm_mode_32 3
		.amdhsa_float_denorm_mode_16_64 3
		.amdhsa_dx10_clamp 1
		.amdhsa_ieee_mode 1
		.amdhsa_fp16_overflow 0
		.amdhsa_exception_fp_ieee_invalid_op 0
		.amdhsa_exception_fp_denorm_src 0
		.amdhsa_exception_fp_ieee_div_zero 0
		.amdhsa_exception_fp_ieee_overflow 0
		.amdhsa_exception_fp_ieee_underflow 0
		.amdhsa_exception_fp_ieee_inexact 0
		.amdhsa_exception_int_div_zero 0
	.end_amdhsa_kernel
	.section	.text._ZN2at6native29vectorized_elementwise_kernelILi8ENS0_11FillFunctorIN3c107complexIdEEEESt5arrayIPcLm1EEEEviT0_T1_,"axG",@progbits,_ZN2at6native29vectorized_elementwise_kernelILi8ENS0_11FillFunctorIN3c107complexIdEEEESt5arrayIPcLm1EEEEviT0_T1_,comdat
.Lfunc_end57:
	.size	_ZN2at6native29vectorized_elementwise_kernelILi8ENS0_11FillFunctorIN3c107complexIdEEEESt5arrayIPcLm1EEEEviT0_T1_, .Lfunc_end57-_ZN2at6native29vectorized_elementwise_kernelILi8ENS0_11FillFunctorIN3c107complexIdEEEESt5arrayIPcLm1EEEEviT0_T1_
                                        ; -- End function
	.set _ZN2at6native29vectorized_elementwise_kernelILi8ENS0_11FillFunctorIN3c107complexIdEEEESt5arrayIPcLm1EEEEviT0_T1_.num_vgpr, 9
	.set _ZN2at6native29vectorized_elementwise_kernelILi8ENS0_11FillFunctorIN3c107complexIdEEEESt5arrayIPcLm1EEEEviT0_T1_.num_agpr, 0
	.set _ZN2at6native29vectorized_elementwise_kernelILi8ENS0_11FillFunctorIN3c107complexIdEEEESt5arrayIPcLm1EEEEviT0_T1_.numbered_sgpr, 11
	.set _ZN2at6native29vectorized_elementwise_kernelILi8ENS0_11FillFunctorIN3c107complexIdEEEESt5arrayIPcLm1EEEEviT0_T1_.num_named_barrier, 0
	.set _ZN2at6native29vectorized_elementwise_kernelILi8ENS0_11FillFunctorIN3c107complexIdEEEESt5arrayIPcLm1EEEEviT0_T1_.private_seg_size, 0
	.set _ZN2at6native29vectorized_elementwise_kernelILi8ENS0_11FillFunctorIN3c107complexIdEEEESt5arrayIPcLm1EEEEviT0_T1_.uses_vcc, 1
	.set _ZN2at6native29vectorized_elementwise_kernelILi8ENS0_11FillFunctorIN3c107complexIdEEEESt5arrayIPcLm1EEEEviT0_T1_.uses_flat_scratch, 0
	.set _ZN2at6native29vectorized_elementwise_kernelILi8ENS0_11FillFunctorIN3c107complexIdEEEESt5arrayIPcLm1EEEEviT0_T1_.has_dyn_sized_stack, 0
	.set _ZN2at6native29vectorized_elementwise_kernelILi8ENS0_11FillFunctorIN3c107complexIdEEEESt5arrayIPcLm1EEEEviT0_T1_.has_recursion, 0
	.set _ZN2at6native29vectorized_elementwise_kernelILi8ENS0_11FillFunctorIN3c107complexIdEEEESt5arrayIPcLm1EEEEviT0_T1_.has_indirect_call, 0
	.section	.AMDGPU.csdata,"",@progbits
; Kernel info:
; codeLenInByte = 560
; TotalNumSgprs: 15
; NumVgprs: 9
; ScratchSize: 0
; MemoryBound: 0
; FloatMode: 240
; IeeeMode: 1
; LDSByteSize: 0 bytes/workgroup (compile time only)
; SGPRBlocks: 1
; VGPRBlocks: 2
; NumSGPRsForWavesPerEU: 15
; NumVGPRsForWavesPerEU: 9
; Occupancy: 10
; WaveLimiterHint : 0
; COMPUTE_PGM_RSRC2:SCRATCH_EN: 0
; COMPUTE_PGM_RSRC2:USER_SGPR: 6
; COMPUTE_PGM_RSRC2:TRAP_HANDLER: 0
; COMPUTE_PGM_RSRC2:TGID_X_EN: 1
; COMPUTE_PGM_RSRC2:TGID_Y_EN: 0
; COMPUTE_PGM_RSRC2:TGID_Z_EN: 0
; COMPUTE_PGM_RSRC2:TIDIG_COMP_CNT: 0
	.section	.text._ZN2at6native29vectorized_elementwise_kernelILi4ENS0_11FillFunctorIN3c107complexIdEEEESt5arrayIPcLm1EEEEviT0_T1_,"axG",@progbits,_ZN2at6native29vectorized_elementwise_kernelILi4ENS0_11FillFunctorIN3c107complexIdEEEESt5arrayIPcLm1EEEEviT0_T1_,comdat
	.protected	_ZN2at6native29vectorized_elementwise_kernelILi4ENS0_11FillFunctorIN3c107complexIdEEEESt5arrayIPcLm1EEEEviT0_T1_ ; -- Begin function _ZN2at6native29vectorized_elementwise_kernelILi4ENS0_11FillFunctorIN3c107complexIdEEEESt5arrayIPcLm1EEEEviT0_T1_
	.globl	_ZN2at6native29vectorized_elementwise_kernelILi4ENS0_11FillFunctorIN3c107complexIdEEEESt5arrayIPcLm1EEEEviT0_T1_
	.p2align	8
	.type	_ZN2at6native29vectorized_elementwise_kernelILi4ENS0_11FillFunctorIN3c107complexIdEEEESt5arrayIPcLm1EEEEviT0_T1_,@function
_ZN2at6native29vectorized_elementwise_kernelILi4ENS0_11FillFunctorIN3c107complexIdEEEESt5arrayIPcLm1EEEEviT0_T1_: ; @_ZN2at6native29vectorized_elementwise_kernelILi4ENS0_11FillFunctorIN3c107complexIdEEEESt5arrayIPcLm1EEEEviT0_T1_
; %bb.0:
	s_load_dword s7, s[4:5], 0x0
	s_load_dwordx4 s[0:3], s[4:5], 0x10
	s_load_dwordx2 s[8:9], s[4:5], 0x20
	s_lshl_b32 s4, s6, 10
	s_waitcnt lgkmcnt(0)
	s_sub_i32 s10, s7, s4
	s_cmpk_gt_i32 s10, 0x3ff
	s_mov_b64 s[6:7], -1
	s_cbranch_scc0 .LBB58_2
; %bb.1:
	s_ashr_i32 s5, s4, 31
	s_lshl_b64 s[6:7], s[4:5], 4
	s_add_u32 s6, s8, s6
	v_mov_b32_e32 v4, s3
	s_addc_u32 s7, s9, s7
	v_lshlrev_b32_e32 v5, 6, v0
	v_mov_b32_e32 v3, s2
	v_mov_b32_e32 v2, s1
	;; [unrolled: 1-line block ×3, first 2 shown]
	global_store_dwordx4 v5, v[1:4], s[6:7]
	global_store_dwordx4 v5, v[1:4], s[6:7] offset:16
	global_store_dwordx4 v5, v[1:4], s[6:7] offset:32
	;; [unrolled: 1-line block ×3, first 2 shown]
	s_mov_b64 s[6:7], 0
.LBB58_2:
	s_andn2_b64 vcc, exec, s[6:7]
	s_cbranch_vccnz .LBB58_8
; %bb.3:
	v_cmp_gt_i32_e32 vcc, s10, v0
	v_or_b32_e32 v2, 0x100, v0
	v_mov_b32_e32 v1, v0
	s_and_saveexec_b64 s[6:7], vcc
	s_cbranch_execnz .LBB58_9
; %bb.4:
	s_or_b64 exec, exec, s[6:7]
	v_cmp_gt_i32_e32 vcc, s10, v1
	s_and_saveexec_b64 s[6:7], vcc
	s_cbranch_execnz .LBB58_10
.LBB58_5:
	s_or_b64 exec, exec, s[6:7]
	v_cmp_gt_i32_e32 vcc, s10, v1
	s_and_saveexec_b64 s[6:7], vcc
	s_cbranch_execnz .LBB58_11
.LBB58_6:
	s_or_b64 exec, exec, s[6:7]
	v_cmp_gt_i32_e32 vcc, s10, v1
	s_and_saveexec_b64 s[6:7], vcc
	s_cbranch_execz .LBB58_8
.LBB58_7:
	v_or_b32_e32 v0, 0x300, v0
	v_cmp_gt_i32_e32 vcc, s10, v0
	v_mov_b32_e32 v0, s2
	v_cndmask_b32_e32 v4, 0, v0, vcc
	v_mov_b32_e32 v0, s1
	v_mov_b32_e32 v2, s3
	v_cndmask_b32_e32 v3, 0, v0, vcc
	v_mov_b32_e32 v0, s0
	v_cndmask_b32_e32 v5, 0, v2, vcc
	v_cndmask_b32_e32 v2, 0, v0, vcc
	v_add_u32_e32 v0, s4, v1
	v_mov_b32_e32 v1, 0
	v_lshlrev_b64 v[0:1], 4, v[0:1]
	v_mov_b32_e32 v6, s9
	v_add_co_u32_e32 v0, vcc, s8, v0
	v_addc_co_u32_e32 v1, vcc, v6, v1, vcc
	global_store_dwordx4 v[0:1], v[2:5], off
.LBB58_8:
	s_endpgm
.LBB58_9:
	v_or_b32_e32 v3, s4, v0
	v_mov_b32_e32 v4, 0
	v_lshlrev_b64 v[3:4], 4, v[3:4]
	v_mov_b32_e32 v1, s9
	v_add_co_u32_e32 v7, vcc, s8, v3
	v_addc_co_u32_e32 v8, vcc, v1, v4, vcc
	v_mov_b32_e32 v3, s0
	v_mov_b32_e32 v4, s1
	;; [unrolled: 1-line block ×5, first 2 shown]
	global_store_dwordx4 v[7:8], v[3:6], off
	s_or_b64 exec, exec, s[6:7]
	v_cmp_gt_i32_e32 vcc, s10, v1
	s_and_saveexec_b64 s[6:7], vcc
	s_cbranch_execz .LBB58_5
.LBB58_10:
	v_cmp_gt_i32_e32 vcc, s10, v2
	v_mov_b32_e32 v2, s2
	v_add_u32_e32 v6, s4, v1
	v_mov_b32_e32 v7, 0
	v_mov_b32_e32 v3, s3
	v_cndmask_b32_e32 v4, 0, v2, vcc
	v_mov_b32_e32 v2, s1
	v_lshlrev_b64 v[6:7], 4, v[6:7]
	v_cndmask_b32_e32 v5, 0, v3, vcc
	v_cndmask_b32_e32 v3, 0, v2, vcc
	v_mov_b32_e32 v2, s0
	v_cndmask_b32_e32 v2, 0, v2, vcc
	v_mov_b32_e32 v8, s9
	v_add_co_u32_e32 v6, vcc, s8, v6
	v_addc_co_u32_e32 v7, vcc, v8, v7, vcc
	v_add_u32_e32 v1, 0x100, v1
	global_store_dwordx4 v[6:7], v[2:5], off
	s_or_b64 exec, exec, s[6:7]
	v_cmp_gt_i32_e32 vcc, s10, v1
	s_and_saveexec_b64 s[6:7], vcc
	s_cbranch_execz .LBB58_6
.LBB58_11:
	v_or_b32_e32 v2, 0x200, v0
	v_cmp_gt_i32_e32 vcc, s10, v2
	v_mov_b32_e32 v2, s2
	v_add_u32_e32 v6, s4, v1
	v_mov_b32_e32 v7, 0
	v_mov_b32_e32 v3, s3
	v_cndmask_b32_e32 v4, 0, v2, vcc
	v_mov_b32_e32 v2, s1
	v_lshlrev_b64 v[6:7], 4, v[6:7]
	v_cndmask_b32_e32 v5, 0, v3, vcc
	v_cndmask_b32_e32 v3, 0, v2, vcc
	v_mov_b32_e32 v2, s0
	v_cndmask_b32_e32 v2, 0, v2, vcc
	v_mov_b32_e32 v8, s9
	v_add_co_u32_e32 v6, vcc, s8, v6
	v_addc_co_u32_e32 v7, vcc, v8, v7, vcc
	v_add_u32_e32 v1, 0x100, v1
	global_store_dwordx4 v[6:7], v[2:5], off
	s_or_b64 exec, exec, s[6:7]
	v_cmp_gt_i32_e32 vcc, s10, v1
	s_and_saveexec_b64 s[6:7], vcc
	s_cbranch_execnz .LBB58_7
	s_branch .LBB58_8
	.section	.rodata,"a",@progbits
	.p2align	6, 0x0
	.amdhsa_kernel _ZN2at6native29vectorized_elementwise_kernelILi4ENS0_11FillFunctorIN3c107complexIdEEEESt5arrayIPcLm1EEEEviT0_T1_
		.amdhsa_group_segment_fixed_size 0
		.amdhsa_private_segment_fixed_size 0
		.amdhsa_kernarg_size 40
		.amdhsa_user_sgpr_count 6
		.amdhsa_user_sgpr_private_segment_buffer 1
		.amdhsa_user_sgpr_dispatch_ptr 0
		.amdhsa_user_sgpr_queue_ptr 0
		.amdhsa_user_sgpr_kernarg_segment_ptr 1
		.amdhsa_user_sgpr_dispatch_id 0
		.amdhsa_user_sgpr_flat_scratch_init 0
		.amdhsa_user_sgpr_private_segment_size 0
		.amdhsa_uses_dynamic_stack 0
		.amdhsa_system_sgpr_private_segment_wavefront_offset 0
		.amdhsa_system_sgpr_workgroup_id_x 1
		.amdhsa_system_sgpr_workgroup_id_y 0
		.amdhsa_system_sgpr_workgroup_id_z 0
		.amdhsa_system_sgpr_workgroup_info 0
		.amdhsa_system_vgpr_workitem_id 0
		.amdhsa_next_free_vgpr 9
		.amdhsa_next_free_sgpr 11
		.amdhsa_reserve_vcc 1
		.amdhsa_reserve_flat_scratch 0
		.amdhsa_float_round_mode_32 0
		.amdhsa_float_round_mode_16_64 0
		.amdhsa_float_denorm_mode_32 3
		.amdhsa_float_denorm_mode_16_64 3
		.amdhsa_dx10_clamp 1
		.amdhsa_ieee_mode 1
		.amdhsa_fp16_overflow 0
		.amdhsa_exception_fp_ieee_invalid_op 0
		.amdhsa_exception_fp_denorm_src 0
		.amdhsa_exception_fp_ieee_div_zero 0
		.amdhsa_exception_fp_ieee_overflow 0
		.amdhsa_exception_fp_ieee_underflow 0
		.amdhsa_exception_fp_ieee_inexact 0
		.amdhsa_exception_int_div_zero 0
	.end_amdhsa_kernel
	.section	.text._ZN2at6native29vectorized_elementwise_kernelILi4ENS0_11FillFunctorIN3c107complexIdEEEESt5arrayIPcLm1EEEEviT0_T1_,"axG",@progbits,_ZN2at6native29vectorized_elementwise_kernelILi4ENS0_11FillFunctorIN3c107complexIdEEEESt5arrayIPcLm1EEEEviT0_T1_,comdat
.Lfunc_end58:
	.size	_ZN2at6native29vectorized_elementwise_kernelILi4ENS0_11FillFunctorIN3c107complexIdEEEESt5arrayIPcLm1EEEEviT0_T1_, .Lfunc_end58-_ZN2at6native29vectorized_elementwise_kernelILi4ENS0_11FillFunctorIN3c107complexIdEEEESt5arrayIPcLm1EEEEviT0_T1_
                                        ; -- End function
	.set _ZN2at6native29vectorized_elementwise_kernelILi4ENS0_11FillFunctorIN3c107complexIdEEEESt5arrayIPcLm1EEEEviT0_T1_.num_vgpr, 9
	.set _ZN2at6native29vectorized_elementwise_kernelILi4ENS0_11FillFunctorIN3c107complexIdEEEESt5arrayIPcLm1EEEEviT0_T1_.num_agpr, 0
	.set _ZN2at6native29vectorized_elementwise_kernelILi4ENS0_11FillFunctorIN3c107complexIdEEEESt5arrayIPcLm1EEEEviT0_T1_.numbered_sgpr, 11
	.set _ZN2at6native29vectorized_elementwise_kernelILi4ENS0_11FillFunctorIN3c107complexIdEEEESt5arrayIPcLm1EEEEviT0_T1_.num_named_barrier, 0
	.set _ZN2at6native29vectorized_elementwise_kernelILi4ENS0_11FillFunctorIN3c107complexIdEEEESt5arrayIPcLm1EEEEviT0_T1_.private_seg_size, 0
	.set _ZN2at6native29vectorized_elementwise_kernelILi4ENS0_11FillFunctorIN3c107complexIdEEEESt5arrayIPcLm1EEEEviT0_T1_.uses_vcc, 1
	.set _ZN2at6native29vectorized_elementwise_kernelILi4ENS0_11FillFunctorIN3c107complexIdEEEESt5arrayIPcLm1EEEEviT0_T1_.uses_flat_scratch, 0
	.set _ZN2at6native29vectorized_elementwise_kernelILi4ENS0_11FillFunctorIN3c107complexIdEEEESt5arrayIPcLm1EEEEviT0_T1_.has_dyn_sized_stack, 0
	.set _ZN2at6native29vectorized_elementwise_kernelILi4ENS0_11FillFunctorIN3c107complexIdEEEESt5arrayIPcLm1EEEEviT0_T1_.has_recursion, 0
	.set _ZN2at6native29vectorized_elementwise_kernelILi4ENS0_11FillFunctorIN3c107complexIdEEEESt5arrayIPcLm1EEEEviT0_T1_.has_indirect_call, 0
	.section	.AMDGPU.csdata,"",@progbits
; Kernel info:
; codeLenInByte = 560
; TotalNumSgprs: 15
; NumVgprs: 9
; ScratchSize: 0
; MemoryBound: 0
; FloatMode: 240
; IeeeMode: 1
; LDSByteSize: 0 bytes/workgroup (compile time only)
; SGPRBlocks: 1
; VGPRBlocks: 2
; NumSGPRsForWavesPerEU: 15
; NumVGPRsForWavesPerEU: 9
; Occupancy: 10
; WaveLimiterHint : 0
; COMPUTE_PGM_RSRC2:SCRATCH_EN: 0
; COMPUTE_PGM_RSRC2:USER_SGPR: 6
; COMPUTE_PGM_RSRC2:TRAP_HANDLER: 0
; COMPUTE_PGM_RSRC2:TGID_X_EN: 1
; COMPUTE_PGM_RSRC2:TGID_Y_EN: 0
; COMPUTE_PGM_RSRC2:TGID_Z_EN: 0
; COMPUTE_PGM_RSRC2:TIDIG_COMP_CNT: 0
	.section	.text._ZN2at6native29vectorized_elementwise_kernelILi2ENS0_11FillFunctorIN3c107complexIdEEEESt5arrayIPcLm1EEEEviT0_T1_,"axG",@progbits,_ZN2at6native29vectorized_elementwise_kernelILi2ENS0_11FillFunctorIN3c107complexIdEEEESt5arrayIPcLm1EEEEviT0_T1_,comdat
	.protected	_ZN2at6native29vectorized_elementwise_kernelILi2ENS0_11FillFunctorIN3c107complexIdEEEESt5arrayIPcLm1EEEEviT0_T1_ ; -- Begin function _ZN2at6native29vectorized_elementwise_kernelILi2ENS0_11FillFunctorIN3c107complexIdEEEESt5arrayIPcLm1EEEEviT0_T1_
	.globl	_ZN2at6native29vectorized_elementwise_kernelILi2ENS0_11FillFunctorIN3c107complexIdEEEESt5arrayIPcLm1EEEEviT0_T1_
	.p2align	8
	.type	_ZN2at6native29vectorized_elementwise_kernelILi2ENS0_11FillFunctorIN3c107complexIdEEEESt5arrayIPcLm1EEEEviT0_T1_,@function
_ZN2at6native29vectorized_elementwise_kernelILi2ENS0_11FillFunctorIN3c107complexIdEEEESt5arrayIPcLm1EEEEviT0_T1_: ; @_ZN2at6native29vectorized_elementwise_kernelILi2ENS0_11FillFunctorIN3c107complexIdEEEESt5arrayIPcLm1EEEEviT0_T1_
; %bb.0:
	s_load_dword s7, s[4:5], 0x0
	s_load_dwordx4 s[0:3], s[4:5], 0x10
	s_load_dwordx2 s[8:9], s[4:5], 0x20
	s_lshl_b32 s4, s6, 10
	s_waitcnt lgkmcnt(0)
	s_sub_i32 s10, s7, s4
	s_cmpk_gt_i32 s10, 0x3ff
	s_mov_b64 s[6:7], -1
	s_cbranch_scc0 .LBB59_2
; %bb.1:
	s_ashr_i32 s5, s4, 31
	s_lshl_b64 s[6:7], s[4:5], 4
	s_add_u32 s6, s8, s6
	s_addc_u32 s7, s9, s7
	v_lshlrev_b32_e32 v5, 5, v0
	v_mov_b32_e32 v1, s7
	v_add_co_u32_e32 v6, vcc, s6, v5
	v_addc_co_u32_e32 v7, vcc, 0, v1, vcc
	v_mov_b32_e32 v4, s3
	v_mov_b32_e32 v3, s2
	;; [unrolled: 1-line block ×4, first 2 shown]
	global_store_dwordx4 v5, v[1:4], s[6:7]
	global_store_dwordx4 v5, v[1:4], s[6:7] offset:16
	v_add_co_u32_e32 v5, vcc, 0x2000, v6
	v_addc_co_u32_e32 v6, vcc, 0, v7, vcc
	global_store_dwordx4 v[5:6], v[1:4], off
	global_store_dwordx4 v[5:6], v[1:4], off offset:16
	s_mov_b64 s[6:7], 0
.LBB59_2:
	s_andn2_b64 vcc, exec, s[6:7]
	s_cbranch_vccnz .LBB59_8
; %bb.3:
	v_cmp_gt_i32_e32 vcc, s10, v0
	v_or_b32_e32 v2, 0x100, v0
	v_mov_b32_e32 v1, v0
	s_and_saveexec_b64 s[6:7], vcc
	s_cbranch_execnz .LBB59_9
; %bb.4:
	s_or_b64 exec, exec, s[6:7]
	v_cmp_gt_i32_e32 vcc, s10, v1
	s_and_saveexec_b64 s[6:7], vcc
	s_cbranch_execnz .LBB59_10
.LBB59_5:
	s_or_b64 exec, exec, s[6:7]
	v_cmp_gt_i32_e32 vcc, s10, v1
	s_and_saveexec_b64 s[6:7], vcc
	s_cbranch_execnz .LBB59_11
.LBB59_6:
	s_or_b64 exec, exec, s[6:7]
	v_cmp_gt_i32_e32 vcc, s10, v1
	s_and_saveexec_b64 s[6:7], vcc
	s_cbranch_execz .LBB59_8
.LBB59_7:
	v_or_b32_e32 v0, 0x300, v0
	v_cmp_gt_i32_e32 vcc, s10, v0
	v_mov_b32_e32 v0, s2
	v_cndmask_b32_e32 v4, 0, v0, vcc
	v_mov_b32_e32 v0, s1
	v_mov_b32_e32 v2, s3
	v_cndmask_b32_e32 v3, 0, v0, vcc
	v_mov_b32_e32 v0, s0
	v_cndmask_b32_e32 v5, 0, v2, vcc
	v_cndmask_b32_e32 v2, 0, v0, vcc
	v_add_u32_e32 v0, s4, v1
	v_mov_b32_e32 v1, 0
	v_lshlrev_b64 v[0:1], 4, v[0:1]
	v_mov_b32_e32 v6, s9
	v_add_co_u32_e32 v0, vcc, s8, v0
	v_addc_co_u32_e32 v1, vcc, v6, v1, vcc
	global_store_dwordx4 v[0:1], v[2:5], off
.LBB59_8:
	s_endpgm
.LBB59_9:
	v_or_b32_e32 v3, s4, v0
	v_mov_b32_e32 v4, 0
	v_lshlrev_b64 v[3:4], 4, v[3:4]
	v_mov_b32_e32 v1, s9
	v_add_co_u32_e32 v7, vcc, s8, v3
	v_addc_co_u32_e32 v8, vcc, v1, v4, vcc
	v_mov_b32_e32 v3, s0
	v_mov_b32_e32 v4, s1
	;; [unrolled: 1-line block ×5, first 2 shown]
	global_store_dwordx4 v[7:8], v[3:6], off
	s_or_b64 exec, exec, s[6:7]
	v_cmp_gt_i32_e32 vcc, s10, v1
	s_and_saveexec_b64 s[6:7], vcc
	s_cbranch_execz .LBB59_5
.LBB59_10:
	v_cmp_gt_i32_e32 vcc, s10, v2
	v_mov_b32_e32 v2, s2
	v_add_u32_e32 v6, s4, v1
	v_mov_b32_e32 v7, 0
	v_mov_b32_e32 v3, s3
	v_cndmask_b32_e32 v4, 0, v2, vcc
	v_mov_b32_e32 v2, s1
	v_lshlrev_b64 v[6:7], 4, v[6:7]
	v_cndmask_b32_e32 v5, 0, v3, vcc
	v_cndmask_b32_e32 v3, 0, v2, vcc
	v_mov_b32_e32 v2, s0
	v_cndmask_b32_e32 v2, 0, v2, vcc
	v_mov_b32_e32 v8, s9
	v_add_co_u32_e32 v6, vcc, s8, v6
	v_addc_co_u32_e32 v7, vcc, v8, v7, vcc
	v_add_u32_e32 v1, 0x100, v1
	global_store_dwordx4 v[6:7], v[2:5], off
	s_or_b64 exec, exec, s[6:7]
	v_cmp_gt_i32_e32 vcc, s10, v1
	s_and_saveexec_b64 s[6:7], vcc
	s_cbranch_execz .LBB59_6
.LBB59_11:
	v_or_b32_e32 v2, 0x200, v0
	v_cmp_gt_i32_e32 vcc, s10, v2
	v_mov_b32_e32 v2, s2
	v_add_u32_e32 v6, s4, v1
	v_mov_b32_e32 v7, 0
	v_mov_b32_e32 v3, s3
	v_cndmask_b32_e32 v4, 0, v2, vcc
	v_mov_b32_e32 v2, s1
	v_lshlrev_b64 v[6:7], 4, v[6:7]
	v_cndmask_b32_e32 v5, 0, v3, vcc
	v_cndmask_b32_e32 v3, 0, v2, vcc
	v_mov_b32_e32 v2, s0
	v_cndmask_b32_e32 v2, 0, v2, vcc
	v_mov_b32_e32 v8, s9
	v_add_co_u32_e32 v6, vcc, s8, v6
	v_addc_co_u32_e32 v7, vcc, v8, v7, vcc
	v_add_u32_e32 v1, 0x100, v1
	global_store_dwordx4 v[6:7], v[2:5], off
	s_or_b64 exec, exec, s[6:7]
	v_cmp_gt_i32_e32 vcc, s10, v1
	s_and_saveexec_b64 s[6:7], vcc
	s_cbranch_execnz .LBB59_7
	s_branch .LBB59_8
	.section	.rodata,"a",@progbits
	.p2align	6, 0x0
	.amdhsa_kernel _ZN2at6native29vectorized_elementwise_kernelILi2ENS0_11FillFunctorIN3c107complexIdEEEESt5arrayIPcLm1EEEEviT0_T1_
		.amdhsa_group_segment_fixed_size 0
		.amdhsa_private_segment_fixed_size 0
		.amdhsa_kernarg_size 40
		.amdhsa_user_sgpr_count 6
		.amdhsa_user_sgpr_private_segment_buffer 1
		.amdhsa_user_sgpr_dispatch_ptr 0
		.amdhsa_user_sgpr_queue_ptr 0
		.amdhsa_user_sgpr_kernarg_segment_ptr 1
		.amdhsa_user_sgpr_dispatch_id 0
		.amdhsa_user_sgpr_flat_scratch_init 0
		.amdhsa_user_sgpr_private_segment_size 0
		.amdhsa_uses_dynamic_stack 0
		.amdhsa_system_sgpr_private_segment_wavefront_offset 0
		.amdhsa_system_sgpr_workgroup_id_x 1
		.amdhsa_system_sgpr_workgroup_id_y 0
		.amdhsa_system_sgpr_workgroup_id_z 0
		.amdhsa_system_sgpr_workgroup_info 0
		.amdhsa_system_vgpr_workitem_id 0
		.amdhsa_next_free_vgpr 9
		.amdhsa_next_free_sgpr 11
		.amdhsa_reserve_vcc 1
		.amdhsa_reserve_flat_scratch 0
		.amdhsa_float_round_mode_32 0
		.amdhsa_float_round_mode_16_64 0
		.amdhsa_float_denorm_mode_32 3
		.amdhsa_float_denorm_mode_16_64 3
		.amdhsa_dx10_clamp 1
		.amdhsa_ieee_mode 1
		.amdhsa_fp16_overflow 0
		.amdhsa_exception_fp_ieee_invalid_op 0
		.amdhsa_exception_fp_denorm_src 0
		.amdhsa_exception_fp_ieee_div_zero 0
		.amdhsa_exception_fp_ieee_overflow 0
		.amdhsa_exception_fp_ieee_underflow 0
		.amdhsa_exception_fp_ieee_inexact 0
		.amdhsa_exception_int_div_zero 0
	.end_amdhsa_kernel
	.section	.text._ZN2at6native29vectorized_elementwise_kernelILi2ENS0_11FillFunctorIN3c107complexIdEEEESt5arrayIPcLm1EEEEviT0_T1_,"axG",@progbits,_ZN2at6native29vectorized_elementwise_kernelILi2ENS0_11FillFunctorIN3c107complexIdEEEESt5arrayIPcLm1EEEEviT0_T1_,comdat
.Lfunc_end59:
	.size	_ZN2at6native29vectorized_elementwise_kernelILi2ENS0_11FillFunctorIN3c107complexIdEEEESt5arrayIPcLm1EEEEviT0_T1_, .Lfunc_end59-_ZN2at6native29vectorized_elementwise_kernelILi2ENS0_11FillFunctorIN3c107complexIdEEEESt5arrayIPcLm1EEEEviT0_T1_
                                        ; -- End function
	.set _ZN2at6native29vectorized_elementwise_kernelILi2ENS0_11FillFunctorIN3c107complexIdEEEESt5arrayIPcLm1EEEEviT0_T1_.num_vgpr, 9
	.set _ZN2at6native29vectorized_elementwise_kernelILi2ENS0_11FillFunctorIN3c107complexIdEEEESt5arrayIPcLm1EEEEviT0_T1_.num_agpr, 0
	.set _ZN2at6native29vectorized_elementwise_kernelILi2ENS0_11FillFunctorIN3c107complexIdEEEESt5arrayIPcLm1EEEEviT0_T1_.numbered_sgpr, 11
	.set _ZN2at6native29vectorized_elementwise_kernelILi2ENS0_11FillFunctorIN3c107complexIdEEEESt5arrayIPcLm1EEEEviT0_T1_.num_named_barrier, 0
	.set _ZN2at6native29vectorized_elementwise_kernelILi2ENS0_11FillFunctorIN3c107complexIdEEEESt5arrayIPcLm1EEEEviT0_T1_.private_seg_size, 0
	.set _ZN2at6native29vectorized_elementwise_kernelILi2ENS0_11FillFunctorIN3c107complexIdEEEESt5arrayIPcLm1EEEEviT0_T1_.uses_vcc, 1
	.set _ZN2at6native29vectorized_elementwise_kernelILi2ENS0_11FillFunctorIN3c107complexIdEEEESt5arrayIPcLm1EEEEviT0_T1_.uses_flat_scratch, 0
	.set _ZN2at6native29vectorized_elementwise_kernelILi2ENS0_11FillFunctorIN3c107complexIdEEEESt5arrayIPcLm1EEEEviT0_T1_.has_dyn_sized_stack, 0
	.set _ZN2at6native29vectorized_elementwise_kernelILi2ENS0_11FillFunctorIN3c107complexIdEEEESt5arrayIPcLm1EEEEviT0_T1_.has_recursion, 0
	.set _ZN2at6native29vectorized_elementwise_kernelILi2ENS0_11FillFunctorIN3c107complexIdEEEESt5arrayIPcLm1EEEEviT0_T1_.has_indirect_call, 0
	.section	.AMDGPU.csdata,"",@progbits
; Kernel info:
; codeLenInByte = 584
; TotalNumSgprs: 15
; NumVgprs: 9
; ScratchSize: 0
; MemoryBound: 0
; FloatMode: 240
; IeeeMode: 1
; LDSByteSize: 0 bytes/workgroup (compile time only)
; SGPRBlocks: 1
; VGPRBlocks: 2
; NumSGPRsForWavesPerEU: 15
; NumVGPRsForWavesPerEU: 9
; Occupancy: 10
; WaveLimiterHint : 1
; COMPUTE_PGM_RSRC2:SCRATCH_EN: 0
; COMPUTE_PGM_RSRC2:USER_SGPR: 6
; COMPUTE_PGM_RSRC2:TRAP_HANDLER: 0
; COMPUTE_PGM_RSRC2:TGID_X_EN: 1
; COMPUTE_PGM_RSRC2:TGID_Y_EN: 0
; COMPUTE_PGM_RSRC2:TGID_Z_EN: 0
; COMPUTE_PGM_RSRC2:TIDIG_COMP_CNT: 0
	.section	.text._ZN2at6native27unrolled_elementwise_kernelINS0_11FillFunctorIN3c107complexIdEEEESt5arrayIPcLm1EELi4E23TrivialOffsetCalculatorILi0EjESA_ILi1EjENS0_6memory15LoadWithoutCastENSD_16StoreWithoutCastEEEviT_T0_T2_T3_T4_T5_,"axG",@progbits,_ZN2at6native27unrolled_elementwise_kernelINS0_11FillFunctorIN3c107complexIdEEEESt5arrayIPcLm1EELi4E23TrivialOffsetCalculatorILi0EjESA_ILi1EjENS0_6memory15LoadWithoutCastENSD_16StoreWithoutCastEEEviT_T0_T2_T3_T4_T5_,comdat
	.protected	_ZN2at6native27unrolled_elementwise_kernelINS0_11FillFunctorIN3c107complexIdEEEESt5arrayIPcLm1EELi4E23TrivialOffsetCalculatorILi0EjESA_ILi1EjENS0_6memory15LoadWithoutCastENSD_16StoreWithoutCastEEEviT_T0_T2_T3_T4_T5_ ; -- Begin function _ZN2at6native27unrolled_elementwise_kernelINS0_11FillFunctorIN3c107complexIdEEEESt5arrayIPcLm1EELi4E23TrivialOffsetCalculatorILi0EjESA_ILi1EjENS0_6memory15LoadWithoutCastENSD_16StoreWithoutCastEEEviT_T0_T2_T3_T4_T5_
	.globl	_ZN2at6native27unrolled_elementwise_kernelINS0_11FillFunctorIN3c107complexIdEEEESt5arrayIPcLm1EELi4E23TrivialOffsetCalculatorILi0EjESA_ILi1EjENS0_6memory15LoadWithoutCastENSD_16StoreWithoutCastEEEviT_T0_T2_T3_T4_T5_
	.p2align	8
	.type	_ZN2at6native27unrolled_elementwise_kernelINS0_11FillFunctorIN3c107complexIdEEEESt5arrayIPcLm1EELi4E23TrivialOffsetCalculatorILi0EjESA_ILi1EjENS0_6memory15LoadWithoutCastENSD_16StoreWithoutCastEEEviT_T0_T2_T3_T4_T5_,@function
_ZN2at6native27unrolled_elementwise_kernelINS0_11FillFunctorIN3c107complexIdEEEESt5arrayIPcLm1EELi4E23TrivialOffsetCalculatorILi0EjESA_ILi1EjENS0_6memory15LoadWithoutCastENSD_16StoreWithoutCastEEEviT_T0_T2_T3_T4_T5_: ; @_ZN2at6native27unrolled_elementwise_kernelINS0_11FillFunctorIN3c107complexIdEEEESt5arrayIPcLm1EELi4E23TrivialOffsetCalculatorILi0EjESA_ILi1EjENS0_6memory15LoadWithoutCastENSD_16StoreWithoutCastEEEviT_T0_T2_T3_T4_T5_
; %bb.0:
	s_load_dword s7, s[4:5], 0x0
	s_load_dwordx4 s[0:3], s[4:5], 0x10
	s_load_dwordx2 s[8:9], s[4:5], 0x20
	s_lshl_b32 s6, s6, 10
	v_or_b32_e32 v2, 0x100, v0
	s_waitcnt lgkmcnt(0)
	s_sub_i32 s7, s7, s6
	v_cmp_gt_i32_e32 vcc, s7, v0
	v_mov_b32_e32 v1, v0
	s_and_saveexec_b64 s[4:5], vcc
	s_cbranch_execnz .LBB60_5
; %bb.1:
	s_or_b64 exec, exec, s[4:5]
	v_cmp_gt_i32_e32 vcc, s7, v1
	s_and_saveexec_b64 s[4:5], vcc
	s_cbranch_execnz .LBB60_6
.LBB60_2:
	s_or_b64 exec, exec, s[4:5]
	v_cmp_gt_i32_e32 vcc, s7, v1
	s_and_saveexec_b64 s[4:5], vcc
	s_cbranch_execnz .LBB60_7
.LBB60_3:
	s_or_b64 exec, exec, s[4:5]
	v_cmp_gt_i32_e32 vcc, s7, v1
	s_and_saveexec_b64 s[4:5], vcc
	s_cbranch_execnz .LBB60_8
.LBB60_4:
	s_endpgm
.LBB60_5:
	v_or_b32_e32 v3, s6, v0
	v_mov_b32_e32 v4, 0
	v_lshlrev_b64 v[3:4], 4, v[3:4]
	v_mov_b32_e32 v1, s9
	v_add_co_u32_e32 v7, vcc, s8, v3
	v_addc_co_u32_e32 v8, vcc, v1, v4, vcc
	v_mov_b32_e32 v3, s0
	v_mov_b32_e32 v4, s1
	;; [unrolled: 1-line block ×5, first 2 shown]
	global_store_dwordx4 v[7:8], v[3:6], off
	s_or_b64 exec, exec, s[4:5]
	v_cmp_gt_i32_e32 vcc, s7, v1
	s_and_saveexec_b64 s[4:5], vcc
	s_cbranch_execz .LBB60_2
.LBB60_6:
	v_cmp_gt_i32_e32 vcc, s7, v2
	v_mov_b32_e32 v2, s2
	v_add_u32_e32 v6, s6, v1
	v_mov_b32_e32 v7, 0
	v_mov_b32_e32 v3, s3
	v_cndmask_b32_e32 v4, 0, v2, vcc
	v_mov_b32_e32 v2, s1
	v_lshlrev_b64 v[6:7], 4, v[6:7]
	v_cndmask_b32_e32 v5, 0, v3, vcc
	v_cndmask_b32_e32 v3, 0, v2, vcc
	v_mov_b32_e32 v2, s0
	v_cndmask_b32_e32 v2, 0, v2, vcc
	v_add_u32_e32 v8, 0x100, v1
	v_mov_b32_e32 v1, s9
	v_add_co_u32_e32 v6, vcc, s8, v6
	v_addc_co_u32_e32 v7, vcc, v1, v7, vcc
	v_mov_b32_e32 v1, v8
	global_store_dwordx4 v[6:7], v[2:5], off
	s_or_b64 exec, exec, s[4:5]
	v_cmp_gt_i32_e32 vcc, s7, v1
	s_and_saveexec_b64 s[4:5], vcc
	s_cbranch_execz .LBB60_3
.LBB60_7:
	v_or_b32_e32 v2, 0x200, v0
	v_cmp_gt_i32_e32 vcc, s7, v2
	v_mov_b32_e32 v2, s2
	v_add_u32_e32 v6, s6, v1
	v_mov_b32_e32 v7, 0
	v_mov_b32_e32 v3, s3
	v_cndmask_b32_e32 v4, 0, v2, vcc
	v_mov_b32_e32 v2, s1
	v_lshlrev_b64 v[6:7], 4, v[6:7]
	v_cndmask_b32_e32 v5, 0, v3, vcc
	v_cndmask_b32_e32 v3, 0, v2, vcc
	v_mov_b32_e32 v2, s0
	v_cndmask_b32_e32 v2, 0, v2, vcc
	v_add_u32_e32 v8, 0x100, v1
	v_mov_b32_e32 v1, s9
	v_add_co_u32_e32 v6, vcc, s8, v6
	v_addc_co_u32_e32 v7, vcc, v1, v7, vcc
	v_mov_b32_e32 v1, v8
	global_store_dwordx4 v[6:7], v[2:5], off
	s_or_b64 exec, exec, s[4:5]
	v_cmp_gt_i32_e32 vcc, s7, v1
	s_and_saveexec_b64 s[4:5], vcc
	s_cbranch_execz .LBB60_4
.LBB60_8:
	v_or_b32_e32 v0, 0x300, v0
	v_cmp_gt_i32_e32 vcc, s7, v0
	v_mov_b32_e32 v0, s2
	v_cndmask_b32_e32 v4, 0, v0, vcc
	v_mov_b32_e32 v0, s1
	v_mov_b32_e32 v2, s3
	v_cndmask_b32_e32 v3, 0, v0, vcc
	v_mov_b32_e32 v0, s0
	v_cndmask_b32_e32 v5, 0, v2, vcc
	v_cndmask_b32_e32 v2, 0, v0, vcc
	v_add_u32_e32 v0, s6, v1
	v_mov_b32_e32 v1, 0
	v_lshlrev_b64 v[0:1], 4, v[0:1]
	v_mov_b32_e32 v6, s9
	v_add_co_u32_e32 v0, vcc, s8, v0
	v_addc_co_u32_e32 v1, vcc, v6, v1, vcc
	global_store_dwordx4 v[0:1], v[2:5], off
	s_endpgm
	.section	.rodata,"a",@progbits
	.p2align	6, 0x0
	.amdhsa_kernel _ZN2at6native27unrolled_elementwise_kernelINS0_11FillFunctorIN3c107complexIdEEEESt5arrayIPcLm1EELi4E23TrivialOffsetCalculatorILi0EjESA_ILi1EjENS0_6memory15LoadWithoutCastENSD_16StoreWithoutCastEEEviT_T0_T2_T3_T4_T5_
		.amdhsa_group_segment_fixed_size 0
		.amdhsa_private_segment_fixed_size 0
		.amdhsa_kernarg_size 44
		.amdhsa_user_sgpr_count 6
		.amdhsa_user_sgpr_private_segment_buffer 1
		.amdhsa_user_sgpr_dispatch_ptr 0
		.amdhsa_user_sgpr_queue_ptr 0
		.amdhsa_user_sgpr_kernarg_segment_ptr 1
		.amdhsa_user_sgpr_dispatch_id 0
		.amdhsa_user_sgpr_flat_scratch_init 0
		.amdhsa_user_sgpr_private_segment_size 0
		.amdhsa_uses_dynamic_stack 0
		.amdhsa_system_sgpr_private_segment_wavefront_offset 0
		.amdhsa_system_sgpr_workgroup_id_x 1
		.amdhsa_system_sgpr_workgroup_id_y 0
		.amdhsa_system_sgpr_workgroup_id_z 0
		.amdhsa_system_sgpr_workgroup_info 0
		.amdhsa_system_vgpr_workitem_id 0
		.amdhsa_next_free_vgpr 9
		.amdhsa_next_free_sgpr 10
		.amdhsa_reserve_vcc 1
		.amdhsa_reserve_flat_scratch 0
		.amdhsa_float_round_mode_32 0
		.amdhsa_float_round_mode_16_64 0
		.amdhsa_float_denorm_mode_32 3
		.amdhsa_float_denorm_mode_16_64 3
		.amdhsa_dx10_clamp 1
		.amdhsa_ieee_mode 1
		.amdhsa_fp16_overflow 0
		.amdhsa_exception_fp_ieee_invalid_op 0
		.amdhsa_exception_fp_denorm_src 0
		.amdhsa_exception_fp_ieee_div_zero 0
		.amdhsa_exception_fp_ieee_overflow 0
		.amdhsa_exception_fp_ieee_underflow 0
		.amdhsa_exception_fp_ieee_inexact 0
		.amdhsa_exception_int_div_zero 0
	.end_amdhsa_kernel
	.section	.text._ZN2at6native27unrolled_elementwise_kernelINS0_11FillFunctorIN3c107complexIdEEEESt5arrayIPcLm1EELi4E23TrivialOffsetCalculatorILi0EjESA_ILi1EjENS0_6memory15LoadWithoutCastENSD_16StoreWithoutCastEEEviT_T0_T2_T3_T4_T5_,"axG",@progbits,_ZN2at6native27unrolled_elementwise_kernelINS0_11FillFunctorIN3c107complexIdEEEESt5arrayIPcLm1EELi4E23TrivialOffsetCalculatorILi0EjESA_ILi1EjENS0_6memory15LoadWithoutCastENSD_16StoreWithoutCastEEEviT_T0_T2_T3_T4_T5_,comdat
.Lfunc_end60:
	.size	_ZN2at6native27unrolled_elementwise_kernelINS0_11FillFunctorIN3c107complexIdEEEESt5arrayIPcLm1EELi4E23TrivialOffsetCalculatorILi0EjESA_ILi1EjENS0_6memory15LoadWithoutCastENSD_16StoreWithoutCastEEEviT_T0_T2_T3_T4_T5_, .Lfunc_end60-_ZN2at6native27unrolled_elementwise_kernelINS0_11FillFunctorIN3c107complexIdEEEESt5arrayIPcLm1EELi4E23TrivialOffsetCalculatorILi0EjESA_ILi1EjENS0_6memory15LoadWithoutCastENSD_16StoreWithoutCastEEEviT_T0_T2_T3_T4_T5_
                                        ; -- End function
	.set _ZN2at6native27unrolled_elementwise_kernelINS0_11FillFunctorIN3c107complexIdEEEESt5arrayIPcLm1EELi4E23TrivialOffsetCalculatorILi0EjESA_ILi1EjENS0_6memory15LoadWithoutCastENSD_16StoreWithoutCastEEEviT_T0_T2_T3_T4_T5_.num_vgpr, 9
	.set _ZN2at6native27unrolled_elementwise_kernelINS0_11FillFunctorIN3c107complexIdEEEESt5arrayIPcLm1EELi4E23TrivialOffsetCalculatorILi0EjESA_ILi1EjENS0_6memory15LoadWithoutCastENSD_16StoreWithoutCastEEEviT_T0_T2_T3_T4_T5_.num_agpr, 0
	.set _ZN2at6native27unrolled_elementwise_kernelINS0_11FillFunctorIN3c107complexIdEEEESt5arrayIPcLm1EELi4E23TrivialOffsetCalculatorILi0EjESA_ILi1EjENS0_6memory15LoadWithoutCastENSD_16StoreWithoutCastEEEviT_T0_T2_T3_T4_T5_.numbered_sgpr, 10
	.set _ZN2at6native27unrolled_elementwise_kernelINS0_11FillFunctorIN3c107complexIdEEEESt5arrayIPcLm1EELi4E23TrivialOffsetCalculatorILi0EjESA_ILi1EjENS0_6memory15LoadWithoutCastENSD_16StoreWithoutCastEEEviT_T0_T2_T3_T4_T5_.num_named_barrier, 0
	.set _ZN2at6native27unrolled_elementwise_kernelINS0_11FillFunctorIN3c107complexIdEEEESt5arrayIPcLm1EELi4E23TrivialOffsetCalculatorILi0EjESA_ILi1EjENS0_6memory15LoadWithoutCastENSD_16StoreWithoutCastEEEviT_T0_T2_T3_T4_T5_.private_seg_size, 0
	.set _ZN2at6native27unrolled_elementwise_kernelINS0_11FillFunctorIN3c107complexIdEEEESt5arrayIPcLm1EELi4E23TrivialOffsetCalculatorILi0EjESA_ILi1EjENS0_6memory15LoadWithoutCastENSD_16StoreWithoutCastEEEviT_T0_T2_T3_T4_T5_.uses_vcc, 1
	.set _ZN2at6native27unrolled_elementwise_kernelINS0_11FillFunctorIN3c107complexIdEEEESt5arrayIPcLm1EELi4E23TrivialOffsetCalculatorILi0EjESA_ILi1EjENS0_6memory15LoadWithoutCastENSD_16StoreWithoutCastEEEviT_T0_T2_T3_T4_T5_.uses_flat_scratch, 0
	.set _ZN2at6native27unrolled_elementwise_kernelINS0_11FillFunctorIN3c107complexIdEEEESt5arrayIPcLm1EELi4E23TrivialOffsetCalculatorILi0EjESA_ILi1EjENS0_6memory15LoadWithoutCastENSD_16StoreWithoutCastEEEviT_T0_T2_T3_T4_T5_.has_dyn_sized_stack, 0
	.set _ZN2at6native27unrolled_elementwise_kernelINS0_11FillFunctorIN3c107complexIdEEEESt5arrayIPcLm1EELi4E23TrivialOffsetCalculatorILi0EjESA_ILi1EjENS0_6memory15LoadWithoutCastENSD_16StoreWithoutCastEEEviT_T0_T2_T3_T4_T5_.has_recursion, 0
	.set _ZN2at6native27unrolled_elementwise_kernelINS0_11FillFunctorIN3c107complexIdEEEESt5arrayIPcLm1EELi4E23TrivialOffsetCalculatorILi0EjESA_ILi1EjENS0_6memory15LoadWithoutCastENSD_16StoreWithoutCastEEEviT_T0_T2_T3_T4_T5_.has_indirect_call, 0
	.section	.AMDGPU.csdata,"",@progbits
; Kernel info:
; codeLenInByte = 476
; TotalNumSgprs: 14
; NumVgprs: 9
; ScratchSize: 0
; MemoryBound: 0
; FloatMode: 240
; IeeeMode: 1
; LDSByteSize: 0 bytes/workgroup (compile time only)
; SGPRBlocks: 1
; VGPRBlocks: 2
; NumSGPRsForWavesPerEU: 14
; NumVGPRsForWavesPerEU: 9
; Occupancy: 10
; WaveLimiterHint : 0
; COMPUTE_PGM_RSRC2:SCRATCH_EN: 0
; COMPUTE_PGM_RSRC2:USER_SGPR: 6
; COMPUTE_PGM_RSRC2:TRAP_HANDLER: 0
; COMPUTE_PGM_RSRC2:TGID_X_EN: 1
; COMPUTE_PGM_RSRC2:TGID_Y_EN: 0
; COMPUTE_PGM_RSRC2:TGID_Z_EN: 0
; COMPUTE_PGM_RSRC2:TIDIG_COMP_CNT: 0
	.section	.text._ZN2at6native32elementwise_kernel_manual_unrollILi128ELi4EZNS0_22gpu_kernel_impl_nocastINS0_11FillFunctorIN3c107complexIdEEEEEEvRNS_18TensorIteratorBaseERKT_EUlibE_EEviT1_,"axG",@progbits,_ZN2at6native32elementwise_kernel_manual_unrollILi128ELi4EZNS0_22gpu_kernel_impl_nocastINS0_11FillFunctorIN3c107complexIdEEEEEEvRNS_18TensorIteratorBaseERKT_EUlibE_EEviT1_,comdat
	.protected	_ZN2at6native32elementwise_kernel_manual_unrollILi128ELi4EZNS0_22gpu_kernel_impl_nocastINS0_11FillFunctorIN3c107complexIdEEEEEEvRNS_18TensorIteratorBaseERKT_EUlibE_EEviT1_ ; -- Begin function _ZN2at6native32elementwise_kernel_manual_unrollILi128ELi4EZNS0_22gpu_kernel_impl_nocastINS0_11FillFunctorIN3c107complexIdEEEEEEvRNS_18TensorIteratorBaseERKT_EUlibE_EEviT1_
	.globl	_ZN2at6native32elementwise_kernel_manual_unrollILi128ELi4EZNS0_22gpu_kernel_impl_nocastINS0_11FillFunctorIN3c107complexIdEEEEEEvRNS_18TensorIteratorBaseERKT_EUlibE_EEviT1_
	.p2align	8
	.type	_ZN2at6native32elementwise_kernel_manual_unrollILi128ELi4EZNS0_22gpu_kernel_impl_nocastINS0_11FillFunctorIN3c107complexIdEEEEEEvRNS_18TensorIteratorBaseERKT_EUlibE_EEviT1_,@function
_ZN2at6native32elementwise_kernel_manual_unrollILi128ELi4EZNS0_22gpu_kernel_impl_nocastINS0_11FillFunctorIN3c107complexIdEEEEEEvRNS_18TensorIteratorBaseERKT_EUlibE_EEviT1_: ; @_ZN2at6native32elementwise_kernel_manual_unrollILi128ELi4EZNS0_22gpu_kernel_impl_nocastINS0_11FillFunctorIN3c107complexIdEEEEEEvRNS_18TensorIteratorBaseERKT_EUlibE_EEviT1_
; %bb.0:
	s_load_dword s51, s[4:5], 0x0
	s_load_dword s33, s[4:5], 0x10
	s_add_u32 s24, s4, 16
	s_addc_u32 s25, s5, 0
	v_lshl_or_b32 v3, s6, 9, v0
	v_or_b32_e32 v6, 0x180, v3
	s_waitcnt lgkmcnt(0)
	s_add_i32 s50, s33, -1
	s_cmp_gt_u32 s50, 1
	v_cmp_le_i32_e32 vcc, s51, v6
	s_cselect_b64 s[26:27], -1, 0
	s_mov_b64 s[20:21], 0
                                        ; implicit-def: $sgpr28_sgpr29
                                        ; implicit-def: $vgpr4_vgpr5
	s_and_saveexec_b64 s[0:1], vcc
	s_xor_b64 s[30:31], exec, s[0:1]
	s_cbranch_execz .LBB61_66
; %bb.1:
	s_load_dwordx4 s[12:15], s[24:25], 0x4
	s_load_dwordx2 s[34:35], s[24:25], 0x14
	s_load_dwordx2 s[28:29], s[24:25], 0x118
	;; [unrolled: 1-line block ×3, first 2 shown]
	s_load_dwordx4 s[8:11], s[24:25], 0x108
	s_cmp_lg_u32 s33, 0
	s_cselect_b64 s[42:43], -1, 0
	s_add_u32 s40, s24, 0xc4
	s_addc_u32 s41, s25, 0
	s_min_u32 s52, s50, 15
	s_cmp_gt_u32 s33, 1
	s_cselect_b64 s[38:39], -1, 0
	v_cmp_gt_i32_e32 vcc, s51, v3
	s_and_saveexec_b64 s[44:45], vcc
	s_cbranch_execnz .LBB61_4
; %bb.2:
	s_or_b64 exec, exec, s[44:45]
	v_cmp_gt_i32_e32 vcc, s51, v3
	s_and_saveexec_b64 s[44:45], vcc
	s_cbranch_execnz .LBB61_19
.LBB61_3:
	s_or_b64 exec, exec, s[44:45]
	v_cmp_gt_i32_e32 vcc, s51, v3
	s_and_saveexec_b64 s[44:45], vcc
	s_cbranch_execnz .LBB61_34
	s_branch .LBB61_49
.LBB61_4:
	s_andn2_b64 vcc, exec, s[26:27]
	s_cbranch_vccnz .LBB61_9
; %bb.5:
	s_andn2_b64 vcc, exec, s[42:43]
	s_cbranch_vccnz .LBB61_10
; %bb.6:
	s_add_i32 s54, s52, 1
	s_cmp_eq_u32 s50, 2
	s_cbranch_scc1 .LBB61_11
; %bb.7:
	s_and_b32 s53, s54, 28
	s_mov_b32 s55, 0
	v_mov_b32_e32 v0, 0
	s_mov_b64 s[46:47], s[24:25]
	s_mov_b64 s[48:49], s[40:41]
	v_mov_b32_e32 v1, v3
.LBB61_8:                               ; =>This Inner Loop Header: Depth=1
	s_load_dwordx8 s[0:7], s[46:47], 0x4
	s_load_dwordx4 s[16:19], s[46:47], 0x24
	s_load_dwordx4 s[20:23], s[48:49], 0x0
	s_add_u32 s46, s46, 48
	s_addc_u32 s47, s47, 0
	s_waitcnt lgkmcnt(0)
	v_mul_hi_u32 v2, s1, v1
	s_add_i32 s55, s55, 4
	s_add_u32 s48, s48, 16
	s_addc_u32 s49, s49, 0
	v_add_u32_e32 v2, v1, v2
	v_lshrrev_b32_e32 v2, s2, v2
	v_mul_lo_u32 v4, v2, s0
	v_mul_hi_u32 v5, s4, v2
	s_cmp_lg_u32 s53, s55
	v_sub_u32_e32 v1, v1, v4
	v_add_u32_e32 v4, v2, v5
	v_lshrrev_b32_e32 v4, s5, v4
	v_mul_lo_u32 v5, v1, s20
	v_mul_hi_u32 v1, s7, v4
	v_mul_lo_u32 v7, v4, s3
	v_add_u32_e32 v1, v4, v1
	v_lshrrev_b32_e32 v6, s16, v1
	v_mul_hi_u32 v1, s18, v6
	v_sub_u32_e32 v2, v2, v7
	v_mul_lo_u32 v7, v6, s6
	v_mul_lo_u32 v2, v2, s21
	v_add_u32_e32 v1, v6, v1
	v_lshrrev_b32_e32 v1, s19, v1
	v_mul_lo_u32 v8, v1, s17
	v_sub_u32_e32 v4, v4, v7
	v_mul_lo_u32 v4, v4, s22
	v_add3_u32 v0, v5, v0, v2
	v_sub_u32_e32 v6, v6, v8
	v_mul_lo_u32 v6, v6, s23
	v_add3_u32 v0, v4, v0, v6
	s_cbranch_scc1 .LBB61_8
	s_branch .LBB61_12
.LBB61_9:
                                        ; implicit-def: $vgpr0
	s_branch .LBB61_16
.LBB61_10:
	v_mov_b32_e32 v0, 0
	s_branch .LBB61_15
.LBB61_11:
	v_mov_b32_e32 v0, 0
	s_mov_b32 s53, 0
	v_mov_b32_e32 v1, v3
.LBB61_12:
	s_and_b32 s4, s54, 3
	s_cmp_eq_u32 s4, 0
	s_cbranch_scc1 .LBB61_15
; %bb.13:
	s_lshl_b32 s0, s53, 2
	s_add_u32 s0, s24, s0
	s_addc_u32 s1, s25, 0
	s_add_u32 s0, s0, 0xc4
	s_addc_u32 s1, s1, 0
	s_mul_i32 s2, s53, 12
	s_add_u32 s2, s24, s2
	s_addc_u32 s3, s25, 0
.LBB61_14:                              ; =>This Inner Loop Header: Depth=1
	s_load_dwordx2 s[6:7], s[2:3], 0x4
	s_load_dword s5, s[2:3], 0xc
	s_add_u32 s2, s2, 12
	s_addc_u32 s3, s3, 0
	s_waitcnt lgkmcnt(0)
	v_mul_hi_u32 v2, s7, v1
	s_load_dword s7, s[0:1], 0x0
	s_add_u32 s0, s0, 4
	s_addc_u32 s1, s1, 0
	v_add_u32_e32 v2, v1, v2
	v_lshrrev_b32_e32 v2, s5, v2
	v_mul_lo_u32 v4, v2, s6
	s_add_i32 s4, s4, -1
	s_cmp_lg_u32 s4, 0
	v_sub_u32_e32 v1, v1, v4
	s_waitcnt lgkmcnt(0)
	v_mad_u64_u32 v[0:1], s[6:7], v1, s7, v[0:1]
	v_mov_b32_e32 v1, v2
	s_cbranch_scc1 .LBB61_14
.LBB61_15:
	s_cbranch_execnz .LBB61_18
.LBB61_16:
	s_waitcnt lgkmcnt(0)
	v_mul_hi_u32 v0, s13, v3
	s_andn2_b64 vcc, exec, s[38:39]
	v_add_u32_e32 v0, v3, v0
	v_lshrrev_b32_e32 v1, s14, v0
	v_mul_lo_u32 v0, v1, s12
	v_sub_u32_e32 v0, v3, v0
	v_mul_lo_u32 v0, v0, s36
	s_cbranch_vccnz .LBB61_18
; %bb.17:
	v_mul_hi_u32 v2, s34, v1
	v_add_u32_e32 v2, v1, v2
	v_lshrrev_b32_e32 v2, s35, v2
	v_mul_lo_u32 v2, v2, s15
	v_sub_u32_e32 v1, v1, v2
	v_mad_u64_u32 v[0:1], s[0:1], v1, s37, v[0:1]
.LBB61_18:
	s_waitcnt lgkmcnt(0)
	v_mov_b32_e32 v4, s10
	v_mov_b32_e32 v5, s11
	v_mov_b32_e32 v6, s28
	v_mov_b32_e32 v7, s29
	v_add_u32_e32 v3, 0x80, v3
	global_store_dwordx4 v0, v[4:7], s[8:9]
	s_or_b64 exec, exec, s[44:45]
	v_cmp_gt_i32_e32 vcc, s51, v3
	s_and_saveexec_b64 s[44:45], vcc
	s_cbranch_execz .LBB61_3
.LBB61_19:
	s_andn2_b64 vcc, exec, s[26:27]
	s_cbranch_vccnz .LBB61_24
; %bb.20:
	s_andn2_b64 vcc, exec, s[42:43]
	s_cbranch_vccnz .LBB61_25
; %bb.21:
	s_add_i32 s54, s52, 1
	s_cmp_eq_u32 s50, 2
	s_cbranch_scc1 .LBB61_26
; %bb.22:
	s_and_b32 s53, s54, 28
	s_mov_b32 s55, 0
	v_mov_b32_e32 v0, 0
	s_mov_b64 s[46:47], s[24:25]
	s_mov_b64 s[48:49], s[40:41]
	v_mov_b32_e32 v1, v3
.LBB61_23:                              ; =>This Inner Loop Header: Depth=1
	s_load_dwordx8 s[0:7], s[46:47], 0x4
	s_load_dwordx4 s[16:19], s[46:47], 0x24
	s_load_dwordx4 s[20:23], s[48:49], 0x0
	s_add_u32 s46, s46, 48
	s_addc_u32 s47, s47, 0
	s_waitcnt lgkmcnt(0)
	v_mul_hi_u32 v2, s1, v1
	s_add_i32 s55, s55, 4
	s_add_u32 s48, s48, 16
	s_addc_u32 s49, s49, 0
	v_add_u32_e32 v2, v1, v2
	v_lshrrev_b32_e32 v2, s2, v2
	v_mul_lo_u32 v4, v2, s0
	v_mul_hi_u32 v5, s4, v2
	s_cmp_eq_u32 s53, s55
	v_sub_u32_e32 v1, v1, v4
	v_add_u32_e32 v4, v2, v5
	v_lshrrev_b32_e32 v4, s5, v4
	v_mul_lo_u32 v5, v1, s20
	v_mul_hi_u32 v1, s7, v4
	v_mul_lo_u32 v7, v4, s3
	v_add_u32_e32 v1, v4, v1
	v_lshrrev_b32_e32 v6, s16, v1
	v_mul_hi_u32 v1, s18, v6
	v_sub_u32_e32 v2, v2, v7
	v_mul_lo_u32 v7, v6, s6
	v_mul_lo_u32 v2, v2, s21
	v_add_u32_e32 v1, v6, v1
	v_lshrrev_b32_e32 v1, s19, v1
	v_mul_lo_u32 v8, v1, s17
	v_sub_u32_e32 v4, v4, v7
	v_mul_lo_u32 v4, v4, s22
	v_add3_u32 v0, v5, v0, v2
	v_sub_u32_e32 v6, v6, v8
	v_mul_lo_u32 v6, v6, s23
	v_add3_u32 v0, v4, v0, v6
	s_cbranch_scc0 .LBB61_23
	s_branch .LBB61_27
.LBB61_24:
                                        ; implicit-def: $vgpr0
	s_branch .LBB61_31
.LBB61_25:
	v_mov_b32_e32 v0, 0
	s_branch .LBB61_30
.LBB61_26:
	v_mov_b32_e32 v0, 0
	s_mov_b32 s53, 0
	v_mov_b32_e32 v1, v3
.LBB61_27:
	s_and_b32 s4, s54, 3
	s_cmp_eq_u32 s4, 0
	s_cbranch_scc1 .LBB61_30
; %bb.28:
	s_lshl_b32 s0, s53, 2
	s_add_u32 s0, s24, s0
	s_addc_u32 s1, s25, 0
	s_add_u32 s0, s0, 0xc4
	s_addc_u32 s1, s1, 0
	s_mul_i32 s2, s53, 12
	s_add_u32 s2, s24, s2
	s_addc_u32 s3, s25, 0
.LBB61_29:                              ; =>This Inner Loop Header: Depth=1
	s_load_dwordx2 s[6:7], s[2:3], 0x4
	s_load_dword s5, s[2:3], 0xc
	s_add_u32 s2, s2, 12
	s_addc_u32 s3, s3, 0
	s_waitcnt lgkmcnt(0)
	v_mul_hi_u32 v2, s7, v1
	s_load_dword s7, s[0:1], 0x0
	s_add_u32 s0, s0, 4
	s_addc_u32 s1, s1, 0
	v_add_u32_e32 v2, v1, v2
	v_lshrrev_b32_e32 v2, s5, v2
	v_mul_lo_u32 v4, v2, s6
	s_add_i32 s4, s4, -1
	s_cmp_lg_u32 s4, 0
	v_sub_u32_e32 v1, v1, v4
	s_waitcnt lgkmcnt(0)
	v_mad_u64_u32 v[0:1], s[6:7], v1, s7, v[0:1]
	v_mov_b32_e32 v1, v2
	s_cbranch_scc1 .LBB61_29
.LBB61_30:
	s_cbranch_execnz .LBB61_33
.LBB61_31:
	s_waitcnt lgkmcnt(0)
	v_mul_hi_u32 v0, s13, v3
	s_andn2_b64 vcc, exec, s[38:39]
	v_add_u32_e32 v0, v3, v0
	v_lshrrev_b32_e32 v1, s14, v0
	v_mul_lo_u32 v0, v1, s12
	v_sub_u32_e32 v0, v3, v0
	v_mul_lo_u32 v0, v0, s36
	s_cbranch_vccnz .LBB61_33
; %bb.32:
	v_mul_hi_u32 v2, s34, v1
	v_add_u32_e32 v2, v1, v2
	v_lshrrev_b32_e32 v2, s35, v2
	v_mul_lo_u32 v2, v2, s15
	v_sub_u32_e32 v1, v1, v2
	v_mad_u64_u32 v[0:1], s[0:1], v1, s37, v[0:1]
.LBB61_33:
	s_waitcnt lgkmcnt(0)
	v_mov_b32_e32 v4, s10
	v_mov_b32_e32 v5, s11
	;; [unrolled: 1-line block ×4, first 2 shown]
	v_add_u32_e32 v3, 0x80, v3
	global_store_dwordx4 v0, v[4:7], s[8:9]
	s_or_b64 exec, exec, s[44:45]
	v_cmp_gt_i32_e32 vcc, s51, v3
	s_and_saveexec_b64 s[44:45], vcc
	s_cbranch_execz .LBB61_49
.LBB61_34:
	s_andn2_b64 vcc, exec, s[26:27]
	s_cbranch_vccnz .LBB61_39
; %bb.35:
	s_andn2_b64 vcc, exec, s[42:43]
	s_cbranch_vccnz .LBB61_40
; %bb.36:
	s_add_i32 s54, s52, 1
	s_cmp_eq_u32 s50, 2
	s_cbranch_scc1 .LBB61_41
; %bb.37:
	s_and_b32 s53, s54, 28
	s_mov_b32 s55, 0
	v_mov_b32_e32 v0, 0
	s_mov_b64 s[46:47], s[24:25]
	s_mov_b64 s[48:49], s[40:41]
	v_mov_b32_e32 v1, v3
.LBB61_38:                              ; =>This Inner Loop Header: Depth=1
	s_load_dwordx8 s[0:7], s[46:47], 0x4
	s_load_dwordx4 s[16:19], s[46:47], 0x24
	s_load_dwordx4 s[20:23], s[48:49], 0x0
	s_add_u32 s46, s46, 48
	s_addc_u32 s47, s47, 0
	s_waitcnt lgkmcnt(0)
	v_mul_hi_u32 v2, s1, v1
	s_add_i32 s55, s55, 4
	s_add_u32 s48, s48, 16
	s_addc_u32 s49, s49, 0
	v_add_u32_e32 v2, v1, v2
	v_lshrrev_b32_e32 v2, s2, v2
	v_mul_lo_u32 v4, v2, s0
	v_mul_hi_u32 v5, s4, v2
	s_cmp_eq_u32 s53, s55
	v_sub_u32_e32 v1, v1, v4
	v_add_u32_e32 v4, v2, v5
	v_lshrrev_b32_e32 v4, s5, v4
	v_mul_lo_u32 v5, v1, s20
	v_mul_hi_u32 v1, s7, v4
	v_mul_lo_u32 v7, v4, s3
	v_add_u32_e32 v1, v4, v1
	v_lshrrev_b32_e32 v6, s16, v1
	v_mul_hi_u32 v1, s18, v6
	v_sub_u32_e32 v2, v2, v7
	v_mul_lo_u32 v7, v6, s6
	v_mul_lo_u32 v2, v2, s21
	v_add_u32_e32 v1, v6, v1
	v_lshrrev_b32_e32 v1, s19, v1
	v_mul_lo_u32 v8, v1, s17
	v_sub_u32_e32 v4, v4, v7
	v_mul_lo_u32 v4, v4, s22
	v_add3_u32 v0, v5, v0, v2
	v_sub_u32_e32 v6, v6, v8
	v_mul_lo_u32 v6, v6, s23
	v_add3_u32 v0, v4, v0, v6
	s_cbranch_scc0 .LBB61_38
	s_branch .LBB61_42
.LBB61_39:
                                        ; implicit-def: $vgpr0
	s_branch .LBB61_46
.LBB61_40:
	v_mov_b32_e32 v0, 0
	s_branch .LBB61_45
.LBB61_41:
	v_mov_b32_e32 v0, 0
	s_mov_b32 s53, 0
	v_mov_b32_e32 v1, v3
.LBB61_42:
	s_and_b32 s4, s54, 3
	s_cmp_eq_u32 s4, 0
	s_cbranch_scc1 .LBB61_45
; %bb.43:
	s_lshl_b32 s0, s53, 2
	s_add_u32 s0, s24, s0
	s_addc_u32 s1, s25, 0
	s_add_u32 s0, s0, 0xc4
	s_addc_u32 s1, s1, 0
	s_mul_i32 s2, s53, 12
	s_add_u32 s2, s24, s2
	s_addc_u32 s3, s25, 0
.LBB61_44:                              ; =>This Inner Loop Header: Depth=1
	s_load_dwordx2 s[6:7], s[2:3], 0x4
	s_load_dword s5, s[2:3], 0xc
	s_add_u32 s2, s2, 12
	s_addc_u32 s3, s3, 0
	s_waitcnt lgkmcnt(0)
	v_mul_hi_u32 v2, s7, v1
	s_load_dword s7, s[0:1], 0x0
	s_add_u32 s0, s0, 4
	s_addc_u32 s1, s1, 0
	v_add_u32_e32 v2, v1, v2
	v_lshrrev_b32_e32 v2, s5, v2
	v_mul_lo_u32 v4, v2, s6
	s_add_i32 s4, s4, -1
	s_cmp_lg_u32 s4, 0
	v_sub_u32_e32 v1, v1, v4
	s_waitcnt lgkmcnt(0)
	v_mad_u64_u32 v[0:1], s[6:7], v1, s7, v[0:1]
	v_mov_b32_e32 v1, v2
	s_cbranch_scc1 .LBB61_44
.LBB61_45:
	s_cbranch_execnz .LBB61_48
.LBB61_46:
	s_waitcnt lgkmcnt(0)
	v_mul_hi_u32 v0, s13, v3
	s_andn2_b64 vcc, exec, s[38:39]
	v_add_u32_e32 v0, v3, v0
	v_lshrrev_b32_e32 v1, s14, v0
	v_mul_lo_u32 v0, v1, s12
	v_sub_u32_e32 v0, v3, v0
	v_mul_lo_u32 v0, v0, s36
	s_cbranch_vccnz .LBB61_48
; %bb.47:
	v_mul_hi_u32 v2, s34, v1
	v_add_u32_e32 v2, v1, v2
	v_lshrrev_b32_e32 v2, s35, v2
	v_mul_lo_u32 v2, v2, s15
	v_sub_u32_e32 v1, v1, v2
	v_mad_u64_u32 v[0:1], s[0:1], v1, s37, v[0:1]
.LBB61_48:
	s_waitcnt lgkmcnt(0)
	v_mov_b32_e32 v4, s10
	v_mov_b32_e32 v5, s11
	;; [unrolled: 1-line block ×4, first 2 shown]
	v_add_u32_e32 v3, 0x80, v3
	global_store_dwordx4 v0, v[4:7], s[8:9]
.LBB61_49:
	s_or_b64 exec, exec, s[44:45]
	v_cmp_gt_i32_e32 vcc, s51, v3
	s_mov_b64 s[0:1], 0
                                        ; implicit-def: $vgpr4_vgpr5
	s_and_saveexec_b64 s[44:45], vcc
	s_cbranch_execz .LBB61_65
; %bb.50:
	s_andn2_b64 vcc, exec, s[26:27]
	s_cbranch_vccnz .LBB61_55
; %bb.51:
	s_andn2_b64 vcc, exec, s[42:43]
	s_cbranch_vccnz .LBB61_56
; %bb.52:
	s_add_i32 s52, s52, 1
	s_cmp_eq_u32 s50, 2
	s_cbranch_scc1 .LBB61_57
; %bb.53:
	s_and_b32 s46, s52, 28
	s_mov_b32 s47, 0
	v_mov_b32_e32 v0, 0
	s_mov_b64 s[42:43], s[24:25]
	v_mov_b32_e32 v1, v3
.LBB61_54:                              ; =>This Inner Loop Header: Depth=1
	s_load_dwordx8 s[0:7], s[42:43], 0x4
	s_load_dwordx4 s[16:19], s[42:43], 0x24
	s_load_dwordx4 s[20:23], s[40:41], 0x0
	s_add_u32 s42, s42, 48
	s_addc_u32 s43, s43, 0
	s_waitcnt lgkmcnt(0)
	v_mul_hi_u32 v2, s1, v1
	s_add_i32 s47, s47, 4
	s_add_u32 s40, s40, 16
	s_addc_u32 s41, s41, 0
	v_add_u32_e32 v2, v1, v2
	v_lshrrev_b32_e32 v2, s2, v2
	v_mul_lo_u32 v4, v2, s0
	v_mul_hi_u32 v5, s4, v2
	s_cmp_eq_u32 s46, s47
	v_sub_u32_e32 v1, v1, v4
	v_add_u32_e32 v4, v2, v5
	v_lshrrev_b32_e32 v4, s5, v4
	v_mul_lo_u32 v5, v1, s20
	v_mul_hi_u32 v1, s7, v4
	v_mul_lo_u32 v7, v4, s3
	v_add_u32_e32 v1, v4, v1
	v_lshrrev_b32_e32 v6, s16, v1
	v_mul_hi_u32 v1, s18, v6
	v_sub_u32_e32 v2, v2, v7
	v_mul_lo_u32 v7, v6, s6
	v_mul_lo_u32 v2, v2, s21
	v_add_u32_e32 v1, v6, v1
	v_lshrrev_b32_e32 v1, s19, v1
	v_mul_lo_u32 v8, v1, s17
	v_sub_u32_e32 v4, v4, v7
	v_mul_lo_u32 v4, v4, s22
	v_add3_u32 v0, v5, v0, v2
	v_sub_u32_e32 v6, v6, v8
	v_mul_lo_u32 v6, v6, s23
	v_add3_u32 v0, v4, v0, v6
	s_cbranch_scc0 .LBB61_54
	s_branch .LBB61_58
.LBB61_55:
                                        ; implicit-def: $vgpr0
	s_branch .LBB61_62
.LBB61_56:
	v_mov_b32_e32 v0, 0
	s_branch .LBB61_61
.LBB61_57:
	v_mov_b32_e32 v0, 0
	s_mov_b32 s46, 0
	v_mov_b32_e32 v1, v3
.LBB61_58:
	s_and_b32 s4, s52, 3
	s_cmp_eq_u32 s4, 0
	s_cbranch_scc1 .LBB61_61
; %bb.59:
	s_lshl_b32 s0, s46, 2
	s_add_u32 s0, s24, s0
	s_addc_u32 s1, s25, 0
	s_add_u32 s0, s0, 0xc4
	s_addc_u32 s1, s1, 0
	s_mul_i32 s2, s46, 12
	s_add_u32 s2, s24, s2
	s_addc_u32 s3, s25, 0
.LBB61_60:                              ; =>This Inner Loop Header: Depth=1
	s_load_dwordx2 s[6:7], s[2:3], 0x4
	s_load_dword s5, s[2:3], 0xc
	s_add_u32 s2, s2, 12
	s_addc_u32 s3, s3, 0
	s_waitcnt lgkmcnt(0)
	v_mul_hi_u32 v2, s7, v1
	s_load_dword s7, s[0:1], 0x0
	s_add_u32 s0, s0, 4
	s_addc_u32 s1, s1, 0
	v_add_u32_e32 v2, v1, v2
	v_lshrrev_b32_e32 v2, s5, v2
	v_mul_lo_u32 v4, v2, s6
	s_add_i32 s4, s4, -1
	s_cmp_lg_u32 s4, 0
	v_sub_u32_e32 v1, v1, v4
	s_waitcnt lgkmcnt(0)
	v_mad_u64_u32 v[0:1], s[6:7], v1, s7, v[0:1]
	v_mov_b32_e32 v1, v2
	s_cbranch_scc1 .LBB61_60
.LBB61_61:
	s_cbranch_execnz .LBB61_64
.LBB61_62:
	s_waitcnt lgkmcnt(0)
	v_mul_hi_u32 v0, s13, v3
	s_andn2_b64 vcc, exec, s[38:39]
	v_add_u32_e32 v0, v3, v0
	v_lshrrev_b32_e32 v1, s14, v0
	v_mul_lo_u32 v0, v1, s12
	v_sub_u32_e32 v0, v3, v0
	v_mul_lo_u32 v0, v0, s36
	s_cbranch_vccnz .LBB61_64
; %bb.63:
	v_mul_hi_u32 v2, s34, v1
	v_add_u32_e32 v2, v1, v2
	v_lshrrev_b32_e32 v2, s35, v2
	v_mul_lo_u32 v2, v2, s15
	v_sub_u32_e32 v1, v1, v2
	v_mad_u64_u32 v[0:1], s[0:1], v1, s37, v[0:1]
.LBB61_64:
	s_waitcnt lgkmcnt(0)
	v_mov_b32_e32 v1, s9
	v_add_co_u32_e32 v4, vcc, s8, v0
	v_addc_co_u32_e32 v5, vcc, 0, v1, vcc
	v_mov_b32_e32 v1, s10
	s_mov_b64 s[0:1], exec
	v_mov_b32_e32 v2, s11
	global_store_dwordx2 v0, v[1:2], s[8:9]
.LBB61_65:
	s_or_b64 exec, exec, s[44:45]
	s_and_b64 s[20:21], s[0:1], exec
                                        ; implicit-def: $vgpr6
                                        ; implicit-def: $vgpr3
.LBB61_66:
	s_or_saveexec_b64 s[22:23], s[30:31]
	s_waitcnt lgkmcnt(0)
	v_mov_b32_e32 v0, s28
	v_mov_b32_e32 v1, s29
	s_xor_b64 exec, exec, s[22:23]
	s_cbranch_execnz .LBB61_69
; %bb.67:
	s_or_b64 exec, exec, s[22:23]
	s_and_saveexec_b64 s[0:1], s[20:21]
	s_cbranch_execnz .LBB61_126
.LBB61_68:
	s_endpgm
.LBB61_69:
	v_cndmask_b32_e64 v0, 0, 1, s[26:27]
	v_cmp_ne_u32_e64 s[0:1], 1, v0
	s_andn2_b64 vcc, exec, s[26:27]
	s_cbranch_vccnz .LBB61_75
; %bb.70:
	s_cmp_lg_u32 s33, 0
	s_mov_b32 s28, 0
	s_cbranch_scc0 .LBB61_76
; %bb.71:
	s_min_u32 s29, s50, 15
	s_add_i32 s29, s29, 1
	s_cmp_eq_u32 s50, 2
	s_cbranch_scc1 .LBB61_77
; %bb.72:
	s_and_b32 s28, s29, 28
	s_add_u32 s2, s24, 0xc4
	s_addc_u32 s3, s25, 0
	s_mov_b32 s30, 0
	v_mov_b32_e32 v0, 0
	s_mov_b64 s[26:27], s[24:25]
	v_mov_b32_e32 v1, v3
.LBB61_73:                              ; =>This Inner Loop Header: Depth=1
	s_load_dwordx8 s[4:11], s[26:27], 0x4
	s_load_dwordx4 s[12:15], s[26:27], 0x24
	s_load_dwordx4 s[16:19], s[2:3], 0x0
	s_add_u32 s26, s26, 48
	s_addc_u32 s27, s27, 0
	s_waitcnt lgkmcnt(0)
	v_mul_hi_u32 v2, s5, v1
	s_add_i32 s30, s30, 4
	s_add_u32 s2, s2, 16
	s_addc_u32 s3, s3, 0
	v_add_u32_e32 v2, v1, v2
	v_lshrrev_b32_e32 v2, s6, v2
	v_mul_lo_u32 v4, v2, s4
	v_mul_hi_u32 v5, s8, v2
	s_cmp_lg_u32 s28, s30
	v_sub_u32_e32 v1, v1, v4
	v_add_u32_e32 v4, v2, v5
	v_lshrrev_b32_e32 v4, s9, v4
	v_mul_lo_u32 v5, v1, s16
	v_mul_hi_u32 v1, s11, v4
	v_mul_lo_u32 v8, v4, s7
	v_add_u32_e32 v1, v4, v1
	v_lshrrev_b32_e32 v7, s12, v1
	v_mul_hi_u32 v1, s14, v7
	v_sub_u32_e32 v2, v2, v8
	v_mul_lo_u32 v8, v7, s10
	v_mul_lo_u32 v2, v2, s17
	v_add_u32_e32 v1, v7, v1
	v_lshrrev_b32_e32 v1, s15, v1
	v_mul_lo_u32 v9, v1, s13
	v_sub_u32_e32 v4, v4, v8
	v_mul_lo_u32 v4, v4, s18
	v_add3_u32 v0, v5, v0, v2
	v_sub_u32_e32 v7, v7, v9
	v_mul_lo_u32 v7, v7, s19
	v_add3_u32 v0, v4, v0, v7
	s_cbranch_scc1 .LBB61_73
; %bb.74:
	s_and_b32 s6, s29, 3
	s_cmp_eq_u32 s6, 0
	s_cbranch_scc0 .LBB61_78
	s_branch .LBB61_80
.LBB61_75:
                                        ; implicit-def: $vgpr0
	s_branch .LBB61_81
.LBB61_76:
	v_mov_b32_e32 v0, 0
	s_branch .LBB61_80
.LBB61_77:
	v_mov_b32_e32 v0, 0
	v_mov_b32_e32 v1, v3
	s_and_b32 s6, s29, 3
	s_cmp_eq_u32 s6, 0
	s_cbranch_scc1 .LBB61_80
.LBB61_78:
	s_lshl_b32 s2, s28, 2
	s_add_u32 s2, s24, s2
	s_addc_u32 s3, s25, 0
	s_add_u32 s2, s2, 0xc4
	s_addc_u32 s3, s3, 0
	s_mul_i32 s4, s28, 12
	s_add_u32 s4, s24, s4
	s_addc_u32 s5, s25, 0
.LBB61_79:                              ; =>This Inner Loop Header: Depth=1
	s_load_dwordx2 s[8:9], s[4:5], 0x4
	s_load_dword s7, s[4:5], 0xc
	s_add_u32 s4, s4, 12
	s_addc_u32 s5, s5, 0
	s_waitcnt lgkmcnt(0)
	v_mul_hi_u32 v2, s9, v1
	s_load_dword s9, s[2:3], 0x0
	s_add_u32 s2, s2, 4
	s_addc_u32 s3, s3, 0
	v_add_u32_e32 v2, v1, v2
	v_lshrrev_b32_e32 v2, s7, v2
	v_mul_lo_u32 v4, v2, s8
	s_add_i32 s6, s6, -1
	s_cmp_lg_u32 s6, 0
	v_sub_u32_e32 v1, v1, v4
	s_waitcnt lgkmcnt(0)
	v_mad_u64_u32 v[0:1], s[8:9], v1, s9, v[0:1]
	v_mov_b32_e32 v1, v2
	s_cbranch_scc1 .LBB61_79
.LBB61_80:
	s_cbranch_execnz .LBB61_83
.LBB61_81:
	s_load_dwordx4 s[4:7], s[24:25], 0x4
	s_load_dword s2, s[24:25], 0xc4
	s_cmp_lt_u32 s33, 2
	s_waitcnt lgkmcnt(0)
	v_mul_hi_u32 v0, s5, v3
	v_add_u32_e32 v0, v3, v0
	v_lshrrev_b32_e32 v1, s6, v0
	v_mul_lo_u32 v0, v1, s4
	v_sub_u32_e32 v0, v3, v0
	v_mul_lo_u32 v0, v0, s2
	s_cbranch_scc1 .LBB61_83
; %bb.82:
	s_load_dwordx4 s[4:7], s[24:25], 0x10
	s_load_dword s2, s[24:25], 0xc8
	s_waitcnt lgkmcnt(0)
	v_mul_hi_u32 v2, s5, v1
	v_add_u32_e32 v2, v1, v2
	v_lshrrev_b32_e32 v2, s6, v2
	v_mul_lo_u32 v2, v2, s4
	v_sub_u32_e32 v1, v1, v2
	v_mad_u64_u32 v[0:1], s[2:3], v1, s2, v[0:1]
.LBB61_83:
	s_and_b64 vcc, exec, s[0:1]
	v_add_u32_e32 v4, 0x80, v3
	s_cbranch_vccnz .LBB61_89
; %bb.84:
	s_cmp_lg_u32 s33, 0
	s_mov_b32 s28, 0
	s_cbranch_scc0 .LBB61_90
; %bb.85:
	s_min_u32 s29, s50, 15
	s_add_i32 s29, s29, 1
	s_cmp_eq_u32 s50, 2
	s_cbranch_scc1 .LBB61_91
; %bb.86:
	s_and_b32 s28, s29, 28
	s_add_u32 s2, s24, 0xc4
	s_addc_u32 s3, s25, 0
	s_mov_b32 s30, 0
	v_mov_b32_e32 v1, 0
	s_mov_b64 s[26:27], s[24:25]
	v_mov_b32_e32 v2, v4
.LBB61_87:                              ; =>This Inner Loop Header: Depth=1
	s_load_dwordx8 s[4:11], s[26:27], 0x4
	s_load_dwordx4 s[12:15], s[26:27], 0x24
	s_load_dwordx4 s[16:19], s[2:3], 0x0
	s_add_u32 s26, s26, 48
	s_addc_u32 s27, s27, 0
	s_waitcnt lgkmcnt(0)
	v_mul_hi_u32 v5, s5, v2
	s_add_i32 s30, s30, 4
	s_add_u32 s2, s2, 16
	s_addc_u32 s3, s3, 0
	v_add_u32_e32 v5, v2, v5
	v_lshrrev_b32_e32 v5, s6, v5
	v_mul_lo_u32 v7, v5, s4
	v_mul_hi_u32 v8, s8, v5
	s_cmp_lg_u32 s28, s30
	v_sub_u32_e32 v2, v2, v7
	v_add_u32_e32 v7, v5, v8
	v_lshrrev_b32_e32 v7, s9, v7
	v_mul_lo_u32 v8, v2, s16
	v_mul_hi_u32 v2, s11, v7
	v_mul_lo_u32 v10, v7, s7
	v_add_u32_e32 v2, v7, v2
	v_lshrrev_b32_e32 v9, s12, v2
	v_mul_hi_u32 v2, s14, v9
	v_sub_u32_e32 v5, v5, v10
	v_mul_lo_u32 v10, v9, s10
	v_mul_lo_u32 v5, v5, s17
	v_add_u32_e32 v2, v9, v2
	v_lshrrev_b32_e32 v2, s15, v2
	v_mul_lo_u32 v11, v2, s13
	v_sub_u32_e32 v7, v7, v10
	v_mul_lo_u32 v7, v7, s18
	v_add3_u32 v1, v8, v1, v5
	v_sub_u32_e32 v9, v9, v11
	v_mul_lo_u32 v9, v9, s19
	v_add3_u32 v1, v7, v1, v9
	s_cbranch_scc1 .LBB61_87
; %bb.88:
	s_and_b32 s6, s29, 3
	s_cmp_eq_u32 s6, 0
	s_cbranch_scc0 .LBB61_92
	s_branch .LBB61_94
.LBB61_89:
                                        ; implicit-def: $vgpr1
	s_branch .LBB61_95
.LBB61_90:
	v_mov_b32_e32 v1, 0
	s_branch .LBB61_94
.LBB61_91:
	v_mov_b32_e32 v1, 0
	v_mov_b32_e32 v2, v4
	s_and_b32 s6, s29, 3
	s_cmp_eq_u32 s6, 0
	s_cbranch_scc1 .LBB61_94
.LBB61_92:
	s_lshl_b32 s2, s28, 2
	s_add_u32 s2, s24, s2
	s_addc_u32 s3, s25, 0
	s_add_u32 s2, s2, 0xc4
	s_addc_u32 s3, s3, 0
	s_mul_i32 s4, s28, 12
	s_add_u32 s4, s24, s4
	s_addc_u32 s5, s25, 0
.LBB61_93:                              ; =>This Inner Loop Header: Depth=1
	s_load_dwordx2 s[8:9], s[4:5], 0x4
	s_load_dword s7, s[4:5], 0xc
	s_add_u32 s4, s4, 12
	s_addc_u32 s5, s5, 0
	s_waitcnt lgkmcnt(0)
	v_mul_hi_u32 v5, s9, v2
	s_load_dword s9, s[2:3], 0x0
	s_add_u32 s2, s2, 4
	s_addc_u32 s3, s3, 0
	v_add_u32_e32 v5, v2, v5
	v_lshrrev_b32_e32 v5, s7, v5
	v_mul_lo_u32 v7, v5, s8
	s_add_i32 s6, s6, -1
	s_cmp_lg_u32 s6, 0
	v_sub_u32_e32 v2, v2, v7
	s_waitcnt lgkmcnt(0)
	v_mad_u64_u32 v[1:2], s[8:9], v2, s9, v[1:2]
	v_mov_b32_e32 v2, v5
	s_cbranch_scc1 .LBB61_93
.LBB61_94:
	s_cbranch_execnz .LBB61_97
.LBB61_95:
	s_load_dwordx4 s[4:7], s[24:25], 0x4
	s_load_dword s2, s[24:25], 0xc4
	s_cmp_lt_u32 s33, 2
	s_waitcnt lgkmcnt(0)
	v_mul_hi_u32 v1, s5, v4
	v_add_u32_e32 v1, v4, v1
	v_lshrrev_b32_e32 v2, s6, v1
	v_mul_lo_u32 v1, v2, s4
	v_sub_u32_e32 v1, v4, v1
	v_mul_lo_u32 v1, v1, s2
	s_cbranch_scc1 .LBB61_97
; %bb.96:
	s_load_dwordx4 s[4:7], s[24:25], 0x10
	s_load_dword s2, s[24:25], 0xc8
	s_waitcnt lgkmcnt(0)
	v_mul_hi_u32 v4, s5, v2
	v_add_u32_e32 v4, v2, v4
	v_lshrrev_b32_e32 v4, s6, v4
	v_mul_lo_u32 v4, v4, s4
	v_sub_u32_e32 v2, v2, v4
	v_mad_u64_u32 v[1:2], s[2:3], v2, s2, v[1:2]
.LBB61_97:
	s_and_b64 vcc, exec, s[0:1]
	v_add_u32_e32 v4, 0x100, v3
	s_cbranch_vccnz .LBB61_103
; %bb.98:
	s_cmp_lg_u32 s33, 0
	s_mov_b32 s28, 0
	s_cbranch_scc0 .LBB61_104
; %bb.99:
	s_min_u32 s29, s50, 15
	s_add_i32 s29, s29, 1
	s_cmp_eq_u32 s50, 2
	s_cbranch_scc1 .LBB61_105
; %bb.100:
	s_and_b32 s28, s29, 28
	s_add_u32 s2, s24, 0xc4
	s_addc_u32 s3, s25, 0
	s_mov_b32 s30, 0
	v_mov_b32_e32 v2, 0
	s_mov_b64 s[26:27], s[24:25]
	v_mov_b32_e32 v3, v4
.LBB61_101:                             ; =>This Inner Loop Header: Depth=1
	s_load_dwordx8 s[4:11], s[26:27], 0x4
	s_load_dwordx4 s[12:15], s[26:27], 0x24
	s_load_dwordx4 s[16:19], s[2:3], 0x0
	s_add_u32 s26, s26, 48
	s_addc_u32 s27, s27, 0
	s_waitcnt lgkmcnt(0)
	v_mul_hi_u32 v5, s5, v3
	s_add_i32 s30, s30, 4
	s_add_u32 s2, s2, 16
	s_addc_u32 s3, s3, 0
	v_add_u32_e32 v5, v3, v5
	v_lshrrev_b32_e32 v5, s6, v5
	v_mul_lo_u32 v7, v5, s4
	v_mul_hi_u32 v8, s8, v5
	s_cmp_lg_u32 s28, s30
	v_sub_u32_e32 v3, v3, v7
	v_add_u32_e32 v7, v5, v8
	v_lshrrev_b32_e32 v7, s9, v7
	v_mul_lo_u32 v8, v3, s16
	v_mul_hi_u32 v3, s11, v7
	v_mul_lo_u32 v10, v7, s7
	v_add_u32_e32 v3, v7, v3
	v_lshrrev_b32_e32 v9, s12, v3
	v_mul_hi_u32 v3, s14, v9
	v_sub_u32_e32 v5, v5, v10
	v_mul_lo_u32 v10, v9, s10
	v_mul_lo_u32 v5, v5, s17
	v_add_u32_e32 v3, v9, v3
	v_lshrrev_b32_e32 v3, s15, v3
	v_mul_lo_u32 v11, v3, s13
	v_sub_u32_e32 v7, v7, v10
	v_mul_lo_u32 v7, v7, s18
	v_add3_u32 v2, v8, v2, v5
	v_sub_u32_e32 v9, v9, v11
	v_mul_lo_u32 v9, v9, s19
	v_add3_u32 v2, v7, v2, v9
	s_cbranch_scc1 .LBB61_101
; %bb.102:
	s_and_b32 s6, s29, 3
	s_cmp_eq_u32 s6, 0
	s_cbranch_scc0 .LBB61_106
	s_branch .LBB61_108
.LBB61_103:
                                        ; implicit-def: $vgpr2
	s_branch .LBB61_109
.LBB61_104:
	v_mov_b32_e32 v2, 0
	s_branch .LBB61_108
.LBB61_105:
	v_mov_b32_e32 v2, 0
	v_mov_b32_e32 v3, v4
	s_and_b32 s6, s29, 3
	s_cmp_eq_u32 s6, 0
	s_cbranch_scc1 .LBB61_108
.LBB61_106:
	s_lshl_b32 s2, s28, 2
	s_add_u32 s2, s24, s2
	s_addc_u32 s3, s25, 0
	s_add_u32 s2, s2, 0xc4
	s_addc_u32 s3, s3, 0
	s_mul_i32 s4, s28, 12
	s_add_u32 s4, s24, s4
	s_addc_u32 s5, s25, 0
.LBB61_107:                             ; =>This Inner Loop Header: Depth=1
	s_load_dwordx2 s[8:9], s[4:5], 0x4
	s_load_dword s7, s[4:5], 0xc
	s_add_u32 s4, s4, 12
	s_addc_u32 s5, s5, 0
	s_waitcnt lgkmcnt(0)
	v_mul_hi_u32 v5, s9, v3
	s_load_dword s9, s[2:3], 0x0
	s_add_u32 s2, s2, 4
	s_addc_u32 s3, s3, 0
	v_add_u32_e32 v5, v3, v5
	v_lshrrev_b32_e32 v5, s7, v5
	v_mul_lo_u32 v7, v5, s8
	s_add_i32 s6, s6, -1
	s_cmp_lg_u32 s6, 0
	v_sub_u32_e32 v3, v3, v7
	s_waitcnt lgkmcnt(0)
	v_mad_u64_u32 v[2:3], s[8:9], v3, s9, v[2:3]
	v_mov_b32_e32 v3, v5
	s_cbranch_scc1 .LBB61_107
.LBB61_108:
	s_cbranch_execnz .LBB61_111
.LBB61_109:
	s_load_dwordx4 s[4:7], s[24:25], 0x4
	s_load_dword s2, s[24:25], 0xc4
	s_cmp_lt_u32 s33, 2
	s_waitcnt lgkmcnt(0)
	v_mul_hi_u32 v2, s5, v4
	v_add_u32_e32 v2, v4, v2
	v_lshrrev_b32_e32 v3, s6, v2
	v_mul_lo_u32 v2, v3, s4
	v_sub_u32_e32 v2, v4, v2
	v_mul_lo_u32 v2, v2, s2
	s_cbranch_scc1 .LBB61_111
; %bb.110:
	s_load_dwordx4 s[4:7], s[24:25], 0x10
	s_load_dword s2, s[24:25], 0xc8
	s_waitcnt lgkmcnt(0)
	v_mul_hi_u32 v4, s5, v3
	v_add_u32_e32 v4, v3, v4
	v_lshrrev_b32_e32 v4, s6, v4
	v_mul_lo_u32 v4, v4, s4
	v_sub_u32_e32 v3, v3, v4
	v_mad_u64_u32 v[2:3], s[2:3], v3, s2, v[2:3]
.LBB61_111:
	s_and_b64 vcc, exec, s[0:1]
	s_cbranch_vccnz .LBB61_117
; %bb.112:
	s_cmp_lg_u32 s33, 0
	s_mov_b32 s26, 0
	s_cbranch_scc0 .LBB61_118
; %bb.113:
	s_min_u32 s27, s50, 15
	s_add_i32 s27, s27, 1
	s_cmp_eq_u32 s50, 2
	s_cbranch_scc1 .LBB61_119
; %bb.114:
	s_and_b32 s26, s27, 28
	s_add_u32 s16, s24, 0xc4
	s_addc_u32 s17, s25, 0
	s_mov_b32 s28, 0
	v_mov_b32_e32 v3, 0
	s_mov_b64 s[18:19], s[24:25]
	v_mov_b32_e32 v4, v6
.LBB61_115:                             ; =>This Inner Loop Header: Depth=1
	s_load_dwordx8 s[0:7], s[18:19], 0x4
	s_load_dwordx4 s[8:11], s[18:19], 0x24
	s_load_dwordx4 s[12:15], s[16:17], 0x0
	s_add_u32 s18, s18, 48
	s_addc_u32 s19, s19, 0
	s_waitcnt lgkmcnt(0)
	v_mul_hi_u32 v5, s1, v4
	s_add_i32 s28, s28, 4
	s_add_u32 s16, s16, 16
	s_addc_u32 s17, s17, 0
	v_add_u32_e32 v5, v4, v5
	v_lshrrev_b32_e32 v5, s2, v5
	v_mul_lo_u32 v7, v5, s0
	v_mul_hi_u32 v8, s4, v5
	s_cmp_lg_u32 s26, s28
	v_sub_u32_e32 v4, v4, v7
	v_add_u32_e32 v7, v5, v8
	v_lshrrev_b32_e32 v7, s5, v7
	v_mul_lo_u32 v8, v4, s12
	v_mul_hi_u32 v4, s7, v7
	v_mul_lo_u32 v10, v7, s3
	v_add_u32_e32 v4, v7, v4
	v_lshrrev_b32_e32 v9, s8, v4
	v_mul_hi_u32 v4, s10, v9
	v_sub_u32_e32 v5, v5, v10
	v_mul_lo_u32 v10, v9, s6
	v_mul_lo_u32 v5, v5, s13
	v_add_u32_e32 v4, v9, v4
	v_lshrrev_b32_e32 v4, s11, v4
	v_mul_lo_u32 v11, v4, s9
	v_sub_u32_e32 v7, v7, v10
	v_mul_lo_u32 v7, v7, s14
	v_add3_u32 v3, v8, v3, v5
	v_sub_u32_e32 v9, v9, v11
	v_mul_lo_u32 v9, v9, s15
	v_add3_u32 v3, v7, v3, v9
	s_cbranch_scc1 .LBB61_115
; %bb.116:
	s_and_b32 s4, s27, 3
	s_cmp_eq_u32 s4, 0
	s_cbranch_scc0 .LBB61_120
	s_branch .LBB61_122
.LBB61_117:
                                        ; implicit-def: $vgpr3
	s_branch .LBB61_123
.LBB61_118:
	v_mov_b32_e32 v3, 0
	s_branch .LBB61_122
.LBB61_119:
	v_mov_b32_e32 v3, 0
	v_mov_b32_e32 v4, v6
	s_and_b32 s4, s27, 3
	s_cmp_eq_u32 s4, 0
	s_cbranch_scc1 .LBB61_122
.LBB61_120:
	s_lshl_b32 s0, s26, 2
	s_add_u32 s0, s24, s0
	s_addc_u32 s1, s25, 0
	s_add_u32 s0, s0, 0xc4
	s_addc_u32 s1, s1, 0
	s_mul_i32 s2, s26, 12
	s_add_u32 s2, s24, s2
	s_addc_u32 s3, s25, 0
.LBB61_121:                             ; =>This Inner Loop Header: Depth=1
	s_load_dwordx2 s[6:7], s[2:3], 0x4
	s_load_dword s5, s[2:3], 0xc
	s_add_u32 s2, s2, 12
	s_addc_u32 s3, s3, 0
	s_waitcnt lgkmcnt(0)
	v_mul_hi_u32 v5, s7, v4
	s_load_dword s7, s[0:1], 0x0
	s_add_u32 s0, s0, 4
	s_addc_u32 s1, s1, 0
	v_add_u32_e32 v5, v4, v5
	v_lshrrev_b32_e32 v5, s5, v5
	v_mul_lo_u32 v7, v5, s6
	s_add_i32 s4, s4, -1
	s_cmp_lg_u32 s4, 0
	v_sub_u32_e32 v4, v4, v7
	s_waitcnt lgkmcnt(0)
	v_mad_u64_u32 v[3:4], s[6:7], v4, s7, v[3:4]
	v_mov_b32_e32 v4, v5
	s_cbranch_scc1 .LBB61_121
.LBB61_122:
	s_cbranch_execnz .LBB61_125
.LBB61_123:
	s_load_dwordx4 s[0:3], s[24:25], 0x4
	s_waitcnt lgkmcnt(0)
	s_load_dword s3, s[24:25], 0xc4
	s_cmp_lt_u32 s33, 2
	v_mul_hi_u32 v3, s1, v6
	v_add_u32_e32 v3, v6, v3
	v_lshrrev_b32_e32 v4, s2, v3
	v_mul_lo_u32 v3, v4, s0
	v_sub_u32_e32 v3, v6, v3
	s_waitcnt lgkmcnt(0)
	v_mul_lo_u32 v3, v3, s3
	s_cbranch_scc1 .LBB61_125
; %bb.124:
	s_load_dwordx4 s[0:3], s[24:25], 0x10
	s_waitcnt lgkmcnt(0)
	s_load_dword s3, s[24:25], 0xc8
	v_mul_hi_u32 v5, s1, v4
	v_add_u32_e32 v5, v4, v5
	v_lshrrev_b32_e32 v5, s2, v5
	v_mul_lo_u32 v5, v5, s0
	v_sub_u32_e32 v4, v4, v5
	s_waitcnt lgkmcnt(0)
	v_mad_u64_u32 v[3:4], s[0:1], v4, s3, v[3:4]
.LBB61_125:
	s_load_dwordx4 s[0:3], s[24:25], 0x108
	s_load_dwordx2 s[6:7], s[24:25], 0x118
	s_or_b64 s[20:21], s[20:21], exec
	s_waitcnt lgkmcnt(0)
	s_mov_b32 s4, s2
	s_mov_b32 s5, s3
	v_mov_b32_e32 v9, s7
	v_mov_b32_e32 v8, s6
	v_mov_b32_e32 v7, s5
	v_mov_b32_e32 v6, s4
	v_mov_b32_e32 v10, s2
	v_mov_b32_e32 v11, s3
	v_mov_b32_e32 v5, s1
	v_add_co_u32_e32 v4, vcc, s0, v3
	global_store_dwordx4 v0, v[6:9], s[0:1]
	global_store_dwordx4 v1, v[6:9], s[0:1]
	;; [unrolled: 1-line block ×3, first 2 shown]
	global_store_dwordx2 v3, v[10:11], s[0:1]
	v_mov_b32_e32 v0, s6
	v_addc_co_u32_e32 v5, vcc, 0, v5, vcc
	v_mov_b32_e32 v1, s7
	s_or_b64 exec, exec, s[22:23]
	s_and_saveexec_b64 s[0:1], s[20:21]
	s_cbranch_execz .LBB61_68
.LBB61_126:
	global_store_dwordx2 v[4:5], v[0:1], off offset:8
	s_endpgm
	.section	.rodata,"a",@progbits
	.p2align	6, 0x0
	.amdhsa_kernel _ZN2at6native32elementwise_kernel_manual_unrollILi128ELi4EZNS0_22gpu_kernel_impl_nocastINS0_11FillFunctorIN3c107complexIdEEEEEEvRNS_18TensorIteratorBaseERKT_EUlibE_EEviT1_
		.amdhsa_group_segment_fixed_size 0
		.amdhsa_private_segment_fixed_size 0
		.amdhsa_kernarg_size 304
		.amdhsa_user_sgpr_count 6
		.amdhsa_user_sgpr_private_segment_buffer 1
		.amdhsa_user_sgpr_dispatch_ptr 0
		.amdhsa_user_sgpr_queue_ptr 0
		.amdhsa_user_sgpr_kernarg_segment_ptr 1
		.amdhsa_user_sgpr_dispatch_id 0
		.amdhsa_user_sgpr_flat_scratch_init 0
		.amdhsa_user_sgpr_private_segment_size 0
		.amdhsa_uses_dynamic_stack 0
		.amdhsa_system_sgpr_private_segment_wavefront_offset 0
		.amdhsa_system_sgpr_workgroup_id_x 1
		.amdhsa_system_sgpr_workgroup_id_y 0
		.amdhsa_system_sgpr_workgroup_id_z 0
		.amdhsa_system_sgpr_workgroup_info 0
		.amdhsa_system_vgpr_workitem_id 0
		.amdhsa_next_free_vgpr 12
		.amdhsa_next_free_sgpr 56
		.amdhsa_reserve_vcc 1
		.amdhsa_reserve_flat_scratch 0
		.amdhsa_float_round_mode_32 0
		.amdhsa_float_round_mode_16_64 0
		.amdhsa_float_denorm_mode_32 3
		.amdhsa_float_denorm_mode_16_64 3
		.amdhsa_dx10_clamp 1
		.amdhsa_ieee_mode 1
		.amdhsa_fp16_overflow 0
		.amdhsa_exception_fp_ieee_invalid_op 0
		.amdhsa_exception_fp_denorm_src 0
		.amdhsa_exception_fp_ieee_div_zero 0
		.amdhsa_exception_fp_ieee_overflow 0
		.amdhsa_exception_fp_ieee_underflow 0
		.amdhsa_exception_fp_ieee_inexact 0
		.amdhsa_exception_int_div_zero 0
	.end_amdhsa_kernel
	.section	.text._ZN2at6native32elementwise_kernel_manual_unrollILi128ELi4EZNS0_22gpu_kernel_impl_nocastINS0_11FillFunctorIN3c107complexIdEEEEEEvRNS_18TensorIteratorBaseERKT_EUlibE_EEviT1_,"axG",@progbits,_ZN2at6native32elementwise_kernel_manual_unrollILi128ELi4EZNS0_22gpu_kernel_impl_nocastINS0_11FillFunctorIN3c107complexIdEEEEEEvRNS_18TensorIteratorBaseERKT_EUlibE_EEviT1_,comdat
.Lfunc_end61:
	.size	_ZN2at6native32elementwise_kernel_manual_unrollILi128ELi4EZNS0_22gpu_kernel_impl_nocastINS0_11FillFunctorIN3c107complexIdEEEEEEvRNS_18TensorIteratorBaseERKT_EUlibE_EEviT1_, .Lfunc_end61-_ZN2at6native32elementwise_kernel_manual_unrollILi128ELi4EZNS0_22gpu_kernel_impl_nocastINS0_11FillFunctorIN3c107complexIdEEEEEEvRNS_18TensorIteratorBaseERKT_EUlibE_EEviT1_
                                        ; -- End function
	.set _ZN2at6native32elementwise_kernel_manual_unrollILi128ELi4EZNS0_22gpu_kernel_impl_nocastINS0_11FillFunctorIN3c107complexIdEEEEEEvRNS_18TensorIteratorBaseERKT_EUlibE_EEviT1_.num_vgpr, 12
	.set _ZN2at6native32elementwise_kernel_manual_unrollILi128ELi4EZNS0_22gpu_kernel_impl_nocastINS0_11FillFunctorIN3c107complexIdEEEEEEvRNS_18TensorIteratorBaseERKT_EUlibE_EEviT1_.num_agpr, 0
	.set _ZN2at6native32elementwise_kernel_manual_unrollILi128ELi4EZNS0_22gpu_kernel_impl_nocastINS0_11FillFunctorIN3c107complexIdEEEEEEvRNS_18TensorIteratorBaseERKT_EUlibE_EEviT1_.numbered_sgpr, 56
	.set _ZN2at6native32elementwise_kernel_manual_unrollILi128ELi4EZNS0_22gpu_kernel_impl_nocastINS0_11FillFunctorIN3c107complexIdEEEEEEvRNS_18TensorIteratorBaseERKT_EUlibE_EEviT1_.num_named_barrier, 0
	.set _ZN2at6native32elementwise_kernel_manual_unrollILi128ELi4EZNS0_22gpu_kernel_impl_nocastINS0_11FillFunctorIN3c107complexIdEEEEEEvRNS_18TensorIteratorBaseERKT_EUlibE_EEviT1_.private_seg_size, 0
	.set _ZN2at6native32elementwise_kernel_manual_unrollILi128ELi4EZNS0_22gpu_kernel_impl_nocastINS0_11FillFunctorIN3c107complexIdEEEEEEvRNS_18TensorIteratorBaseERKT_EUlibE_EEviT1_.uses_vcc, 1
	.set _ZN2at6native32elementwise_kernel_manual_unrollILi128ELi4EZNS0_22gpu_kernel_impl_nocastINS0_11FillFunctorIN3c107complexIdEEEEEEvRNS_18TensorIteratorBaseERKT_EUlibE_EEviT1_.uses_flat_scratch, 0
	.set _ZN2at6native32elementwise_kernel_manual_unrollILi128ELi4EZNS0_22gpu_kernel_impl_nocastINS0_11FillFunctorIN3c107complexIdEEEEEEvRNS_18TensorIteratorBaseERKT_EUlibE_EEviT1_.has_dyn_sized_stack, 0
	.set _ZN2at6native32elementwise_kernel_manual_unrollILi128ELi4EZNS0_22gpu_kernel_impl_nocastINS0_11FillFunctorIN3c107complexIdEEEEEEvRNS_18TensorIteratorBaseERKT_EUlibE_EEviT1_.has_recursion, 0
	.set _ZN2at6native32elementwise_kernel_manual_unrollILi128ELi4EZNS0_22gpu_kernel_impl_nocastINS0_11FillFunctorIN3c107complexIdEEEEEEvRNS_18TensorIteratorBaseERKT_EUlibE_EEviT1_.has_indirect_call, 0
	.section	.AMDGPU.csdata,"",@progbits
; Kernel info:
; codeLenInByte = 5104
; TotalNumSgprs: 60
; NumVgprs: 12
; ScratchSize: 0
; MemoryBound: 0
; FloatMode: 240
; IeeeMode: 1
; LDSByteSize: 0 bytes/workgroup (compile time only)
; SGPRBlocks: 7
; VGPRBlocks: 2
; NumSGPRsForWavesPerEU: 60
; NumVGPRsForWavesPerEU: 12
; Occupancy: 10
; WaveLimiterHint : 1
; COMPUTE_PGM_RSRC2:SCRATCH_EN: 0
; COMPUTE_PGM_RSRC2:USER_SGPR: 6
; COMPUTE_PGM_RSRC2:TRAP_HANDLER: 0
; COMPUTE_PGM_RSRC2:TGID_X_EN: 1
; COMPUTE_PGM_RSRC2:TGID_Y_EN: 0
; COMPUTE_PGM_RSRC2:TGID_Z_EN: 0
; COMPUTE_PGM_RSRC2:TIDIG_COMP_CNT: 0
	.section	.text._ZN2at6native32elementwise_kernel_manual_unrollILi128ELi4EZNS0_15gpu_kernel_implINS0_11FillFunctorIN3c107complexIdEEEEEEvRNS_18TensorIteratorBaseERKT_EUlibE_EEviT1_,"axG",@progbits,_ZN2at6native32elementwise_kernel_manual_unrollILi128ELi4EZNS0_15gpu_kernel_implINS0_11FillFunctorIN3c107complexIdEEEEEEvRNS_18TensorIteratorBaseERKT_EUlibE_EEviT1_,comdat
	.protected	_ZN2at6native32elementwise_kernel_manual_unrollILi128ELi4EZNS0_15gpu_kernel_implINS0_11FillFunctorIN3c107complexIdEEEEEEvRNS_18TensorIteratorBaseERKT_EUlibE_EEviT1_ ; -- Begin function _ZN2at6native32elementwise_kernel_manual_unrollILi128ELi4EZNS0_15gpu_kernel_implINS0_11FillFunctorIN3c107complexIdEEEEEEvRNS_18TensorIteratorBaseERKT_EUlibE_EEviT1_
	.globl	_ZN2at6native32elementwise_kernel_manual_unrollILi128ELi4EZNS0_15gpu_kernel_implINS0_11FillFunctorIN3c107complexIdEEEEEEvRNS_18TensorIteratorBaseERKT_EUlibE_EEviT1_
	.p2align	8
	.type	_ZN2at6native32elementwise_kernel_manual_unrollILi128ELi4EZNS0_15gpu_kernel_implINS0_11FillFunctorIN3c107complexIdEEEEEEvRNS_18TensorIteratorBaseERKT_EUlibE_EEviT1_,@function
_ZN2at6native32elementwise_kernel_manual_unrollILi128ELi4EZNS0_15gpu_kernel_implINS0_11FillFunctorIN3c107complexIdEEEEEEvRNS_18TensorIteratorBaseERKT_EUlibE_EEviT1_: ; @_ZN2at6native32elementwise_kernel_manual_unrollILi128ELi4EZNS0_15gpu_kernel_implINS0_11FillFunctorIN3c107complexIdEEEEEEvRNS_18TensorIteratorBaseERKT_EUlibE_EEviT1_
; %bb.0:
	v_lshl_or_b32 v16, s6, 9, v0
	s_load_dword s50, s[4:5], 0x0
	s_load_dwordx2 s[12:13], s[4:5], 0x10
	s_load_dword s33, s[4:5], 0x18
	s_load_dwordx4 s[8:11], s[4:5], 0x20
	s_load_dword s54, s[4:5], 0x30
	v_or_b32_e32 v0, 0x180, v16
	s_waitcnt lgkmcnt(0)
	v_cmp_le_i32_e32 vcc, s50, v0
	s_mov_b64 s[6:7], 0
	s_mov_b64 s[0:1], 0
	s_and_saveexec_b64 s[2:3], vcc
	s_xor_b64 s[14:15], exec, s[2:3]
	s_cbranch_execz .LBB62_404
; %bb.1:
	v_trunc_f64_e32 v[0:1], s[8:9]
	s_movk_i32 s0, 0xffe0
	v_cvt_f32_f64_e32 v2, s[8:9]
	s_movk_i32 s1, 0xff
	s_mov_b32 s2, 0
	s_mov_b32 s3, 0xc1f00000
	v_bfe_u32 v5, v2, 23, 8
	v_and_b32_e32 v7, 0x400000, v2
	v_ldexp_f64 v[3:4], v[0:1], s0
	v_and_b32_e32 v8, 0x3fffff, v2
	v_cmp_eq_u32_e64 s[4:5], s1, v5
	v_cmp_ne_u32_e32 vcc, 0, v7
	v_or_b32_e32 v7, v5, v8
	v_readfirstlane_b32 s18, v2
	v_cmp_ne_u32_e64 s[0:1], 0, v7
	s_and_b32 s34, s18, 0x7fffffff
	v_floor_f64_e32 v[4:5], v[3:4]
	s_and_b64 s[0:1], vcc, s[0:1]
	s_cmp_lt_u32 s34, 0x43800000
	v_lshrrev_b32_e32 v6, 23, v2
	v_cndmask_b32_e64 v3, 0, 1, s[0:1]
	s_cselect_b64 s[28:29], -1, 0
	s_cmp_gt_u32 s34, 0x3bffffff
	v_add_u32_e32 v15, v6, v3
	v_fma_f64 v[6:7], v[4:5], s[2:3], v[0:1]
	s_cselect_b64 s[2:3], -1, 0
	s_bfe_u32 s0, s18, 0x10014
	s_add_i32 s19, s18, s0
	s_add_i32 s0, s19, 0x487ffff
	s_lshr_b32 s64, s0, 20
	s_mov_b32 s0, 0x46000000
	v_add_f32_e64 v14, |v2|, s0
	v_readfirstlane_b32 s0, v14
	s_and_b32 s0, s0, 0xff
	s_cmp_lg_u32 s0, 0
	s_cselect_b64 s[30:31], -1, 0
	s_cmp_gt_u32 s34, 0x477fffff
	s_cselect_b64 s[16:17], -1, 0
	s_cmp_lt_u32 s34, 0x47800000
	s_movk_i32 s0, 0x80
	s_cselect_b64 s[24:25], -1, 0
	s_cmp_gt_u32 s34, 0x37ffffff
	v_and_b32_sdwa v10, v2, s0 dst_sel:DWORD dst_unused:UNUSED_PAD src0_sel:BYTE_3 src1_sel:DWORD
	s_cselect_b64 s[0:1], -1, 0
	s_bfe_u32 s20, s18, 0x10015
	s_add_i32 s35, s18, s20
	s_add_i32 s18, s35, 0x88fffff
	s_lshr_b32 s62, s18, 21
	s_mov_b32 s18, 0x42800000
	v_add_f32_e64 v12, |v2|, s18
	v_readfirstlane_b32 s18, v12
	s_and_b32 s18, s18, 0xff
	s_cmp_lg_u32 s18, 0
	s_cselect_b64 s[26:27], -1, 0
	s_cmp_gt_u32 s34, 0x43efffff
	s_cselect_b64 s[20:21], -1, 0
	s_cmp_lt_u32 s34, 0x3c800000
	s_cselect_b64 s[22:23], -1, 0
	s_add_i32 s19, s19, 0x407ffff
	s_lshr_b32 s18, s19, 20
	s_and_b32 s19, s19, 0xff00000
	s_cmp_lg_u32 s19, 0x7f00000
	s_cselect_b32 s60, s18, 0x7e
	s_mov_b32 s18, 0x46800000
	s_cmp_lt_u32 s34, 0x38800000
	v_add_f32_e64 v3, |v2|, s18
	s_cselect_b64 s[18:19], -1, 0
	s_add_i32 s35, s35, 0x80fffff
	s_lshr_b32 s57, s35, 21
	s_cmp_gt_u32 s34, 0x7f800000
	s_movk_i32 s34, 0x7f
	s_cselect_b32 s63, s34, 0x7e
	s_mov_b32 s34, 0x43000000
	v_readfirstlane_b32 s61, v3
	v_add_f32_e64 v3, |v2|, s34
	s_movk_i32 s34, 0x7c
	s_cselect_b32 s59, 0x7f, s34
	v_cmp_neq_f64_e64 s[34:35], s[8:9], 0
	v_cmp_neq_f64_e64 s[36:37], s[10:11], 0
	v_readfirstlane_b32 s58, v3
	v_bfe_u32 v3, v2, 16, 1
	v_add_u32_e32 v3, v2, v3
	v_add_u32_e32 v3, 0x7fff, v3
	v_cvt_u32_f64_e32 v0, v[6:7]
	v_lshrrev_b32_e32 v3, 16, v3
	v_mov_b32_e32 v6, 0x7fc0
	v_cmp_o_f32_e32 vcc, v2, v2
	v_cndmask_b32_e32 v11, v6, v3, vcc
	v_cvt_f32_f64_e32 v3, s[10:11]
	s_or_b64 s[34:35], s[34:35], s[36:37]
	v_cndmask_b32_e64 v9, 0, 1, s[34:35]
	s_lshr_b32 s34, s9, 8
	v_bfe_u32 v6, v3, 16, 1
	v_add_u32_e32 v6, v3, v6
	s_and_b32 s36, s34, 0xffe
	s_and_b32 s34, s9, 0x1ff
	v_add_u32_e32 v6, 0x7fff, v6
	s_or_b32 s34, s34, s8
	v_and_b32_e32 v6, 0xffff0000, v6
	v_mov_b32_e32 v7, 0x7fc00000
	v_cmp_o_f32_e32 vcc, v3, v3
	s_cmp_lg_u32 s34, 0
	v_cndmask_b32_e32 v6, v7, v6, vcc
	s_cselect_b64 s[34:35], -1, 0
	v_or_b32_e32 v17, v6, v11
	v_cndmask_b32_e64 v6, 0, 1, s[34:35]
	v_readfirstlane_b32 s34, v6
	s_or_b32 s34, s36, s34
	s_bfe_u32 s36, s9, 0xb0014
	s_sub_i32 s37, 0x3f1, s36
	v_med3_i32 v6, s37, 0, 13
	s_or_b32 s35, s34, 0x1000
	v_readfirstlane_b32 s37, v6
	s_lshr_b32 s38, s35, s37
	s_lshl_b32 s37, s38, s37
	s_cmp_lg_u32 s37, s35
	s_cselect_b32 s35, 1, 0
	s_addk_i32 s36, 0xfc10
	s_lshl_b32 s37, s36, 12
	s_or_b32 s35, s38, s35
	s_or_b32 s37, s34, s37
	s_cmp_lt_i32 s36, 1
	s_cselect_b32 s35, s35, s37
	s_and_b32 s37, s35, 7
	s_cmp_gt_i32 s37, 5
	s_cselect_b32 s38, 1, 0
	s_cmp_eq_u32 s37, 3
	s_cselect_b32 s37, 1, 0
	s_or_b32 s37, s37, s38
	s_lshr_b32 s35, s35, 2
	s_add_i32 s35, s35, s37
	s_cmp_lt_i32 s36, 31
	s_cselect_b32 s35, s35, 0x7c00
	s_cmp_lg_u32 s34, 0
	s_movk_i32 s37, 0x7e00
	s_cselect_b32 s34, s37, 0x7c00
	s_cmpk_eq_i32 s36, 0x40f
	s_cselect_b32 s34, s34, s35
	s_lshr_b32 s35, s9, 16
	s_and_b32 s35, s35, 0x8000
	s_or_b32 s55, s35, s34
	s_lshr_b32 s34, s11, 8
	s_and_b32 s36, s34, 0xffe
	s_and_b32 s34, s11, 0x1ff
	s_or_b32 s34, s34, s10
	s_cmp_lg_u32 s34, 0
	s_cselect_b64 s[34:35], -1, 0
	v_cndmask_b32_e64 v6, 0, 1, s[34:35]
	v_readfirstlane_b32 s34, v6
	s_or_b32 s34, s36, s34
	s_bfe_u32 s36, s11, 0xb0014
	s_sub_i32 s38, 0x3f1, s36
	v_med3_i32 v6, s38, 0, 13
	s_or_b32 s35, s34, 0x1000
	v_readfirstlane_b32 s38, v6
	s_lshr_b32 s39, s35, s38
	s_lshl_b32 s38, s39, s38
	s_cmp_lg_u32 s38, s35
	s_cselect_b32 s35, 1, 0
	s_addk_i32 s36, 0xfc10
	s_lshl_b32 s38, s36, 12
	s_or_b32 s35, s39, s35
	s_or_b32 s38, s34, s38
	s_cmp_lt_i32 s36, 1
	s_cselect_b32 s35, s35, s38
	s_and_b32 s38, s35, 7
	s_cmp_gt_i32 s38, 5
	s_cselect_b32 s39, 1, 0
	s_cmp_eq_u32 s38, 3
	s_cselect_b32 s38, 1, 0
	s_or_b32 s38, s38, s39
	s_lshr_b32 s35, s35, 2
	s_add_i32 s35, s35, s38
	s_cmp_lt_i32 s36, 31
	s_cselect_b32 s35, s35, 0x7c00
	s_cmp_lg_u32 s34, 0
	s_cselect_b32 s34, s37, 0x7c00
	s_cmpk_eq_i32 s36, 0x40f
	s_cselect_b32 s34, s34, s35
	s_lshr_b32 s35, s11, 16
	v_cvt_u32_f64_e32 v13, s[8:9]
	v_cvt_u32_f64_e32 v1, v[4:5]
	s_and_b32 s35, s35, 0x8000
	v_cvt_i32_f64_e32 v5, v[4:5]
	v_cvt_i32_f64_e32 v8, s[8:9]
	s_or_b32 s34, s35, s34
	s_lshl_b32 s34, s34, 16
	s_and_b32 s35, s55, 0xffff
	s_mov_b64 s[40:41], 0
	s_or_b32 s56, s34, s35
	v_mov_b32_e32 v4, v0
	v_cmp_gt_i32_e32 vcc, s50, v16
	s_mov_b64 s[38:39], -1
	s_mov_b64 s[34:35], 0
	s_and_saveexec_b64 s[36:37], vcc
	s_cbranch_execz .LBB62_100
; %bb.2:
	v_mul_lo_u32 v6, v16, s33
	v_mov_b32_e32 v7, s13
	s_and_b32 s44, s54, 0xff
	s_cmp_lt_i32 s44, 11
	v_ashrrev_i32_e32 v18, 31, v6
	v_add_co_u32_e32 v6, vcc, s12, v6
	v_addc_co_u32_e32 v7, vcc, v7, v18, vcc
	s_cbranch_scc1 .LBB62_9
; %bb.3:
	s_and_b32 s45, 0xffff, s44
	s_cmp_gt_i32 s45, 25
	s_cbranch_scc0 .LBB62_12
; %bb.4:
	s_cmp_gt_i32 s45, 28
	s_cbranch_scc0 .LBB62_13
; %bb.5:
	;; [unrolled: 3-line block ×4, first 2 shown]
	s_mov_b64 s[42:43], 0
	s_mov_b64 s[34:35], -1
	s_cmp_eq_u32 s45, 46
	s_mov_b64 s[38:39], 0
	s_cbranch_scc0 .LBB62_16
; %bb.8:
	global_store_dword v[6:7], v17, off
	s_mov_b64 s[38:39], -1
	s_mov_b64 s[34:35], 0
	s_branch .LBB62_16
.LBB62_9:
	s_mov_b64 s[38:39], 0
	s_cbranch_execnz .LBB62_60
.LBB62_10:
	s_andn2_b64 vcc, exec, s[38:39]
	s_cbranch_vccnz .LBB62_98
.LBB62_11:
	v_add_u32_e32 v16, 0x80, v16
	s_mov_b64 s[38:39], -1
	s_branch .LBB62_99
.LBB62_12:
	s_mov_b64 s[38:39], 0
	s_cbranch_execnz .LBB62_38
	s_branch .LBB62_59
.LBB62_13:
	s_mov_b64 s[42:43], -1
	s_mov_b64 s[38:39], 0
	s_branch .LBB62_24
.LBB62_14:
	s_mov_b64 s[42:43], -1
	s_mov_b64 s[38:39], 0
	s_branch .LBB62_20
.LBB62_15:
	s_mov_b64 s[42:43], -1
	s_mov_b64 s[38:39], 0
.LBB62_16:
	s_and_b64 vcc, exec, s[42:43]
	s_cbranch_vccz .LBB62_19
; %bb.17:
	s_cmp_eq_u32 s45, 44
	s_mov_b64 s[34:35], -1
	s_cbranch_scc0 .LBB62_19
; %bb.18:
	v_mov_b32_e32 v18, 0xffff
	v_cndmask_b32_e64 v18, v15, v18, s[4:5]
	global_store_byte v[6:7], v18, off
	s_mov_b64 s[38:39], -1
	s_mov_b64 s[34:35], 0
.LBB62_19:
	s_mov_b64 s[42:43], 0
.LBB62_20:
	s_and_b64 vcc, exec, s[42:43]
	s_cbranch_vccz .LBB62_23
; %bb.21:
	s_cmp_eq_u32 s45, 29
	s_mov_b64 s[34:35], -1
	s_cbranch_scc0 .LBB62_23
; %bb.22:
	global_store_dwordx2 v[6:7], v[0:1], off
	s_mov_b64 s[38:39], -1
	s_mov_b64 s[34:35], 0
.LBB62_23:
	s_mov_b64 s[42:43], 0
.LBB62_24:
	s_and_b64 vcc, exec, s[42:43]
	s_cbranch_vccz .LBB62_37
; %bb.25:
	s_cmp_lt_i32 s45, 27
	s_mov_b64 s[38:39], -1
	s_cbranch_scc1 .LBB62_31
; %bb.26:
	s_cmp_gt_i32 s45, 27
	s_cbranch_scc0 .LBB62_28
; %bb.27:
	s_mov_b64 s[38:39], 0
	global_store_dword v[6:7], v13, off
.LBB62_28:
	s_andn2_b64 vcc, exec, s[38:39]
	s_cbranch_vccnz .LBB62_30
; %bb.29:
	global_store_short v[6:7], v13, off
.LBB62_30:
	s_mov_b64 s[38:39], 0
.LBB62_31:
	s_andn2_b64 vcc, exec, s[38:39]
	s_cbranch_vccnz .LBB62_36
; %bb.32:
	s_andn2_b64 vcc, exec, s[28:29]
	v_mov_b32_e32 v18, 0x80
	s_cbranch_vccnz .LBB62_35
; %bb.33:
	s_or_b64 s[38:39], s[2:3], s[30:31]
	s_andn2_b64 vcc, exec, s[38:39]
	v_mov_b32_e32 v18, 0
	s_cbranch_vccnz .LBB62_35
; %bb.34:
	v_mov_b32_e32 v18, s64
	v_cndmask_b32_e64 v18, v14, v18, s[2:3]
	v_or_b32_e32 v18, v18, v10
.LBB62_35:
	global_store_byte v[6:7], v18, off
.LBB62_36:
	s_mov_b64 s[38:39], -1
.LBB62_37:
	s_branch .LBB62_59
.LBB62_38:
	s_cmp_gt_i32 s45, 22
	s_mov_b64 s[42:43], -1
	s_cbranch_scc0 .LBB62_51
; %bb.39:
	s_cmp_lt_i32 s45, 24
	s_mov_b64 s[38:39], -1
	s_cbranch_scc1 .LBB62_48
; %bb.40:
	s_cmp_gt_i32 s45, 24
	s_cbranch_scc0 .LBB62_45
; %bb.41:
	s_andn2_b64 vcc, exec, s[24:25]
	v_mov_b32_e32 v18, 0x80
	s_cbranch_vccnz .LBB62_44
; %bb.42:
	s_or_b64 s[38:39], s[0:1], s[26:27]
	s_andn2_b64 vcc, exec, s[38:39]
	v_mov_b32_e32 v18, 0
	s_cbranch_vccnz .LBB62_44
; %bb.43:
	v_mov_b32_e32 v18, s62
	v_cndmask_b32_e64 v18, v12, v18, s[0:1]
	v_or_b32_e32 v18, v18, v10
.LBB62_44:
	s_mov_b64 s[38:39], 0
	global_store_byte v[6:7], v18, off
.LBB62_45:
	s_and_b64 vcc, exec, s[38:39]
	s_cbranch_vccz .LBB62_47
; %bb.46:
	s_and_b64 s[38:39], s[22:23], exec
	s_cselect_b32 s42, s61, s60
	s_and_b64 s[38:39], s[20:21], exec
	s_cselect_b32 s38, s63, s42
	v_or_b32_e32 v18, s38, v10
	global_store_byte v[6:7], v18, off
.LBB62_47:
	s_mov_b64 s[38:39], 0
.LBB62_48:
	s_andn2_b64 vcc, exec, s[38:39]
	s_cbranch_vccnz .LBB62_50
; %bb.49:
	s_and_b64 s[38:39], s[18:19], exec
	s_cselect_b32 s42, s58, s57
	s_and_b64 s[38:39], s[16:17], exec
	s_cselect_b32 s38, s59, s42
	v_or_b32_e32 v18, s38, v10
	global_store_byte v[6:7], v18, off
.LBB62_50:
	s_mov_b64 s[42:43], 0
	s_mov_b64 s[38:39], -1
.LBB62_51:
	s_andn2_b64 vcc, exec, s[42:43]
	s_cbranch_vccnz .LBB62_59
; %bb.52:
	s_cmp_gt_i32 s45, 14
	s_mov_b64 s[42:43], -1
	s_cbranch_scc0 .LBB62_56
; %bb.53:
	s_cmp_eq_u32 s45, 15
	s_mov_b64 s[34:35], -1
	s_cbranch_scc0 .LBB62_55
; %bb.54:
	global_store_short v[6:7], v11, off
	s_mov_b64 s[38:39], -1
	s_mov_b64 s[34:35], 0
.LBB62_55:
	s_mov_b64 s[42:43], 0
.LBB62_56:
	s_and_b64 vcc, exec, s[42:43]
	s_cbranch_vccz .LBB62_59
; %bb.57:
	s_cmp_eq_u32 s45, 11
	s_mov_b64 s[34:35], -1
	s_cbranch_scc0 .LBB62_59
; %bb.58:
	s_mov_b64 s[38:39], -1
	s_mov_b64 s[34:35], 0
	global_store_byte v[6:7], v9, off
.LBB62_59:
	s_branch .LBB62_10
.LBB62_60:
	s_and_b32 s42, 0xffff, s44
	s_cmp_lt_i32 s42, 5
	s_mov_b64 s[38:39], -1
	s_cbranch_scc1 .LBB62_81
; %bb.61:
	s_cmp_lt_i32 s42, 8
	s_cbranch_scc1 .LBB62_71
; %bb.62:
	s_cmp_lt_i32 s42, 9
	s_cbranch_scc1 .LBB62_68
; %bb.63:
	s_cmp_gt_i32 s42, 9
	s_cbranch_scc0 .LBB62_65
; %bb.64:
	v_mov_b32_e32 v18, s8
	v_mov_b32_e32 v19, s9
	;; [unrolled: 1-line block ×4, first 2 shown]
	global_store_dwordx4 v[6:7], v[18:21], off
	s_mov_b64 s[38:39], 0
.LBB62_65:
	s_andn2_b64 vcc, exec, s[38:39]
	s_cbranch_vccnz .LBB62_67
; %bb.66:
	global_store_dwordx2 v[6:7], v[2:3], off
.LBB62_67:
	s_mov_b64 s[38:39], 0
.LBB62_68:
	s_andn2_b64 vcc, exec, s[38:39]
	s_cbranch_vccnz .LBB62_70
; %bb.69:
	v_mov_b32_e32 v18, s56
	global_store_dword v[6:7], v18, off
.LBB62_70:
	s_mov_b64 s[38:39], 0
.LBB62_71:
	s_andn2_b64 vcc, exec, s[38:39]
	s_cbranch_vccnz .LBB62_80
; %bb.72:
	s_cmp_lt_i32 s42, 6
	s_mov_b64 s[38:39], -1
	s_cbranch_scc1 .LBB62_78
; %bb.73:
	s_cmp_gt_i32 s42, 6
	s_cbranch_scc0 .LBB62_75
; %bb.74:
	v_mov_b32_e32 v19, s9
	v_mov_b32_e32 v18, s8
	global_store_dwordx2 v[6:7], v[18:19], off
	s_mov_b64 s[38:39], 0
.LBB62_75:
	s_andn2_b64 vcc, exec, s[38:39]
	s_cbranch_vccnz .LBB62_77
; %bb.76:
	global_store_dword v[6:7], v2, off
.LBB62_77:
	s_mov_b64 s[38:39], 0
.LBB62_78:
	s_andn2_b64 vcc, exec, s[38:39]
	s_cbranch_vccnz .LBB62_80
; %bb.79:
	v_mov_b32_e32 v18, s55
	global_store_short v[6:7], v18, off
.LBB62_80:
	s_mov_b64 s[38:39], 0
.LBB62_81:
	s_andn2_b64 vcc, exec, s[38:39]
	s_cbranch_vccnz .LBB62_97
; %bb.82:
	s_cmp_lt_i32 s42, 2
	s_mov_b64 s[38:39], -1
	s_cbranch_scc1 .LBB62_92
; %bb.83:
	s_cmp_lt_i32 s42, 3
	s_cbranch_scc1 .LBB62_89
; %bb.84:
	s_cmp_gt_i32 s42, 3
	s_cbranch_scc0 .LBB62_86
; %bb.85:
	global_store_dwordx2 v[6:7], v[4:5], off
	s_mov_b64 s[38:39], 0
.LBB62_86:
	s_andn2_b64 vcc, exec, s[38:39]
	s_cbranch_vccnz .LBB62_88
; %bb.87:
	global_store_dword v[6:7], v8, off
.LBB62_88:
	s_mov_b64 s[38:39], 0
.LBB62_89:
	s_andn2_b64 vcc, exec, s[38:39]
	s_cbranch_vccnz .LBB62_91
; %bb.90:
	global_store_short v[6:7], v8, off
.LBB62_91:
	s_mov_b64 s[38:39], 0
.LBB62_92:
	s_andn2_b64 vcc, exec, s[38:39]
	s_cbranch_vccnz .LBB62_97
; %bb.93:
	s_cmp_gt_i32 s42, 0
	s_mov_b64 s[38:39], -1
	s_cbranch_scc0 .LBB62_95
; %bb.94:
	global_store_byte v[6:7], v8, off
	s_mov_b64 s[38:39], 0
.LBB62_95:
	s_andn2_b64 vcc, exec, s[38:39]
	s_cbranch_vccnz .LBB62_97
; %bb.96:
	global_store_byte v[6:7], v0, off
.LBB62_97:
	s_branch .LBB62_11
.LBB62_98:
	s_mov_b64 s[38:39], 0
                                        ; implicit-def: $vgpr16
.LBB62_99:
	s_and_b64 s[34:35], s[34:35], exec
	s_orn2_b64 s[38:39], s[38:39], exec
.LBB62_100:
	s_or_b64 exec, exec, s[36:37]
	s_mov_b64 s[42:43], 0
                                        ; implicit-def: $sgpr65
                                        ; implicit-def: $vgpr6_vgpr7
	s_and_saveexec_b64 s[36:37], s[38:39]
	s_cbranch_execz .LBB62_109
; %bb.101:
	v_cmp_gt_i32_e32 vcc, s50, v16
	s_mov_b64 s[44:45], -1
	s_mov_b64 s[38:39], s[34:35]
	s_and_saveexec_b64 s[40:41], vcc
	s_cbranch_execz .LBB62_204
; %bb.102:
	v_mul_lo_u32 v6, v16, s33
	v_mov_b32_e32 v7, s13
	s_and_b32 s46, s54, 0xff
	s_cmp_lt_i32 s46, 11
	v_ashrrev_i32_e32 v18, 31, v6
	v_add_co_u32_e32 v6, vcc, s12, v6
	v_addc_co_u32_e32 v7, vcc, v7, v18, vcc
	s_cbranch_scc1 .LBB62_112
; %bb.103:
	s_and_b32 s47, 0xffff, s46
	s_cmp_gt_i32 s47, 25
	s_cbranch_scc0 .LBB62_115
; %bb.104:
	s_cmp_gt_i32 s47, 28
	s_cbranch_scc0 .LBB62_116
; %bb.105:
	;; [unrolled: 3-line block ×4, first 2 shown]
	s_mov_b64 s[44:45], 0
	s_mov_b64 s[38:39], -1
	s_cmp_eq_u32 s47, 46
	s_cbranch_scc0 .LBB62_119
; %bb.108:
	global_store_dword v[6:7], v17, off
	s_mov_b64 s[42:43], -1
	s_mov_b64 s[38:39], 0
	s_branch .LBB62_119
.LBB62_109:
	s_or_b64 exec, exec, s[36:37]
	s_mov_b64 s[0:1], 0
	s_and_saveexec_b64 s[2:3], s[34:35]
	s_cbranch_execnz .LBB62_364
.LBB62_110:
	s_or_b64 exec, exec, s[2:3]
	s_and_saveexec_b64 s[2:3], s[40:41]
	s_xor_b64 s[2:3], exec, s[2:3]
	s_cbranch_execz .LBB62_365
.LBB62_111:
	global_store_byte v[6:7], v9, off
	s_or_b64 exec, exec, s[2:3]
	s_and_saveexec_b64 s[2:3], s[42:43]
	s_xor_b64 s[2:3], exec, s[2:3]
	s_cbranch_execz .LBB62_403
	s_branch .LBB62_366
.LBB62_112:
	s_mov_b64 s[38:39], s[34:35]
	s_and_b64 vcc, exec, s[44:45]
	s_cbranch_vccnz .LBB62_164
.LBB62_113:
	s_andn2_b64 vcc, exec, s[42:43]
	s_cbranch_vccnz .LBB62_202
.LBB62_114:
	v_add_u32_e32 v16, 0x80, v16
	s_mov_b64 s[42:43], -1
	s_branch .LBB62_203
.LBB62_115:
	s_mov_b64 s[38:39], s[34:35]
	s_branch .LBB62_141
.LBB62_116:
	s_mov_b64 s[38:39], s[34:35]
	s_branch .LBB62_127
.LBB62_117:
	s_mov_b64 s[38:39], s[34:35]
	s_branch .LBB62_123
.LBB62_118:
	s_mov_b64 s[38:39], s[34:35]
.LBB62_119:
	s_and_b64 vcc, exec, s[44:45]
	s_cbranch_vccz .LBB62_122
; %bb.120:
	s_cmp_eq_u32 s47, 44
	s_mov_b64 s[38:39], -1
	s_cbranch_scc0 .LBB62_122
; %bb.121:
	v_mov_b32_e32 v18, 0xffff
	v_cndmask_b32_e64 v18, v15, v18, s[4:5]
	s_mov_b64 s[42:43], -1
	s_mov_b64 s[38:39], 0
	global_store_byte v[6:7], v18, off
.LBB62_122:
	s_mov_b64 s[44:45], 0
.LBB62_123:
	s_and_b64 vcc, exec, s[44:45]
	s_cbranch_vccz .LBB62_126
; %bb.124:
	s_cmp_eq_u32 s47, 29
	s_mov_b64 s[38:39], -1
	s_cbranch_scc0 .LBB62_126
; %bb.125:
	global_store_dwordx2 v[6:7], v[0:1], off
	s_mov_b64 s[42:43], -1
	s_mov_b64 s[38:39], 0
.LBB62_126:
	s_mov_b64 s[44:45], 0
.LBB62_127:
	s_and_b64 vcc, exec, s[44:45]
	s_cbranch_vccz .LBB62_140
; %bb.128:
	s_cmp_lt_i32 s47, 27
	s_mov_b64 s[42:43], -1
	s_cbranch_scc1 .LBB62_134
; %bb.129:
	s_cmp_gt_i32 s47, 27
	s_cbranch_scc0 .LBB62_131
; %bb.130:
	s_mov_b64 s[42:43], 0
	global_store_dword v[6:7], v13, off
.LBB62_131:
	s_andn2_b64 vcc, exec, s[42:43]
	s_cbranch_vccnz .LBB62_133
; %bb.132:
	global_store_short v[6:7], v13, off
.LBB62_133:
	s_mov_b64 s[42:43], 0
.LBB62_134:
	s_andn2_b64 vcc, exec, s[42:43]
	s_cbranch_vccnz .LBB62_139
; %bb.135:
	s_andn2_b64 vcc, exec, s[28:29]
	v_mov_b32_e32 v18, 0x80
	s_cbranch_vccnz .LBB62_138
; %bb.136:
	s_or_b64 s[42:43], s[2:3], s[30:31]
	s_andn2_b64 vcc, exec, s[42:43]
	v_mov_b32_e32 v18, 0
	s_cbranch_vccnz .LBB62_138
; %bb.137:
	v_mov_b32_e32 v18, s64
	v_cndmask_b32_e64 v18, v14, v18, s[2:3]
	v_or_b32_e32 v18, v18, v10
.LBB62_138:
	global_store_byte v[6:7], v18, off
.LBB62_139:
	s_mov_b64 s[42:43], -1
.LBB62_140:
	s_mov_b64 s[44:45], 0
.LBB62_141:
	s_and_b64 vcc, exec, s[44:45]
	s_cbranch_vccz .LBB62_163
; %bb.142:
	s_cmp_gt_i32 s47, 22
	s_mov_b64 s[44:45], -1
	s_cbranch_scc0 .LBB62_155
; %bb.143:
	s_cmp_lt_i32 s47, 24
	s_mov_b64 s[42:43], -1
	s_cbranch_scc1 .LBB62_152
; %bb.144:
	s_cmp_gt_i32 s47, 24
	s_cbranch_scc0 .LBB62_149
; %bb.145:
	s_andn2_b64 vcc, exec, s[24:25]
	v_mov_b32_e32 v18, 0x80
	s_cbranch_vccnz .LBB62_148
; %bb.146:
	s_or_b64 s[42:43], s[0:1], s[26:27]
	s_andn2_b64 vcc, exec, s[42:43]
	v_mov_b32_e32 v18, 0
	s_cbranch_vccnz .LBB62_148
; %bb.147:
	v_mov_b32_e32 v18, s62
	v_cndmask_b32_e64 v18, v12, v18, s[0:1]
	v_or_b32_e32 v18, v18, v10
.LBB62_148:
	s_mov_b64 s[42:43], 0
	global_store_byte v[6:7], v18, off
.LBB62_149:
	s_and_b64 vcc, exec, s[42:43]
	s_cbranch_vccz .LBB62_151
; %bb.150:
	s_and_b64 s[42:43], s[22:23], exec
	s_cselect_b32 s44, s61, s60
	s_and_b64 s[42:43], s[20:21], exec
	s_cselect_b32 s42, s63, s44
	v_or_b32_e32 v18, s42, v10
	global_store_byte v[6:7], v18, off
.LBB62_151:
	s_mov_b64 s[42:43], 0
.LBB62_152:
	s_andn2_b64 vcc, exec, s[42:43]
	s_cbranch_vccnz .LBB62_154
; %bb.153:
	s_and_b64 s[42:43], s[18:19], exec
	s_cselect_b32 s44, s58, s57
	s_and_b64 s[42:43], s[16:17], exec
	s_cselect_b32 s42, s59, s44
	v_or_b32_e32 v18, s42, v10
	global_store_byte v[6:7], v18, off
.LBB62_154:
	s_mov_b64 s[44:45], 0
	s_mov_b64 s[42:43], -1
.LBB62_155:
	s_andn2_b64 vcc, exec, s[44:45]
	s_cbranch_vccnz .LBB62_163
; %bb.156:
	s_cmp_gt_i32 s47, 14
	s_mov_b64 s[44:45], -1
	s_cbranch_scc0 .LBB62_160
; %bb.157:
	s_cmp_eq_u32 s47, 15
	s_mov_b64 s[38:39], -1
	s_cbranch_scc0 .LBB62_159
; %bb.158:
	global_store_short v[6:7], v11, off
	s_mov_b64 s[42:43], -1
	s_mov_b64 s[38:39], 0
.LBB62_159:
	s_mov_b64 s[44:45], 0
.LBB62_160:
	s_and_b64 vcc, exec, s[44:45]
	s_cbranch_vccz .LBB62_163
; %bb.161:
	s_cmp_eq_u32 s47, 11
	s_mov_b64 s[38:39], -1
	s_cbranch_scc0 .LBB62_163
; %bb.162:
	s_mov_b64 s[42:43], -1
	s_mov_b64 s[38:39], 0
	global_store_byte v[6:7], v9, off
.LBB62_163:
	s_branch .LBB62_113
.LBB62_164:
	s_and_b32 s44, 0xffff, s46
	s_cmp_lt_i32 s44, 5
	s_mov_b64 s[42:43], -1
	s_cbranch_scc1 .LBB62_185
; %bb.165:
	s_cmp_lt_i32 s44, 8
	s_cbranch_scc1 .LBB62_175
; %bb.166:
	s_cmp_lt_i32 s44, 9
	s_cbranch_scc1 .LBB62_172
; %bb.167:
	s_cmp_gt_i32 s44, 9
	s_cbranch_scc0 .LBB62_169
; %bb.168:
	v_mov_b32_e32 v18, s8
	v_mov_b32_e32 v19, s9
	;; [unrolled: 1-line block ×4, first 2 shown]
	s_mov_b64 s[42:43], 0
	global_store_dwordx4 v[6:7], v[18:21], off
.LBB62_169:
	s_andn2_b64 vcc, exec, s[42:43]
	s_cbranch_vccnz .LBB62_171
; %bb.170:
	global_store_dwordx2 v[6:7], v[2:3], off
.LBB62_171:
	s_mov_b64 s[42:43], 0
.LBB62_172:
	s_andn2_b64 vcc, exec, s[42:43]
	s_cbranch_vccnz .LBB62_174
; %bb.173:
	v_mov_b32_e32 v18, s56
	global_store_dword v[6:7], v18, off
.LBB62_174:
	s_mov_b64 s[42:43], 0
.LBB62_175:
	s_andn2_b64 vcc, exec, s[42:43]
	s_cbranch_vccnz .LBB62_184
; %bb.176:
	s_cmp_lt_i32 s44, 6
	s_mov_b64 s[42:43], -1
	s_cbranch_scc1 .LBB62_182
; %bb.177:
	s_cmp_gt_i32 s44, 6
	s_cbranch_scc0 .LBB62_179
; %bb.178:
	v_mov_b32_e32 v19, s9
	v_mov_b32_e32 v18, s8
	s_mov_b64 s[42:43], 0
	global_store_dwordx2 v[6:7], v[18:19], off
.LBB62_179:
	s_andn2_b64 vcc, exec, s[42:43]
	s_cbranch_vccnz .LBB62_181
; %bb.180:
	global_store_dword v[6:7], v2, off
.LBB62_181:
	s_mov_b64 s[42:43], 0
.LBB62_182:
	s_andn2_b64 vcc, exec, s[42:43]
	s_cbranch_vccnz .LBB62_184
; %bb.183:
	v_mov_b32_e32 v18, s55
	global_store_short v[6:7], v18, off
.LBB62_184:
	s_mov_b64 s[42:43], 0
.LBB62_185:
	s_andn2_b64 vcc, exec, s[42:43]
	s_cbranch_vccnz .LBB62_201
; %bb.186:
	s_cmp_lt_i32 s44, 2
	s_mov_b64 s[42:43], -1
	s_cbranch_scc1 .LBB62_196
; %bb.187:
	s_cmp_lt_i32 s44, 3
	s_cbranch_scc1 .LBB62_193
; %bb.188:
	s_cmp_gt_i32 s44, 3
	s_cbranch_scc0 .LBB62_190
; %bb.189:
	s_mov_b64 s[42:43], 0
	global_store_dwordx2 v[6:7], v[4:5], off
.LBB62_190:
	s_andn2_b64 vcc, exec, s[42:43]
	s_cbranch_vccnz .LBB62_192
; %bb.191:
	global_store_dword v[6:7], v8, off
.LBB62_192:
	s_mov_b64 s[42:43], 0
.LBB62_193:
	s_andn2_b64 vcc, exec, s[42:43]
	s_cbranch_vccnz .LBB62_195
; %bb.194:
	global_store_short v[6:7], v8, off
.LBB62_195:
	s_mov_b64 s[42:43], 0
.LBB62_196:
	s_andn2_b64 vcc, exec, s[42:43]
	s_cbranch_vccnz .LBB62_201
; %bb.197:
	s_cmp_gt_i32 s44, 0
	s_mov_b64 s[42:43], -1
	s_cbranch_scc0 .LBB62_199
; %bb.198:
	s_mov_b64 s[42:43], 0
	global_store_byte v[6:7], v8, off
.LBB62_199:
	s_andn2_b64 vcc, exec, s[42:43]
	s_cbranch_vccnz .LBB62_201
; %bb.200:
	global_store_byte v[6:7], v0, off
.LBB62_201:
	s_branch .LBB62_114
.LBB62_202:
	s_mov_b64 s[42:43], 0
                                        ; implicit-def: $vgpr16
.LBB62_203:
	s_andn2_b64 s[44:45], s[34:35], exec
	s_and_b64 s[38:39], s[38:39], exec
	s_or_b64 s[38:39], s[44:45], s[38:39]
	s_orn2_b64 s[44:45], s[42:43], exec
.LBB62_204:
	s_or_b64 exec, exec, s[40:41]
	s_mov_b64 s[46:47], 0
	s_mov_b64 s[42:43], 0
                                        ; implicit-def: $sgpr65
                                        ; implicit-def: $vgpr6_vgpr7
	s_and_saveexec_b64 s[40:41], s[44:45]
	s_cbranch_execz .LBB62_363
; %bb.205:
	v_cmp_gt_i32_e32 vcc, s50, v16
	s_mov_b64 s[48:49], -1
	s_mov_b64 s[44:45], s[38:39]
	s_and_saveexec_b64 s[42:43], vcc
	s_cbranch_execz .LBB62_306
; %bb.206:
	v_mul_lo_u32 v6, v16, s33
	v_mov_b32_e32 v7, s13
	s_and_b32 s51, s54, 0xff
	s_cmp_lt_i32 s51, 11
	v_ashrrev_i32_e32 v18, 31, v6
	v_add_co_u32_e32 v6, vcc, s12, v6
	v_addc_co_u32_e32 v7, vcc, v7, v18, vcc
	s_cbranch_scc1 .LBB62_213
; %bb.207:
	s_and_b32 s52, 0xffff, s51
	s_cmp_gt_i32 s52, 25
	s_cbranch_scc0 .LBB62_214
; %bb.208:
	s_cmp_gt_i32 s52, 28
	s_cbranch_scc0 .LBB62_215
; %bb.209:
	s_cmp_gt_i32 s52, 43
	s_cbranch_scc0 .LBB62_216
; %bb.210:
	s_cmp_gt_i32 s52, 45
	s_cbranch_scc0 .LBB62_217
; %bb.211:
	s_mov_b64 s[48:49], 0
	s_mov_b64 s[44:45], -1
	s_cmp_eq_u32 s52, 46
	s_cbranch_scc0 .LBB62_218
; %bb.212:
	global_store_dword v[6:7], v17, off
	s_mov_b64 s[46:47], -1
	s_mov_b64 s[44:45], 0
	s_branch .LBB62_218
.LBB62_213:
	s_mov_b64 s[44:45], s[38:39]
	s_branch .LBB62_263
.LBB62_214:
	s_mov_b64 s[44:45], s[38:39]
	s_branch .LBB62_240
.LBB62_215:
	s_mov_b64 s[44:45], s[38:39]
	s_branch .LBB62_226
.LBB62_216:
	s_mov_b64 s[44:45], s[38:39]
	s_branch .LBB62_222
.LBB62_217:
	s_mov_b64 s[44:45], s[38:39]
.LBB62_218:
	s_and_b64 vcc, exec, s[48:49]
	s_cbranch_vccz .LBB62_221
; %bb.219:
	s_cmp_eq_u32 s52, 44
	s_mov_b64 s[44:45], -1
	s_cbranch_scc0 .LBB62_221
; %bb.220:
	v_mov_b32_e32 v18, 0xffff
	v_cndmask_b32_e64 v18, v15, v18, s[4:5]
	s_mov_b64 s[46:47], -1
	s_mov_b64 s[44:45], 0
	global_store_byte v[6:7], v18, off
.LBB62_221:
	s_mov_b64 s[48:49], 0
.LBB62_222:
	s_and_b64 vcc, exec, s[48:49]
	s_cbranch_vccz .LBB62_225
; %bb.223:
	s_cmp_eq_u32 s52, 29
	s_mov_b64 s[44:45], -1
	s_cbranch_scc0 .LBB62_225
; %bb.224:
	global_store_dwordx2 v[6:7], v[0:1], off
	s_mov_b64 s[46:47], -1
	s_mov_b64 s[44:45], 0
.LBB62_225:
	s_mov_b64 s[48:49], 0
.LBB62_226:
	s_and_b64 vcc, exec, s[48:49]
	s_cbranch_vccz .LBB62_239
; %bb.227:
	s_cmp_lt_i32 s52, 27
	s_mov_b64 s[46:47], -1
	s_cbranch_scc1 .LBB62_233
; %bb.228:
	s_cmp_gt_i32 s52, 27
	s_cbranch_scc0 .LBB62_230
; %bb.229:
	s_mov_b64 s[46:47], 0
	global_store_dword v[6:7], v13, off
.LBB62_230:
	s_andn2_b64 vcc, exec, s[46:47]
	s_cbranch_vccnz .LBB62_232
; %bb.231:
	global_store_short v[6:7], v13, off
.LBB62_232:
	s_mov_b64 s[46:47], 0
.LBB62_233:
	s_andn2_b64 vcc, exec, s[46:47]
	s_cbranch_vccnz .LBB62_238
; %bb.234:
	s_andn2_b64 vcc, exec, s[28:29]
	v_mov_b32_e32 v18, 0x80
	s_cbranch_vccnz .LBB62_237
; %bb.235:
	s_or_b64 s[46:47], s[2:3], s[30:31]
	s_andn2_b64 vcc, exec, s[46:47]
	v_mov_b32_e32 v18, 0
	s_cbranch_vccnz .LBB62_237
; %bb.236:
	v_mov_b32_e32 v18, s64
	v_cndmask_b32_e64 v18, v14, v18, s[2:3]
	v_or_b32_e32 v18, v18, v10
.LBB62_237:
	global_store_byte v[6:7], v18, off
.LBB62_238:
	s_mov_b64 s[46:47], -1
.LBB62_239:
	s_mov_b64 s[48:49], 0
.LBB62_240:
	s_and_b64 vcc, exec, s[48:49]
	s_cbranch_vccz .LBB62_262
; %bb.241:
	s_cmp_gt_i32 s52, 22
	s_mov_b64 s[48:49], -1
	s_cbranch_scc0 .LBB62_254
; %bb.242:
	s_cmp_lt_i32 s52, 24
	s_mov_b64 s[46:47], -1
	s_cbranch_scc1 .LBB62_251
; %bb.243:
	s_cmp_gt_i32 s52, 24
	s_cbranch_scc0 .LBB62_248
; %bb.244:
	s_andn2_b64 vcc, exec, s[24:25]
	v_mov_b32_e32 v18, 0x80
	s_cbranch_vccnz .LBB62_247
; %bb.245:
	s_or_b64 s[46:47], s[0:1], s[26:27]
	s_andn2_b64 vcc, exec, s[46:47]
	v_mov_b32_e32 v18, 0
	s_cbranch_vccnz .LBB62_247
; %bb.246:
	v_mov_b32_e32 v18, s62
	v_cndmask_b32_e64 v18, v12, v18, s[0:1]
	v_or_b32_e32 v18, v18, v10
.LBB62_247:
	s_mov_b64 s[46:47], 0
	global_store_byte v[6:7], v18, off
.LBB62_248:
	s_and_b64 vcc, exec, s[46:47]
	s_cbranch_vccz .LBB62_250
; %bb.249:
	s_and_b64 s[46:47], s[22:23], exec
	s_cselect_b32 s48, s61, s60
	s_and_b64 s[46:47], s[20:21], exec
	s_cselect_b32 s46, s63, s48
	v_or_b32_e32 v18, s46, v10
	global_store_byte v[6:7], v18, off
.LBB62_250:
	s_mov_b64 s[46:47], 0
.LBB62_251:
	s_andn2_b64 vcc, exec, s[46:47]
	s_cbranch_vccnz .LBB62_253
; %bb.252:
	s_and_b64 s[46:47], s[18:19], exec
	s_cselect_b32 s48, s58, s57
	s_and_b64 s[46:47], s[16:17], exec
	s_cselect_b32 s46, s59, s48
	v_or_b32_e32 v18, s46, v10
	global_store_byte v[6:7], v18, off
.LBB62_253:
	s_mov_b64 s[48:49], 0
	s_mov_b64 s[46:47], -1
.LBB62_254:
	s_andn2_b64 vcc, exec, s[48:49]
	s_cbranch_vccnz .LBB62_262
; %bb.255:
	s_cmp_gt_i32 s52, 14
	s_mov_b64 s[48:49], -1
	s_cbranch_scc0 .LBB62_259
; %bb.256:
	s_cmp_eq_u32 s52, 15
	s_mov_b64 s[44:45], -1
	s_cbranch_scc0 .LBB62_258
; %bb.257:
	global_store_short v[6:7], v11, off
	s_mov_b64 s[46:47], -1
	s_mov_b64 s[44:45], 0
.LBB62_258:
	s_mov_b64 s[48:49], 0
.LBB62_259:
	s_and_b64 vcc, exec, s[48:49]
	s_cbranch_vccz .LBB62_262
; %bb.260:
	s_cmp_eq_u32 s52, 11
	s_mov_b64 s[44:45], -1
	s_cbranch_scc0 .LBB62_262
; %bb.261:
	s_mov_b64 s[46:47], -1
	s_mov_b64 s[44:45], 0
	global_store_byte v[6:7], v9, off
.LBB62_262:
	s_mov_b64 s[48:49], 0
.LBB62_263:
	s_and_b64 vcc, exec, s[48:49]
	s_cbranch_vccz .LBB62_302
; %bb.264:
	s_and_b32 s48, 0xffff, s51
	s_cmp_lt_i32 s48, 5
	s_mov_b64 s[46:47], -1
	s_cbranch_scc1 .LBB62_285
; %bb.265:
	s_cmp_lt_i32 s48, 8
	s_cbranch_scc1 .LBB62_275
; %bb.266:
	s_cmp_lt_i32 s48, 9
	s_cbranch_scc1 .LBB62_272
; %bb.267:
	s_cmp_gt_i32 s48, 9
	s_cbranch_scc0 .LBB62_269
; %bb.268:
	v_mov_b32_e32 v18, s8
	v_mov_b32_e32 v19, s9
	v_mov_b32_e32 v20, s10
	v_mov_b32_e32 v21, s11
	s_mov_b64 s[46:47], 0
	global_store_dwordx4 v[6:7], v[18:21], off
.LBB62_269:
	s_andn2_b64 vcc, exec, s[46:47]
	s_cbranch_vccnz .LBB62_271
; %bb.270:
	global_store_dwordx2 v[6:7], v[2:3], off
.LBB62_271:
	s_mov_b64 s[46:47], 0
.LBB62_272:
	s_andn2_b64 vcc, exec, s[46:47]
	s_cbranch_vccnz .LBB62_274
; %bb.273:
	v_mov_b32_e32 v18, s56
	global_store_dword v[6:7], v18, off
.LBB62_274:
	s_mov_b64 s[46:47], 0
.LBB62_275:
	s_andn2_b64 vcc, exec, s[46:47]
	s_cbranch_vccnz .LBB62_284
; %bb.276:
	s_cmp_lt_i32 s48, 6
	s_mov_b64 s[46:47], -1
	s_cbranch_scc1 .LBB62_282
; %bb.277:
	s_cmp_gt_i32 s48, 6
	s_cbranch_scc0 .LBB62_279
; %bb.278:
	v_mov_b32_e32 v19, s9
	v_mov_b32_e32 v18, s8
	s_mov_b64 s[46:47], 0
	global_store_dwordx2 v[6:7], v[18:19], off
.LBB62_279:
	s_andn2_b64 vcc, exec, s[46:47]
	s_cbranch_vccnz .LBB62_281
; %bb.280:
	global_store_dword v[6:7], v2, off
.LBB62_281:
	s_mov_b64 s[46:47], 0
.LBB62_282:
	s_andn2_b64 vcc, exec, s[46:47]
	s_cbranch_vccnz .LBB62_284
; %bb.283:
	v_mov_b32_e32 v18, s55
	global_store_short v[6:7], v18, off
.LBB62_284:
	s_mov_b64 s[46:47], 0
.LBB62_285:
	s_andn2_b64 vcc, exec, s[46:47]
	s_cbranch_vccnz .LBB62_301
; %bb.286:
	s_cmp_lt_i32 s48, 2
	s_mov_b64 s[46:47], -1
	s_cbranch_scc1 .LBB62_296
; %bb.287:
	s_cmp_lt_i32 s48, 3
	s_cbranch_scc1 .LBB62_293
; %bb.288:
	s_cmp_gt_i32 s48, 3
	s_cbranch_scc0 .LBB62_290
; %bb.289:
	s_mov_b64 s[46:47], 0
	global_store_dwordx2 v[6:7], v[4:5], off
.LBB62_290:
	s_andn2_b64 vcc, exec, s[46:47]
	s_cbranch_vccnz .LBB62_292
; %bb.291:
	global_store_dword v[6:7], v8, off
.LBB62_292:
	s_mov_b64 s[46:47], 0
.LBB62_293:
	s_andn2_b64 vcc, exec, s[46:47]
	s_cbranch_vccnz .LBB62_295
; %bb.294:
	global_store_short v[6:7], v8, off
.LBB62_295:
	s_mov_b64 s[46:47], 0
.LBB62_296:
	s_andn2_b64 vcc, exec, s[46:47]
	s_cbranch_vccnz .LBB62_301
; %bb.297:
	s_cmp_gt_i32 s48, 0
	s_mov_b64 s[46:47], -1
	s_cbranch_scc0 .LBB62_299
; %bb.298:
	s_mov_b64 s[46:47], 0
	global_store_byte v[6:7], v8, off
.LBB62_299:
	s_andn2_b64 vcc, exec, s[46:47]
	s_cbranch_vccnz .LBB62_301
; %bb.300:
	global_store_byte v[6:7], v0, off
.LBB62_301:
	s_mov_b64 s[46:47], -1
.LBB62_302:
	s_andn2_b64 vcc, exec, s[46:47]
	s_cbranch_vccnz .LBB62_304
; %bb.303:
	v_add_u32_e32 v16, 0x80, v16
	s_mov_b64 s[46:47], -1
	s_branch .LBB62_305
.LBB62_304:
	s_mov_b64 s[46:47], 0
                                        ; implicit-def: $vgpr16
.LBB62_305:
	s_andn2_b64 s[48:49], s[38:39], exec
	s_and_b64 s[44:45], s[44:45], exec
	s_or_b64 s[44:45], s[48:49], s[44:45]
	s_orn2_b64 s[48:49], s[46:47], exec
.LBB62_306:
	s_or_b64 exec, exec, s[42:43]
	s_mov_b64 s[46:47], 0
	s_mov_b64 s[52:53], 0
                                        ; implicit-def: $sgpr65
                                        ; implicit-def: $vgpr6_vgpr7
	s_and_saveexec_b64 s[42:43], s[48:49]
	s_cbranch_execz .LBB62_362
; %bb.307:
	v_cmp_gt_i32_e32 vcc, s50, v16
	s_mov_b64 s[50:51], 0
	s_mov_b64 s[48:49], s[44:45]
                                        ; implicit-def: $sgpr65
                                        ; implicit-def: $vgpr6_vgpr7
	s_and_saveexec_b64 s[46:47], vcc
	s_cbranch_execz .LBB62_361
; %bb.308:
	v_mul_lo_u32 v6, v16, s33
	v_mov_b32_e32 v7, s13
	s_and_b32 s65, s54, 0xff
	s_cmp_lt_i32 s65, 11
	v_ashrrev_i32_e32 v16, 31, v6
	v_add_co_u32_e32 v6, vcc, s12, v6
	v_addc_co_u32_e32 v7, vcc, v7, v16, vcc
	s_cbranch_scc1 .LBB62_358
; %bb.309:
	s_and_b32 s52, 0xffff, s65
	s_mov_b64 s[50:51], -1
	s_cmp_gt_i32 s52, 25
	s_mov_b64 s[48:49], s[44:45]
	s_cbranch_scc0 .LBB62_337
; %bb.310:
	s_cmp_gt_i32 s52, 28
	s_mov_b64 s[48:49], s[44:45]
	s_cbranch_scc0 .LBB62_324
; %bb.311:
	;; [unrolled: 4-line block ×4, first 2 shown]
	s_cmp_eq_u32 s52, 46
	s_mov_b64 s[48:49], -1
	s_cbranch_scc0 .LBB62_315
; %bb.314:
	global_store_dword v[6:7], v17, off
	s_mov_b64 s[48:49], 0
.LBB62_315:
	s_mov_b64 s[50:51], 0
.LBB62_316:
	s_and_b64 vcc, exec, s[50:51]
	s_cbranch_vccz .LBB62_319
; %bb.317:
	s_cmp_eq_u32 s52, 44
	s_mov_b64 s[48:49], -1
	s_cbranch_scc0 .LBB62_319
; %bb.318:
	v_mov_b32_e32 v16, 0xffff
	v_cndmask_b32_e64 v15, v15, v16, s[4:5]
	global_store_byte v[6:7], v15, off
	s_mov_b64 s[48:49], 0
.LBB62_319:
	s_mov_b64 s[50:51], 0
.LBB62_320:
	s_and_b64 vcc, exec, s[50:51]
	s_cbranch_vccz .LBB62_323
; %bb.321:
	s_cmp_eq_u32 s52, 29
	s_mov_b64 s[48:49], -1
	s_cbranch_scc0 .LBB62_323
; %bb.322:
	global_store_dwordx2 v[6:7], v[0:1], off
	s_mov_b64 s[48:49], 0
.LBB62_323:
	s_mov_b64 s[50:51], 0
.LBB62_324:
	s_and_b64 vcc, exec, s[50:51]
	s_cbranch_vccz .LBB62_336
; %bb.325:
	s_cmp_lt_i32 s52, 27
	s_mov_b64 s[4:5], -1
	s_cbranch_scc1 .LBB62_331
; %bb.326:
	s_cmp_gt_i32 s52, 27
	s_cbranch_scc0 .LBB62_328
; %bb.327:
	s_mov_b64 s[4:5], 0
	global_store_dword v[6:7], v13, off
.LBB62_328:
	s_andn2_b64 vcc, exec, s[4:5]
	s_cbranch_vccnz .LBB62_330
; %bb.329:
	global_store_short v[6:7], v13, off
.LBB62_330:
	s_mov_b64 s[4:5], 0
.LBB62_331:
	s_andn2_b64 vcc, exec, s[4:5]
	s_cbranch_vccnz .LBB62_336
; %bb.332:
	s_andn2_b64 vcc, exec, s[28:29]
	v_mov_b32_e32 v1, 0x80
	s_cbranch_vccnz .LBB62_335
; %bb.333:
	s_or_b64 s[4:5], s[2:3], s[30:31]
	s_andn2_b64 vcc, exec, s[4:5]
	v_mov_b32_e32 v1, 0
	s_cbranch_vccnz .LBB62_335
; %bb.334:
	v_mov_b32_e32 v1, s64
	v_cndmask_b32_e64 v1, v14, v1, s[2:3]
	v_or_b32_e32 v1, v1, v10
.LBB62_335:
	global_store_byte v[6:7], v1, off
.LBB62_336:
	s_mov_b64 s[50:51], 0
.LBB62_337:
	s_mov_b64 s[2:3], 0
	s_and_b64 vcc, exec, s[50:51]
	s_cbranch_vccz .LBB62_359
; %bb.338:
	s_cmp_gt_i32 s52, 22
	s_mov_b64 s[4:5], -1
	s_cbranch_scc0 .LBB62_351
; %bb.339:
	s_cmp_lt_i32 s52, 24
	s_cbranch_scc1 .LBB62_348
; %bb.340:
	s_cmp_gt_i32 s52, 24
	s_cbranch_scc0 .LBB62_345
; %bb.341:
	s_andn2_b64 vcc, exec, s[24:25]
	v_mov_b32_e32 v1, 0x80
	s_cbranch_vccnz .LBB62_344
; %bb.342:
	s_or_b64 s[4:5], s[0:1], s[26:27]
	s_andn2_b64 vcc, exec, s[4:5]
	v_mov_b32_e32 v1, 0
	s_cbranch_vccnz .LBB62_344
; %bb.343:
	v_mov_b32_e32 v1, s62
	v_cndmask_b32_e64 v1, v12, v1, s[0:1]
	v_or_b32_e32 v1, v1, v10
.LBB62_344:
	s_mov_b64 s[4:5], 0
	global_store_byte v[6:7], v1, off
.LBB62_345:
	s_and_b64 vcc, exec, s[4:5]
	s_cbranch_vccz .LBB62_347
; %bb.346:
	s_and_b64 s[0:1], s[22:23], exec
	s_cselect_b32 s4, s61, s60
	s_and_b64 s[0:1], s[20:21], exec
	s_cselect_b32 s0, s63, s4
	v_or_b32_e32 v1, s0, v10
	global_store_byte v[6:7], v1, off
.LBB62_347:
	s_mov_b64 s[4:5], 0
.LBB62_348:
	s_andn2_b64 vcc, exec, s[4:5]
	s_cbranch_vccnz .LBB62_350
; %bb.349:
	s_and_b64 s[0:1], s[18:19], exec
	s_cselect_b32 s4, s58, s57
	s_and_b64 s[0:1], s[16:17], exec
	s_cselect_b32 s0, s59, s4
	v_or_b32_e32 v1, s0, v10
	global_store_byte v[6:7], v1, off
.LBB62_350:
	s_mov_b64 s[4:5], 0
.LBB62_351:
	s_andn2_b64 vcc, exec, s[4:5]
	s_mov_b64 s[0:1], 0
	s_cbranch_vccnz .LBB62_360
; %bb.352:
	s_cmp_gt_i32 s52, 14
	s_mov_b64 s[4:5], -1
	s_cbranch_scc0 .LBB62_356
; %bb.353:
	s_cmp_eq_u32 s52, 15
	s_mov_b64 s[48:49], -1
	s_cbranch_scc0 .LBB62_355
; %bb.354:
	global_store_short v[6:7], v11, off
	s_mov_b64 s[48:49], 0
.LBB62_355:
	s_mov_b64 s[4:5], 0
.LBB62_356:
	s_and_b64 vcc, exec, s[4:5]
	s_cbranch_vccz .LBB62_360
; %bb.357:
	s_cmp_lg_u32 s52, 11
	s_cselect_b64 s[4:5], -1, 0
	s_andn2_b64 s[16:17], s[48:49], exec
	s_and_b64 s[4:5], s[4:5], exec
	s_mov_b64 s[0:1], -1
	s_or_b64 s[48:49], s[16:17], s[4:5]
	s_branch .LBB62_360
.LBB62_358:
	s_mov_b64 s[0:1], 0
	s_mov_b64 s[2:3], -1
	s_mov_b64 s[48:49], s[44:45]
	s_branch .LBB62_360
.LBB62_359:
	s_mov_b64 s[0:1], 0
.LBB62_360:
	s_and_b64 s[52:53], s[2:3], exec
	s_and_b64 s[50:51], s[0:1], exec
	s_andn2_b64 s[0:1], s[44:45], exec
	s_and_b64 s[2:3], s[48:49], exec
	s_or_b64 s[48:49], s[0:1], s[2:3]
.LBB62_361:
	s_or_b64 exec, exec, s[46:47]
	s_andn2_b64 s[0:1], s[44:45], exec
	s_and_b64 s[2:3], s[48:49], exec
	s_and_b64 s[52:53], s[52:53], exec
	;; [unrolled: 1-line block ×3, first 2 shown]
	s_or_b64 s[44:45], s[0:1], s[2:3]
.LBB62_362:
	s_or_b64 exec, exec, s[42:43]
	s_andn2_b64 s[0:1], s[38:39], exec
	s_and_b64 s[2:3], s[44:45], exec
	s_and_b64 s[42:43], s[52:53], exec
	;; [unrolled: 1-line block ×3, first 2 shown]
	s_or_b64 s[38:39], s[0:1], s[2:3]
.LBB62_363:
	s_or_b64 exec, exec, s[40:41]
	s_andn2_b64 s[0:1], s[34:35], exec
	s_and_b64 s[2:3], s[38:39], exec
	s_and_b64 s[42:43], s[42:43], exec
	;; [unrolled: 1-line block ×3, first 2 shown]
	s_or_b64 s[34:35], s[0:1], s[2:3]
	s_or_b64 exec, exec, s[36:37]
	s_mov_b64 s[0:1], 0
	s_and_saveexec_b64 s[2:3], s[34:35]
	s_cbranch_execz .LBB62_110
.LBB62_364:
	s_mov_b64 s[0:1], exec
	s_andn2_b64 s[40:41], s[40:41], exec
	s_trap 2
	s_or_b64 exec, exec, s[2:3]
	s_and_saveexec_b64 s[2:3], s[40:41]
	s_xor_b64 s[2:3], exec, s[2:3]
	s_cbranch_execnz .LBB62_111
.LBB62_365:
	s_or_b64 exec, exec, s[2:3]
	s_and_saveexec_b64 s[2:3], s[42:43]
	s_xor_b64 s[2:3], exec, s[2:3]
	s_cbranch_execz .LBB62_403
.LBB62_366:
	s_sext_i32_i16 s16, s65
	s_cmp_lt_i32 s16, 5
	s_mov_b64 s[4:5], -1
	s_cbranch_scc1 .LBB62_387
; %bb.367:
	s_cmp_lt_i32 s16, 8
	s_cbranch_scc1 .LBB62_377
; %bb.368:
	s_cmp_lt_i32 s16, 9
	s_cbranch_scc1 .LBB62_374
; %bb.369:
	s_cmp_gt_i32 s16, 9
	s_cbranch_scc0 .LBB62_371
; %bb.370:
	v_mov_b32_e32 v9, s8
	v_mov_b32_e32 v10, s9
	;; [unrolled: 1-line block ×4, first 2 shown]
	s_mov_b64 s[4:5], 0
	global_store_dwordx4 v[6:7], v[9:12], off
.LBB62_371:
	s_andn2_b64 vcc, exec, s[4:5]
	s_cbranch_vccnz .LBB62_373
; %bb.372:
	global_store_dwordx2 v[6:7], v[2:3], off
.LBB62_373:
	s_mov_b64 s[4:5], 0
.LBB62_374:
	s_andn2_b64 vcc, exec, s[4:5]
	s_cbranch_vccnz .LBB62_376
; %bb.375:
	v_mov_b32_e32 v1, s56
	global_store_dword v[6:7], v1, off
.LBB62_376:
	s_mov_b64 s[4:5], 0
.LBB62_377:
	s_andn2_b64 vcc, exec, s[4:5]
	s_cbranch_vccnz .LBB62_386
; %bb.378:
	s_sext_i32_i16 s16, s65
	s_cmp_lt_i32 s16, 6
	s_mov_b64 s[4:5], -1
	s_cbranch_scc1 .LBB62_384
; %bb.379:
	s_cmp_gt_i32 s16, 6
	s_cbranch_scc0 .LBB62_381
; %bb.380:
	v_mov_b32_e32 v10, s9
	v_mov_b32_e32 v9, s8
	s_mov_b64 s[4:5], 0
	global_store_dwordx2 v[6:7], v[9:10], off
.LBB62_381:
	s_andn2_b64 vcc, exec, s[4:5]
	s_cbranch_vccnz .LBB62_383
; %bb.382:
	global_store_dword v[6:7], v2, off
.LBB62_383:
	s_mov_b64 s[4:5], 0
.LBB62_384:
	s_andn2_b64 vcc, exec, s[4:5]
	s_cbranch_vccnz .LBB62_386
; %bb.385:
	v_mov_b32_e32 v1, s55
	global_store_short v[6:7], v1, off
.LBB62_386:
	s_mov_b64 s[4:5], 0
.LBB62_387:
	s_andn2_b64 vcc, exec, s[4:5]
	s_cbranch_vccnz .LBB62_403
; %bb.388:
	s_sext_i32_i16 s16, s65
	s_cmp_lt_i32 s16, 2
	s_mov_b64 s[4:5], -1
	s_cbranch_scc1 .LBB62_398
; %bb.389:
	s_cmp_lt_i32 s16, 3
	s_cbranch_scc1 .LBB62_395
; %bb.390:
	s_cmp_gt_i32 s16, 3
	s_cbranch_scc0 .LBB62_392
; %bb.391:
	s_mov_b64 s[4:5], 0
	global_store_dwordx2 v[6:7], v[4:5], off
.LBB62_392:
	s_andn2_b64 vcc, exec, s[4:5]
	s_cbranch_vccnz .LBB62_394
; %bb.393:
	global_store_dword v[6:7], v8, off
.LBB62_394:
	s_mov_b64 s[4:5], 0
.LBB62_395:
	s_andn2_b64 vcc, exec, s[4:5]
	s_cbranch_vccnz .LBB62_397
; %bb.396:
	global_store_short v[6:7], v8, off
.LBB62_397:
	s_mov_b64 s[4:5], 0
.LBB62_398:
	s_andn2_b64 vcc, exec, s[4:5]
	s_cbranch_vccnz .LBB62_403
; %bb.399:
	s_sext_i32_i16 s4, s65
	s_cmp_gt_i32 s4, 0
	s_mov_b64 s[4:5], -1
	s_cbranch_scc0 .LBB62_401
; %bb.400:
	s_mov_b64 s[4:5], 0
	global_store_byte v[6:7], v8, off
.LBB62_401:
	s_andn2_b64 vcc, exec, s[4:5]
	s_cbranch_vccnz .LBB62_403
; %bb.402:
	global_store_byte v[6:7], v0, off
.LBB62_403:
	s_or_b64 exec, exec, s[2:3]
	s_and_b64 s[0:1], s[0:1], exec
                                        ; implicit-def: $vgpr16
.LBB62_404:
	s_or_saveexec_b64 s[2:3], s[14:15]
	s_mov_b64 s[14:15], 0
                                        ; implicit-def: $sgpr20
                                        ; implicit-def: $vgpr0_vgpr1
	s_xor_b64 exec, exec, s[2:3]
	s_cbranch_execz .LBB62_433
; %bb.405:
	v_mul_lo_u32 v2, s33, v16
	v_mov_b32_e32 v1, s13
	s_and_b32 s20, s54, 0xff
	s_cmp_lt_i32 s20, 11
	v_ashrrev_i32_e32 v3, 31, v2
	v_add_co_u32_e32 v0, vcc, s12, v2
	v_addc_co_u32_e32 v1, vcc, v1, v3, vcc
	s_cbranch_scc1 .LBB62_436
; %bb.406:
	s_and_b32 s18, 0xffff, s20
	s_mov_b64 s[16:17], -1
	s_cmp_gt_i32 s18, 25
	s_mov_b64 s[4:5], 0
	s_cbranch_scc0 .LBB62_446
; %bb.407:
	s_cmp_gt_i32 s18, 28
	s_cbranch_scc0 .LBB62_422
; %bb.408:
	s_cmp_gt_i32 s18, 43
	;; [unrolled: 3-line block ×3, first 2 shown]
	s_cbranch_scc0 .LBB62_412
; %bb.410:
	s_mov_b64 s[4:5], -1
	s_mov_b64 s[16:17], 0
	s_cmp_eq_u32 s18, 46
	s_cbranch_scc0 .LBB62_412
; %bb.411:
	v_cvt_f32_f64_e32 v4, s[10:11]
	v_cvt_f32_f64_e32 v3, s[8:9]
	v_mov_b32_e32 v7, 0x7fc00000
	s_mov_b64 s[4:5], 0
	v_bfe_u32 v6, v4, 16, 1
	v_add_u32_e32 v6, v4, v6
	v_bfe_u32 v5, v3, 16, 1
	v_add_u32_e32 v6, 0x7fff, v6
	v_add_u32_e32 v5, v3, v5
	v_and_b32_e32 v6, 0xffff0000, v6
	v_cmp_o_f32_e32 vcc, v4, v4
	v_add_u32_e32 v5, 0x7fff, v5
	v_cndmask_b32_e32 v4, v7, v6, vcc
	v_cmp_o_f32_e32 vcc, v3, v3
	v_mov_b32_e32 v3, 0x7fc0
	v_cndmask_b32_sdwa v3, v3, v5, vcc dst_sel:DWORD dst_unused:UNUSED_PAD src0_sel:DWORD src1_sel:WORD_1
	v_or_b32_e32 v3, v4, v3
	global_store_dword v[0:1], v3, off
	s_mov_b64 s[14:15], -1
.LBB62_412:
	s_and_b64 vcc, exec, s[16:17]
	s_cbranch_vccz .LBB62_417
; %bb.413:
	s_cmp_eq_u32 s18, 44
	s_mov_b64 s[4:5], -1
	s_cbranch_scc0 .LBB62_417
; %bb.414:
	v_cvt_f32_f64_e32 v3, s[8:9]
	v_mov_b32_e32 v4, 0xff
	v_readfirstlane_b32 s4, v3
	s_bfe_u32 s5, s4, 0x80017
	s_cmpk_eq_i32 s5, 0xff
	s_cbranch_scc1 .LBB62_416
; %bb.415:
	s_bitcmp1_b32 s4, 22
	s_cselect_b64 s[14:15], -1, 0
	s_and_b32 s4, s4, 0x3fffff
	s_or_b32 s4, s5, s4
	s_cmp_lg_u32 s4, 0
	s_cselect_b64 s[4:5], -1, 0
	s_and_b64 s[4:5], s[14:15], s[4:5]
	v_lshrrev_b32_e32 v3, 23, v3
	v_cndmask_b32_e64 v4, 0, 1, s[4:5]
	v_add_u32_e32 v4, v3, v4
.LBB62_416:
	s_mov_b64 s[4:5], 0
	s_mov_b64 s[14:15], -1
	global_store_byte v[0:1], v4, off
.LBB62_417:
	s_mov_b64 s[16:17], 0
.LBB62_418:
	s_and_b64 vcc, exec, s[16:17]
	s_cbranch_vccz .LBB62_421
; %bb.419:
	s_cmp_eq_u32 s18, 29
	s_mov_b64 s[4:5], -1
	s_cbranch_scc0 .LBB62_421
; %bb.420:
	v_trunc_f64_e32 v[3:4], s[8:9]
	s_movk_i32 s4, 0xffe0
	s_mov_b64 s[14:15], -1
	v_ldexp_f64 v[5:6], v[3:4], s4
	s_mov_b32 s4, 0
	s_mov_b32 s5, 0xc1f00000
	v_floor_f64_e32 v[5:6], v[5:6]
	v_fma_f64 v[3:4], v[5:6], s[4:5], v[3:4]
	v_cvt_u32_f64_e32 v5, v[5:6]
	s_mov_b64 s[4:5], 0
	v_cvt_u32_f64_e32 v4, v[3:4]
	global_store_dwordx2 v[0:1], v[4:5], off
.LBB62_421:
	s_mov_b64 s[16:17], 0
.LBB62_422:
	s_and_b64 vcc, exec, s[16:17]
	s_cbranch_vccz .LBB62_445
; %bb.423:
	s_cmp_lt_i32 s18, 27
	s_mov_b64 s[14:15], -1
	s_cbranch_scc1 .LBB62_429
; %bb.424:
	s_cmp_gt_i32 s18, 27
	s_cbranch_scc0 .LBB62_426
; %bb.425:
	v_cvt_u32_f64_e32 v3, s[8:9]
	s_mov_b64 s[14:15], 0
	global_store_dword v[0:1], v3, off
.LBB62_426:
	s_andn2_b64 vcc, exec, s[14:15]
	s_cbranch_vccnz .LBB62_428
; %bb.427:
	v_cvt_u32_f64_e32 v3, s[8:9]
	global_store_short v[0:1], v3, off
.LBB62_428:
	s_mov_b64 s[14:15], 0
.LBB62_429:
	s_andn2_b64 vcc, exec, s[14:15]
	s_cbranch_vccnz .LBB62_444
; %bb.430:
	v_cvt_f32_f64_e32 v3, s[8:9]
	v_mov_b32_e32 v4, 0x80
	v_readfirstlane_b32 s19, v3
	s_and_b32 s14, s19, 0x7fffffff
	s_cmp_gt_u32 s14, 0x437fffff
	s_cbranch_scc1 .LBB62_443
; %bb.431:
	s_cmp_gt_u32 s14, 0x3bffffff
	s_cbranch_scc0 .LBB62_438
; %bb.432:
	s_bfe_u32 s14, s19, 0x10014
	s_add_i32 s14, s19, s14
	s_add_i32 s14, s14, 0x487ffff
	s_lshr_b32 s21, s14, 20
	s_mov_b64 s[16:17], 0
	s_mov_b64 s[14:15], -1
	s_branch .LBB62_439
.LBB62_433:
	s_or_b64 exec, exec, s[2:3]
	s_and_saveexec_b64 s[2:3], s[0:1]
	s_cbranch_execz .LBB62_834
.LBB62_434:
	; divergent unreachable
	s_or_b64 exec, exec, s[2:3]
	s_and_saveexec_b64 s[0:1], s[6:7]
	s_xor_b64 s[0:1], exec, s[0:1]
	s_cbranch_execnz .LBB62_835
.LBB62_435:
	s_or_b64 exec, exec, s[0:1]
	s_and_saveexec_b64 s[0:1], s[14:15]
	s_cbranch_execnz .LBB62_836
	s_branch .LBB62_873
.LBB62_436:
	s_mov_b64 s[4:5], s[0:1]
	s_cbranch_execnz .LBB62_496
.LBB62_437:
	s_andn2_b64 vcc, exec, s[14:15]
	s_cbranch_vccz .LBB62_534
	s_branch .LBB62_832
.LBB62_438:
	s_mov_b64 s[16:17], -1
	s_mov_b64 s[14:15], 0
                                        ; implicit-def: $sgpr21
.LBB62_439:
	s_andn2_b64 vcc, exec, s[16:17]
	v_mov_b32_e32 v3, s21
	s_cbranch_vccnz .LBB62_441
; %bb.440:
	v_mov_b32_e32 v3, 0x46000000
	v_add_f32_e64 v3, |s19|, v3
	v_and_b32_e32 v3, 0xff, v3
	v_cmp_ne_u32_e64 s[14:15], 0, v3
.LBB62_441:
	s_andn2_b64 vcc, exec, s[14:15]
	v_mov_b32_e32 v4, 0
	s_cbranch_vccnz .LBB62_443
; %bb.442:
	s_lshr_b32 s14, s19, 24
	s_and_b32 s14, s14, 0x80
	v_or_b32_e32 v4, s14, v3
.LBB62_443:
	global_store_byte v[0:1], v4, off
.LBB62_444:
	s_mov_b64 s[14:15], -1
.LBB62_445:
	s_mov_b64 s[16:17], 0
.LBB62_446:
	s_and_b64 vcc, exec, s[16:17]
	s_cbranch_vccz .LBB62_492
; %bb.447:
	s_cmp_gt_i32 s18, 22
	s_mov_b64 s[6:7], -1
	s_cbranch_scc0 .LBB62_485
; %bb.448:
	s_cmp_lt_i32 s18, 24
	s_cbranch_scc1 .LBB62_472
; %bb.449:
	s_cmp_gt_i32 s18, 24
	s_cbranch_scc0 .LBB62_459
; %bb.450:
	v_cvt_f32_f64_e32 v3, s[8:9]
	v_mov_b32_e32 v4, 0x80
	v_readfirstlane_b32 s16, v3
	s_and_b32 s6, s16, 0x7fffffff
	s_cmp_gt_u32 s6, 0x477fffff
	s_cbranch_scc1 .LBB62_458
; %bb.451:
	s_cmp_gt_u32 s6, 0x37ffffff
	s_cbranch_scc0 .LBB62_453
; %bb.452:
	s_bfe_u32 s6, s16, 0x10015
	s_add_i32 s6, s16, s6
	s_add_i32 s6, s6, 0x88fffff
	s_lshr_b32 s17, s6, 21
	s_mov_b64 s[14:15], 0
	s_mov_b64 s[6:7], -1
	s_branch .LBB62_454
.LBB62_453:
	s_mov_b64 s[14:15], -1
	s_mov_b64 s[6:7], 0
                                        ; implicit-def: $sgpr17
.LBB62_454:
	s_andn2_b64 vcc, exec, s[14:15]
	v_mov_b32_e32 v3, s17
	s_cbranch_vccnz .LBB62_456
; %bb.455:
	v_mov_b32_e32 v3, 0x42800000
	v_add_f32_e64 v3, |s16|, v3
	v_and_b32_e32 v3, 0xff, v3
	v_cmp_ne_u32_e64 s[6:7], 0, v3
.LBB62_456:
	s_andn2_b64 vcc, exec, s[6:7]
	v_mov_b32_e32 v4, 0
	s_cbranch_vccnz .LBB62_458
; %bb.457:
	s_lshr_b32 s6, s16, 24
	s_and_b32 s6, s6, 0x80
	v_or_b32_e32 v4, s6, v3
.LBB62_458:
	s_mov_b64 s[6:7], 0
	global_store_byte v[0:1], v4, off
.LBB62_459:
	s_and_b64 vcc, exec, s[6:7]
	s_cbranch_vccz .LBB62_471
; %bb.460:
	v_cvt_f32_f64_e32 v3, s[8:9]
	v_readfirstlane_b32 s14, v3
	s_and_b32 s15, s14, 0x7fffffff
	s_cmp_lt_u32 s15, 0x43f00000
	s_cbranch_scc0 .LBB62_463
; %bb.461:
	s_cmp_gt_u32 s15, 0x3c7fffff
	s_cbranch_scc0 .LBB62_464
; %bb.462:
	s_bfe_u32 s6, s14, 0x10014
	s_add_i32 s6, s14, s6
	s_add_i32 s6, s6, 0x407ffff
	s_lshr_b32 s7, s6, 20
	s_and_b32 s6, s6, 0xff00000
	s_cmp_lg_u32 s6, 0x7f00000
	s_cselect_b32 s16, s7, 0x7e
	s_mov_b64 s[6:7], 0
	s_branch .LBB62_465
.LBB62_463:
	s_mov_b64 s[6:7], -1
                                        ; implicit-def: $vgpr4
	s_branch .LBB62_468
.LBB62_464:
	s_mov_b64 s[6:7], -1
                                        ; implicit-def: $sgpr16
.LBB62_465:
	s_andn2_b64 vcc, exec, s[6:7]
	v_mov_b32_e32 v4, s16
	s_cbranch_vccnz .LBB62_467
; %bb.466:
	s_mov_b32 s6, 0x46800000
	v_add_f32_e64 v4, |v3|, s6
.LBB62_467:
	s_mov_b64 s[6:7], 0
.LBB62_468:
	s_andn2_b64 vcc, exec, s[6:7]
	s_cbranch_vccnz .LBB62_470
; %bb.469:
	s_cmp_gt_u32 s15, 0x7f800000
	s_movk_i32 s6, 0x7f
	s_cselect_b32 s6, s6, 0x7e
	v_mov_b32_e32 v4, s6
.LBB62_470:
	s_lshr_b32 s6, s14, 24
	s_and_b32 s6, s6, 0x80
	v_or_b32_e32 v3, s6, v4
	global_store_byte v[0:1], v3, off
.LBB62_471:
	s_mov_b64 s[6:7], 0
.LBB62_472:
	s_andn2_b64 vcc, exec, s[6:7]
	s_cbranch_vccnz .LBB62_484
; %bb.473:
	v_cvt_f32_f64_e32 v3, s[8:9]
	v_readfirstlane_b32 s14, v3
	s_and_b32 s15, s14, 0x7fffffff
	s_cmp_lt_u32 s15, 0x47800000
	s_cbranch_scc0 .LBB62_476
; %bb.474:
	s_cmp_gt_u32 s15, 0x387fffff
	s_cbranch_scc0 .LBB62_477
; %bb.475:
	s_bfe_u32 s6, s14, 0x10015
	s_add_i32 s6, s14, s6
	s_add_i32 s6, s6, 0x80fffff
	s_lshr_b32 s16, s6, 21
	s_mov_b64 s[6:7], 0
	s_branch .LBB62_478
.LBB62_476:
	s_mov_b64 s[6:7], -1
                                        ; implicit-def: $vgpr4
	s_branch .LBB62_481
.LBB62_477:
	s_mov_b64 s[6:7], -1
                                        ; implicit-def: $sgpr16
.LBB62_478:
	s_andn2_b64 vcc, exec, s[6:7]
	v_mov_b32_e32 v4, s16
	s_cbranch_vccnz .LBB62_480
; %bb.479:
	s_mov_b32 s6, 0x43000000
	v_add_f32_e64 v4, |v3|, s6
.LBB62_480:
	s_mov_b64 s[6:7], 0
.LBB62_481:
	s_andn2_b64 vcc, exec, s[6:7]
	s_cbranch_vccnz .LBB62_483
; %bb.482:
	s_cmp_gt_u32 s15, 0x7f800000
	s_movk_i32 s6, 0x7f
	s_cselect_b32 s6, s6, 0x7c
	v_mov_b32_e32 v4, s6
.LBB62_483:
	s_lshr_b32 s6, s14, 24
	s_and_b32 s6, s6, 0x80
	v_or_b32_e32 v3, s6, v4
	global_store_byte v[0:1], v3, off
.LBB62_484:
	s_mov_b64 s[6:7], 0
	s_mov_b64 s[14:15], -1
.LBB62_485:
	s_andn2_b64 vcc, exec, s[6:7]
	s_mov_b64 s[6:7], 0
	s_cbranch_vccnz .LBB62_492
; %bb.486:
	s_cmp_gt_i32 s18, 14
	s_mov_b64 s[16:17], -1
	s_cbranch_scc0 .LBB62_490
; %bb.487:
	s_cmp_eq_u32 s18, 15
	s_mov_b64 s[4:5], -1
	s_cbranch_scc0 .LBB62_489
; %bb.488:
	v_cvt_f32_f64_e32 v3, s[8:9]
	v_mov_b32_e32 v4, 0x7fc0
	s_mov_b64 s[4:5], 0
	s_mov_b64 s[14:15], -1
	v_bfe_u32 v5, v3, 16, 1
	v_cmp_o_f32_e32 vcc, v3, v3
	v_add_u32_e32 v3, v3, v5
	v_add_u32_e32 v3, 0x7fff, v3
	v_cndmask_b32_sdwa v3, v4, v3, vcc dst_sel:DWORD dst_unused:UNUSED_PAD src0_sel:DWORD src1_sel:WORD_1
	global_store_short v[0:1], v3, off
.LBB62_489:
	s_mov_b64 s[16:17], 0
.LBB62_490:
	s_and_b64 vcc, exec, s[16:17]
	s_cbranch_vccz .LBB62_492
; %bb.491:
	s_cmp_lg_u32 s18, 11
	s_mov_b64 s[6:7], -1
	s_cselect_b64 s[4:5], -1, 0
.LBB62_492:
	s_and_b64 vcc, exec, s[4:5]
	s_mov_b64 s[4:5], s[0:1]
	s_cbranch_vccnz .LBB62_564
; %bb.493:
	s_andn2_b64 vcc, exec, s[6:7]
	s_cbranch_vccnz .LBB62_495
.LBB62_494:
	v_cmp_neq_f64_e64 s[6:7], s[8:9], 0
	v_cmp_neq_f64_e64 s[14:15], s[10:11], 0
	s_or_b64 s[6:7], s[6:7], s[14:15]
	v_cndmask_b32_e64 v3, 0, 1, s[6:7]
	s_mov_b64 s[14:15], -1
	global_store_byte v[0:1], v3, off
.LBB62_495:
	s_branch .LBB62_437
.LBB62_496:
	s_and_b32 s14, 0xffff, s20
	s_cmp_lt_i32 s14, 5
	s_mov_b64 s[6:7], -1
	s_cbranch_scc1 .LBB62_517
; %bb.497:
	s_cmp_lt_i32 s14, 8
	s_cbranch_scc1 .LBB62_507
; %bb.498:
	s_cmp_lt_i32 s14, 9
	s_cbranch_scc1 .LBB62_504
; %bb.499:
	s_cmp_gt_i32 s14, 9
	s_cbranch_scc0 .LBB62_501
; %bb.500:
	v_mov_b32_e32 v3, s8
	v_mov_b32_e32 v4, s9
	;; [unrolled: 1-line block ×4, first 2 shown]
	global_store_dwordx4 v[0:1], v[3:6], off
	s_mov_b64 s[6:7], 0
.LBB62_501:
	s_andn2_b64 vcc, exec, s[6:7]
	s_cbranch_vccnz .LBB62_503
; %bb.502:
	v_cvt_f32_f64_e32 v3, s[8:9]
	v_cvt_f32_f64_e32 v4, s[10:11]
	global_store_dwordx2 v[0:1], v[3:4], off
.LBB62_503:
	s_mov_b64 s[6:7], 0
.LBB62_504:
	s_andn2_b64 vcc, exec, s[6:7]
	s_cbranch_vccnz .LBB62_506
; %bb.505:
	s_lshr_b32 s6, s9, 8
	s_and_b32 s15, s6, 0xffe
	s_and_b32 s6, s9, 0x1ff
	s_or_b32 s6, s6, s8
	s_cmp_lg_u32 s6, 0
	s_cselect_b64 s[6:7], -1, 0
	v_cndmask_b32_e64 v3, 0, 1, s[6:7]
	v_readfirstlane_b32 s6, v3
	s_or_b32 s6, s15, s6
	s_bfe_u32 s15, s9, 0xb0014
	s_sub_i32 s16, 0x3f1, s15
	v_med3_i32 v3, s16, 0, 13
	s_or_b32 s7, s6, 0x1000
	v_readfirstlane_b32 s16, v3
	s_lshr_b32 s17, s7, s16
	s_lshl_b32 s16, s17, s16
	s_cmp_lg_u32 s16, s7
	s_cselect_b32 s7, 1, 0
	s_addk_i32 s15, 0xfc10
	s_lshl_b32 s16, s15, 12
	s_or_b32 s7, s17, s7
	s_or_b32 s16, s6, s16
	s_cmp_lt_i32 s15, 1
	s_cselect_b32 s7, s7, s16
	s_and_b32 s16, s7, 7
	s_cmp_gt_i32 s16, 5
	s_cselect_b32 s17, 1, 0
	s_cmp_eq_u32 s16, 3
	s_cselect_b32 s16, 1, 0
	s_or_b32 s16, s16, s17
	s_lshr_b32 s7, s7, 2
	s_add_i32 s7, s7, s16
	s_cmp_lt_i32 s15, 31
	s_cselect_b32 s7, s7, 0x7c00
	s_cmp_lg_u32 s6, 0
	s_movk_i32 s16, 0x7e00
	s_cselect_b32 s6, s16, 0x7c00
	s_cmpk_eq_i32 s15, 0x40f
	s_cselect_b32 s6, s6, s7
	s_lshr_b32 s7, s9, 16
	s_and_b32 s7, s7, 0x8000
	s_or_b32 s15, s7, s6
	s_lshr_b32 s6, s11, 8
	s_and_b32 s17, s6, 0xffe
	s_and_b32 s6, s11, 0x1ff
	s_or_b32 s6, s6, s10
	s_cmp_lg_u32 s6, 0
	s_cselect_b64 s[6:7], -1, 0
	v_cndmask_b32_e64 v3, 0, 1, s[6:7]
	v_readfirstlane_b32 s6, v3
	s_or_b32 s6, s17, s6
	s_bfe_u32 s17, s11, 0xb0014
	s_sub_i32 s18, 0x3f1, s17
	v_med3_i32 v3, s18, 0, 13
	s_or_b32 s7, s6, 0x1000
	v_readfirstlane_b32 s18, v3
	s_lshr_b32 s19, s7, s18
	s_lshl_b32 s18, s19, s18
	s_cmp_lg_u32 s18, s7
	s_cselect_b32 s7, 1, 0
	s_addk_i32 s17, 0xfc10
	s_lshl_b32 s18, s17, 12
	s_or_b32 s7, s19, s7
	s_or_b32 s18, s6, s18
	s_cmp_lt_i32 s17, 1
	s_cselect_b32 s7, s7, s18
	s_and_b32 s18, s7, 7
	s_cmp_gt_i32 s18, 5
	s_cselect_b32 s19, 1, 0
	s_cmp_eq_u32 s18, 3
	s_cselect_b32 s18, 1, 0
	s_or_b32 s18, s18, s19
	s_lshr_b32 s7, s7, 2
	s_add_i32 s7, s7, s18
	s_cmp_lt_i32 s17, 31
	s_cselect_b32 s7, s7, 0x7c00
	s_cmp_lg_u32 s6, 0
	s_cselect_b32 s6, s16, 0x7c00
	s_cmpk_eq_i32 s17, 0x40f
	s_cselect_b32 s6, s6, s7
	s_lshr_b32 s7, s11, 16
	s_and_b32 s7, s7, 0x8000
	s_or_b32 s6, s7, s6
	s_lshl_b32 s6, s6, 16
	s_and_b32 s7, s15, 0xffff
	s_or_b32 s6, s6, s7
	v_mov_b32_e32 v3, s6
	global_store_dword v[0:1], v3, off
.LBB62_506:
	s_mov_b64 s[6:7], 0
.LBB62_507:
	s_andn2_b64 vcc, exec, s[6:7]
	s_cbranch_vccnz .LBB62_516
; %bb.508:
	s_cmp_lt_i32 s14, 6
	s_mov_b64 s[6:7], -1
	s_cbranch_scc1 .LBB62_514
; %bb.509:
	s_cmp_gt_i32 s14, 6
	s_cbranch_scc0 .LBB62_511
; %bb.510:
	v_mov_b32_e32 v3, s8
	v_mov_b32_e32 v4, s9
	global_store_dwordx2 v[0:1], v[3:4], off
	s_mov_b64 s[6:7], 0
.LBB62_511:
	s_andn2_b64 vcc, exec, s[6:7]
	s_cbranch_vccnz .LBB62_513
; %bb.512:
	v_cvt_f32_f64_e32 v3, s[8:9]
	global_store_dword v[0:1], v3, off
.LBB62_513:
	s_mov_b64 s[6:7], 0
.LBB62_514:
	s_andn2_b64 vcc, exec, s[6:7]
	s_cbranch_vccnz .LBB62_516
; %bb.515:
	s_lshr_b32 s6, s9, 8
	s_and_b32 s15, s6, 0xffe
	s_and_b32 s6, s9, 0x1ff
	s_or_b32 s6, s6, s8
	s_cmp_lg_u32 s6, 0
	s_cselect_b64 s[6:7], -1, 0
	v_cndmask_b32_e64 v3, 0, 1, s[6:7]
	v_readfirstlane_b32 s6, v3
	s_or_b32 s6, s15, s6
	s_bfe_u32 s15, s9, 0xb0014
	s_sub_i32 s16, 0x3f1, s15
	v_med3_i32 v3, s16, 0, 13
	s_or_b32 s7, s6, 0x1000
	v_readfirstlane_b32 s16, v3
	s_lshr_b32 s17, s7, s16
	s_lshl_b32 s16, s17, s16
	s_cmp_lg_u32 s16, s7
	s_cselect_b32 s7, 1, 0
	s_addk_i32 s15, 0xfc10
	s_lshl_b32 s16, s15, 12
	s_or_b32 s7, s17, s7
	s_or_b32 s16, s6, s16
	s_cmp_lt_i32 s15, 1
	s_cselect_b32 s7, s7, s16
	s_and_b32 s16, s7, 7
	s_cmp_gt_i32 s16, 5
	s_cselect_b32 s17, 1, 0
	s_cmp_eq_u32 s16, 3
	s_cselect_b32 s16, 1, 0
	s_or_b32 s16, s16, s17
	s_lshr_b32 s7, s7, 2
	s_add_i32 s7, s7, s16
	s_cmp_lt_i32 s15, 31
	s_cselect_b32 s7, s7, 0x7c00
	s_cmp_lg_u32 s6, 0
	s_movk_i32 s6, 0x7e00
	s_cselect_b32 s6, s6, 0x7c00
	s_cmpk_eq_i32 s15, 0x40f
	s_cselect_b32 s6, s6, s7
	s_lshr_b32 s7, s9, 16
	s_and_b32 s7, s7, 0x8000
	s_or_b32 s6, s7, s6
	v_mov_b32_e32 v3, s6
	global_store_short v[0:1], v3, off
.LBB62_516:
	s_mov_b64 s[6:7], 0
.LBB62_517:
	s_andn2_b64 vcc, exec, s[6:7]
	s_cbranch_vccnz .LBB62_533
; %bb.518:
	s_cmp_lt_i32 s14, 2
	s_mov_b64 s[6:7], -1
	s_cbranch_scc1 .LBB62_528
; %bb.519:
	s_cmp_lt_i32 s14, 3
	s_cbranch_scc1 .LBB62_525
; %bb.520:
	s_cmp_gt_i32 s14, 3
	s_cbranch_scc0 .LBB62_522
; %bb.521:
	v_trunc_f64_e32 v[3:4], s[8:9]
	s_movk_i32 s6, 0xffe0
	v_ldexp_f64 v[5:6], v[3:4], s6
	s_mov_b32 s6, 0
	s_mov_b32 s7, 0xc1f00000
	v_floor_f64_e32 v[5:6], v[5:6]
	v_fma_f64 v[3:4], v[5:6], s[6:7], v[3:4]
	v_cvt_i32_f64_e32 v5, v[5:6]
	s_mov_b64 s[6:7], 0
	v_cvt_u32_f64_e32 v4, v[3:4]
	global_store_dwordx2 v[0:1], v[4:5], off
.LBB62_522:
	s_andn2_b64 vcc, exec, s[6:7]
	s_cbranch_vccnz .LBB62_524
; %bb.523:
	v_cvt_i32_f64_e32 v3, s[8:9]
	global_store_dword v[0:1], v3, off
.LBB62_524:
	s_mov_b64 s[6:7], 0
.LBB62_525:
	s_andn2_b64 vcc, exec, s[6:7]
	s_cbranch_vccnz .LBB62_527
; %bb.526:
	v_cvt_i32_f64_e32 v3, s[8:9]
	global_store_short v[0:1], v3, off
.LBB62_527:
	s_mov_b64 s[6:7], 0
.LBB62_528:
	s_andn2_b64 vcc, exec, s[6:7]
	s_cbranch_vccnz .LBB62_533
; %bb.529:
	s_cmp_gt_i32 s14, 0
	s_mov_b64 s[6:7], -1
	s_cbranch_scc0 .LBB62_531
; %bb.530:
	v_cvt_i32_f64_e32 v3, s[8:9]
	s_mov_b64 s[6:7], 0
	global_store_byte v[0:1], v3, off
.LBB62_531:
	s_andn2_b64 vcc, exec, s[6:7]
	s_cbranch_vccnz .LBB62_533
; %bb.532:
	v_trunc_f64_e32 v[3:4], s[8:9]
	s_movk_i32 s6, 0xffe0
	v_ldexp_f64 v[5:6], v[3:4], s6
	s_mov_b32 s6, 0
	s_mov_b32 s7, 0xc1f00000
	v_floor_f64_e32 v[5:6], v[5:6]
	v_fma_f64 v[3:4], v[5:6], s[6:7], v[3:4]
	v_cvt_u32_f64_e32 v3, v[3:4]
	global_store_byte v[0:1], v3, off
.LBB62_533:
.LBB62_534:
	s_lshl_b32 s21, s33, 7
	v_add_u32_e32 v2, s21, v2
	v_ashrrev_i32_e32 v1, 31, v2
	v_mov_b32_e32 v3, s13
	v_add_co_u32_e32 v0, vcc, s12, v2
	s_cmp_lt_i32 s20, 11
	v_addc_co_u32_e32 v1, vcc, v3, v1, vcc
	s_cbranch_scc1 .LBB62_562
; %bb.535:
	s_and_b32 s22, 0xffff, s20
	s_mov_b64 s[18:19], -1
	s_mov_b64 s[14:15], 0
	s_cmp_gt_i32 s22, 25
	s_mov_b64 s[16:17], 0
	s_mov_b64 s[6:7], 0
	s_cbranch_scc0 .LBB62_573
; %bb.536:
	s_cmp_gt_i32 s22, 28
	s_cbranch_scc0 .LBB62_551
; %bb.537:
	s_cmp_gt_i32 s22, 43
	;; [unrolled: 3-line block ×3, first 2 shown]
	s_cbranch_scc0 .LBB62_541
; %bb.539:
	s_mov_b64 s[6:7], -1
	s_mov_b64 s[18:19], 0
	s_cmp_eq_u32 s22, 46
	s_cbranch_scc0 .LBB62_541
; %bb.540:
	v_cvt_f32_f64_e32 v4, s[10:11]
	v_cvt_f32_f64_e32 v3, s[8:9]
	v_mov_b32_e32 v7, 0x7fc00000
	s_mov_b64 s[6:7], 0
	v_bfe_u32 v6, v4, 16, 1
	v_add_u32_e32 v6, v4, v6
	v_bfe_u32 v5, v3, 16, 1
	v_add_u32_e32 v6, 0x7fff, v6
	v_add_u32_e32 v5, v3, v5
	v_and_b32_e32 v6, 0xffff0000, v6
	v_cmp_o_f32_e32 vcc, v4, v4
	v_add_u32_e32 v5, 0x7fff, v5
	v_cndmask_b32_e32 v4, v7, v6, vcc
	v_cmp_o_f32_e32 vcc, v3, v3
	v_mov_b32_e32 v3, 0x7fc0
	v_cndmask_b32_sdwa v3, v3, v5, vcc dst_sel:DWORD dst_unused:UNUSED_PAD src0_sel:DWORD src1_sel:WORD_1
	v_or_b32_e32 v3, v4, v3
	global_store_dword v[0:1], v3, off
	s_mov_b64 s[16:17], -1
.LBB62_541:
	s_and_b64 vcc, exec, s[18:19]
	s_cbranch_vccz .LBB62_546
; %bb.542:
	s_cmp_eq_u32 s22, 44
	s_mov_b64 s[6:7], -1
	s_cbranch_scc0 .LBB62_546
; %bb.543:
	v_cvt_f32_f64_e32 v3, s[8:9]
	v_mov_b32_e32 v4, 0xff
	v_readfirstlane_b32 s6, v3
	s_bfe_u32 s7, s6, 0x80017
	s_cmpk_eq_i32 s7, 0xff
	s_cbranch_scc1 .LBB62_545
; %bb.544:
	s_bitcmp1_b32 s6, 22
	s_cselect_b64 s[16:17], -1, 0
	s_and_b32 s6, s6, 0x3fffff
	s_or_b32 s6, s7, s6
	s_cmp_lg_u32 s6, 0
	s_cselect_b64 s[6:7], -1, 0
	s_and_b64 s[6:7], s[16:17], s[6:7]
	v_lshrrev_b32_e32 v3, 23, v3
	v_cndmask_b32_e64 v4, 0, 1, s[6:7]
	v_add_u32_e32 v4, v3, v4
.LBB62_545:
	s_mov_b64 s[6:7], 0
	s_mov_b64 s[16:17], -1
	global_store_byte v[0:1], v4, off
.LBB62_546:
	s_mov_b64 s[18:19], 0
.LBB62_547:
	s_and_b64 vcc, exec, s[18:19]
	s_cbranch_vccz .LBB62_550
; %bb.548:
	s_cmp_eq_u32 s22, 29
	s_mov_b64 s[6:7], -1
	s_cbranch_scc0 .LBB62_550
; %bb.549:
	v_trunc_f64_e32 v[3:4], s[8:9]
	s_movk_i32 s6, 0xffe0
	s_mov_b64 s[16:17], -1
	v_ldexp_f64 v[5:6], v[3:4], s6
	s_mov_b32 s6, 0
	s_mov_b32 s7, 0xc1f00000
	v_floor_f64_e32 v[5:6], v[5:6]
	v_fma_f64 v[3:4], v[5:6], s[6:7], v[3:4]
	v_cvt_u32_f64_e32 v5, v[5:6]
	s_mov_b64 s[6:7], 0
	v_cvt_u32_f64_e32 v4, v[3:4]
	global_store_dwordx2 v[0:1], v[4:5], off
.LBB62_550:
	s_mov_b64 s[18:19], 0
.LBB62_551:
	s_and_b64 vcc, exec, s[18:19]
	s_cbranch_vccz .LBB62_572
; %bb.552:
	s_cmp_lt_i32 s22, 27
	s_mov_b64 s[16:17], -1
	s_cbranch_scc1 .LBB62_558
; %bb.553:
	s_cmp_gt_i32 s22, 27
	s_cbranch_scc0 .LBB62_555
; %bb.554:
	v_cvt_u32_f64_e32 v3, s[8:9]
	s_mov_b64 s[16:17], 0
	global_store_dword v[0:1], v3, off
.LBB62_555:
	s_andn2_b64 vcc, exec, s[16:17]
	s_cbranch_vccnz .LBB62_557
; %bb.556:
	v_cvt_u32_f64_e32 v3, s[8:9]
	global_store_short v[0:1], v3, off
.LBB62_557:
	s_mov_b64 s[16:17], 0
.LBB62_558:
	s_andn2_b64 vcc, exec, s[16:17]
	s_cbranch_vccnz .LBB62_571
; %bb.559:
	v_cvt_f32_f64_e32 v3, s[8:9]
	v_mov_b32_e32 v4, 0x80
	v_readfirstlane_b32 s23, v3
	s_and_b32 s16, s23, 0x7fffffff
	s_cmp_gt_u32 s16, 0x437fffff
	s_cbranch_scc1 .LBB62_570
; %bb.560:
	s_cmp_gt_u32 s16, 0x3bffffff
	s_cbranch_scc0 .LBB62_565
; %bb.561:
	s_bfe_u32 s16, s23, 0x10014
	s_add_i32 s16, s23, s16
	s_add_i32 s16, s16, 0x487ffff
	s_lshr_b32 s24, s16, 20
	s_mov_b64 s[18:19], 0
	s_mov_b64 s[16:17], -1
	s_branch .LBB62_566
.LBB62_562:
	s_mov_b64 s[16:17], 0
	s_cbranch_execnz .LBB62_623
.LBB62_563:
	s_andn2_b64 vcc, exec, s[16:17]
	s_cbranch_vccz .LBB62_661
	s_branch .LBB62_832
.LBB62_564:
	s_or_b64 s[4:5], s[0:1], exec
	s_trap 2
	s_cbranch_execz .LBB62_494
	s_branch .LBB62_495
.LBB62_565:
	s_mov_b64 s[18:19], -1
	s_mov_b64 s[16:17], 0
                                        ; implicit-def: $sgpr24
.LBB62_566:
	s_andn2_b64 vcc, exec, s[18:19]
	v_mov_b32_e32 v3, s24
	s_cbranch_vccnz .LBB62_568
; %bb.567:
	v_mov_b32_e32 v3, 0x46000000
	v_add_f32_e64 v3, |s23|, v3
	v_and_b32_e32 v3, 0xff, v3
	v_cmp_ne_u32_e64 s[16:17], 0, v3
.LBB62_568:
	s_andn2_b64 vcc, exec, s[16:17]
	v_mov_b32_e32 v4, 0
	s_cbranch_vccnz .LBB62_570
; %bb.569:
	s_lshr_b32 s16, s23, 24
	s_and_b32 s16, s16, 0x80
	v_or_b32_e32 v4, s16, v3
.LBB62_570:
	global_store_byte v[0:1], v4, off
.LBB62_571:
	s_mov_b64 s[16:17], -1
.LBB62_572:
	s_mov_b64 s[18:19], 0
.LBB62_573:
	s_and_b64 vcc, exec, s[18:19]
	s_cbranch_vccz .LBB62_619
; %bb.574:
	s_cmp_gt_i32 s22, 22
	s_mov_b64 s[14:15], -1
	s_cbranch_scc0 .LBB62_612
; %bb.575:
	s_cmp_lt_i32 s22, 24
	s_cbranch_scc1 .LBB62_599
; %bb.576:
	s_cmp_gt_i32 s22, 24
	s_cbranch_scc0 .LBB62_586
; %bb.577:
	v_cvt_f32_f64_e32 v3, s[8:9]
	v_mov_b32_e32 v4, 0x80
	v_readfirstlane_b32 s18, v3
	s_and_b32 s14, s18, 0x7fffffff
	s_cmp_gt_u32 s14, 0x477fffff
	s_cbranch_scc1 .LBB62_585
; %bb.578:
	s_cmp_gt_u32 s14, 0x37ffffff
	s_cbranch_scc0 .LBB62_580
; %bb.579:
	s_bfe_u32 s14, s18, 0x10015
	s_add_i32 s14, s18, s14
	s_add_i32 s14, s14, 0x88fffff
	s_lshr_b32 s19, s14, 21
	s_mov_b64 s[16:17], 0
	s_mov_b64 s[14:15], -1
	s_branch .LBB62_581
.LBB62_580:
	s_mov_b64 s[16:17], -1
	s_mov_b64 s[14:15], 0
                                        ; implicit-def: $sgpr19
.LBB62_581:
	s_andn2_b64 vcc, exec, s[16:17]
	v_mov_b32_e32 v3, s19
	s_cbranch_vccnz .LBB62_583
; %bb.582:
	v_mov_b32_e32 v3, 0x42800000
	v_add_f32_e64 v3, |s18|, v3
	v_and_b32_e32 v3, 0xff, v3
	v_cmp_ne_u32_e64 s[14:15], 0, v3
.LBB62_583:
	s_andn2_b64 vcc, exec, s[14:15]
	v_mov_b32_e32 v4, 0
	s_cbranch_vccnz .LBB62_585
; %bb.584:
	s_lshr_b32 s14, s18, 24
	s_and_b32 s14, s14, 0x80
	v_or_b32_e32 v4, s14, v3
.LBB62_585:
	s_mov_b64 s[14:15], 0
	global_store_byte v[0:1], v4, off
.LBB62_586:
	s_and_b64 vcc, exec, s[14:15]
	s_cbranch_vccz .LBB62_598
; %bb.587:
	v_cvt_f32_f64_e32 v3, s[8:9]
	v_readfirstlane_b32 s16, v3
	s_and_b32 s17, s16, 0x7fffffff
	s_cmp_lt_u32 s17, 0x43f00000
	s_cbranch_scc0 .LBB62_590
; %bb.588:
	s_cmp_gt_u32 s17, 0x3c7fffff
	s_cbranch_scc0 .LBB62_591
; %bb.589:
	s_bfe_u32 s14, s16, 0x10014
	s_add_i32 s14, s16, s14
	s_add_i32 s14, s14, 0x407ffff
	s_lshr_b32 s15, s14, 20
	s_and_b32 s14, s14, 0xff00000
	s_cmp_lg_u32 s14, 0x7f00000
	s_cselect_b32 s18, s15, 0x7e
	s_mov_b64 s[14:15], 0
	s_branch .LBB62_592
.LBB62_590:
	s_mov_b64 s[14:15], -1
                                        ; implicit-def: $vgpr4
	s_branch .LBB62_595
.LBB62_591:
	s_mov_b64 s[14:15], -1
                                        ; implicit-def: $sgpr18
.LBB62_592:
	s_andn2_b64 vcc, exec, s[14:15]
	v_mov_b32_e32 v4, s18
	s_cbranch_vccnz .LBB62_594
; %bb.593:
	s_mov_b32 s14, 0x46800000
	v_add_f32_e64 v4, |v3|, s14
.LBB62_594:
	s_mov_b64 s[14:15], 0
.LBB62_595:
	s_andn2_b64 vcc, exec, s[14:15]
	s_cbranch_vccnz .LBB62_597
; %bb.596:
	s_cmp_gt_u32 s17, 0x7f800000
	s_movk_i32 s14, 0x7f
	s_cselect_b32 s14, s14, 0x7e
	v_mov_b32_e32 v4, s14
.LBB62_597:
	s_lshr_b32 s14, s16, 24
	s_and_b32 s14, s14, 0x80
	v_or_b32_e32 v3, s14, v4
	global_store_byte v[0:1], v3, off
.LBB62_598:
	s_mov_b64 s[14:15], 0
.LBB62_599:
	s_andn2_b64 vcc, exec, s[14:15]
	s_cbranch_vccnz .LBB62_611
; %bb.600:
	v_cvt_f32_f64_e32 v3, s[8:9]
	v_readfirstlane_b32 s16, v3
	s_and_b32 s17, s16, 0x7fffffff
	s_cmp_lt_u32 s17, 0x47800000
	s_cbranch_scc0 .LBB62_603
; %bb.601:
	s_cmp_gt_u32 s17, 0x387fffff
	s_cbranch_scc0 .LBB62_604
; %bb.602:
	s_bfe_u32 s14, s16, 0x10015
	s_add_i32 s14, s16, s14
	s_add_i32 s14, s14, 0x80fffff
	s_lshr_b32 s18, s14, 21
	s_mov_b64 s[14:15], 0
	s_branch .LBB62_605
.LBB62_603:
	s_mov_b64 s[14:15], -1
                                        ; implicit-def: $vgpr4
	s_branch .LBB62_608
.LBB62_604:
	s_mov_b64 s[14:15], -1
                                        ; implicit-def: $sgpr18
.LBB62_605:
	s_andn2_b64 vcc, exec, s[14:15]
	v_mov_b32_e32 v4, s18
	s_cbranch_vccnz .LBB62_607
; %bb.606:
	s_mov_b32 s14, 0x43000000
	v_add_f32_e64 v4, |v3|, s14
.LBB62_607:
	s_mov_b64 s[14:15], 0
.LBB62_608:
	s_andn2_b64 vcc, exec, s[14:15]
	s_cbranch_vccnz .LBB62_610
; %bb.609:
	s_cmp_gt_u32 s17, 0x7f800000
	s_movk_i32 s14, 0x7f
	s_cselect_b32 s14, s14, 0x7c
	v_mov_b32_e32 v4, s14
.LBB62_610:
	s_lshr_b32 s14, s16, 24
	s_and_b32 s14, s14, 0x80
	v_or_b32_e32 v3, s14, v4
	global_store_byte v[0:1], v3, off
.LBB62_611:
	s_mov_b64 s[14:15], 0
	s_mov_b64 s[16:17], -1
.LBB62_612:
	s_andn2_b64 vcc, exec, s[14:15]
	s_mov_b64 s[14:15], 0
	s_cbranch_vccnz .LBB62_619
; %bb.613:
	s_cmp_gt_i32 s22, 14
	s_mov_b64 s[18:19], -1
	s_cbranch_scc0 .LBB62_617
; %bb.614:
	s_cmp_eq_u32 s22, 15
	s_mov_b64 s[6:7], -1
	s_cbranch_scc0 .LBB62_616
; %bb.615:
	v_cvt_f32_f64_e32 v3, s[8:9]
	v_mov_b32_e32 v4, 0x7fc0
	s_mov_b64 s[6:7], 0
	s_mov_b64 s[16:17], -1
	v_bfe_u32 v5, v3, 16, 1
	v_cmp_o_f32_e32 vcc, v3, v3
	v_add_u32_e32 v3, v3, v5
	v_add_u32_e32 v3, 0x7fff, v3
	v_cndmask_b32_sdwa v3, v4, v3, vcc dst_sel:DWORD dst_unused:UNUSED_PAD src0_sel:DWORD src1_sel:WORD_1
	global_store_short v[0:1], v3, off
.LBB62_616:
	s_mov_b64 s[18:19], 0
.LBB62_617:
	s_and_b64 vcc, exec, s[18:19]
	s_cbranch_vccz .LBB62_619
; %bb.618:
	s_cmp_lg_u32 s22, 11
	s_mov_b64 s[14:15], -1
	s_cselect_b64 s[6:7], -1, 0
.LBB62_619:
	s_and_b64 vcc, exec, s[6:7]
	s_cbranch_vccnz .LBB62_721
; %bb.620:
	s_andn2_b64 vcc, exec, s[14:15]
	s_cbranch_vccnz .LBB62_622
.LBB62_621:
	v_cmp_neq_f64_e64 s[6:7], s[8:9], 0
	v_cmp_neq_f64_e64 s[14:15], s[10:11], 0
	s_mov_b64 s[16:17], -1
	s_or_b64 s[6:7], s[6:7], s[14:15]
	v_cndmask_b32_e64 v3, 0, 1, s[6:7]
	global_store_byte v[0:1], v3, off
.LBB62_622:
	s_branch .LBB62_563
.LBB62_623:
	s_and_b32 s14, 0xffff, s20
	s_cmp_lt_i32 s14, 5
	s_mov_b64 s[6:7], -1
	s_cbranch_scc1 .LBB62_644
; %bb.624:
	s_cmp_lt_i32 s14, 8
	s_cbranch_scc1 .LBB62_634
; %bb.625:
	s_cmp_lt_i32 s14, 9
	s_cbranch_scc1 .LBB62_631
; %bb.626:
	s_cmp_gt_i32 s14, 9
	s_cbranch_scc0 .LBB62_628
; %bb.627:
	v_mov_b32_e32 v3, s8
	v_mov_b32_e32 v4, s9
	;; [unrolled: 1-line block ×4, first 2 shown]
	global_store_dwordx4 v[0:1], v[3:6], off
	s_mov_b64 s[6:7], 0
.LBB62_628:
	s_andn2_b64 vcc, exec, s[6:7]
	s_cbranch_vccnz .LBB62_630
; %bb.629:
	v_cvt_f32_f64_e32 v3, s[8:9]
	v_cvt_f32_f64_e32 v4, s[10:11]
	global_store_dwordx2 v[0:1], v[3:4], off
.LBB62_630:
	s_mov_b64 s[6:7], 0
.LBB62_631:
	s_andn2_b64 vcc, exec, s[6:7]
	s_cbranch_vccnz .LBB62_633
; %bb.632:
	s_lshr_b32 s6, s9, 8
	s_and_b32 s15, s6, 0xffe
	s_and_b32 s6, s9, 0x1ff
	s_or_b32 s6, s6, s8
	s_cmp_lg_u32 s6, 0
	s_cselect_b64 s[6:7], -1, 0
	v_cndmask_b32_e64 v3, 0, 1, s[6:7]
	v_readfirstlane_b32 s6, v3
	s_or_b32 s6, s15, s6
	s_bfe_u32 s15, s9, 0xb0014
	s_sub_i32 s16, 0x3f1, s15
	v_med3_i32 v3, s16, 0, 13
	s_or_b32 s7, s6, 0x1000
	v_readfirstlane_b32 s16, v3
	s_lshr_b32 s17, s7, s16
	s_lshl_b32 s16, s17, s16
	s_cmp_lg_u32 s16, s7
	s_cselect_b32 s7, 1, 0
	s_addk_i32 s15, 0xfc10
	s_lshl_b32 s16, s15, 12
	s_or_b32 s7, s17, s7
	s_or_b32 s16, s6, s16
	s_cmp_lt_i32 s15, 1
	s_cselect_b32 s7, s7, s16
	s_and_b32 s16, s7, 7
	s_cmp_gt_i32 s16, 5
	s_cselect_b32 s17, 1, 0
	s_cmp_eq_u32 s16, 3
	s_cselect_b32 s16, 1, 0
	s_or_b32 s16, s16, s17
	s_lshr_b32 s7, s7, 2
	s_add_i32 s7, s7, s16
	s_cmp_lt_i32 s15, 31
	s_cselect_b32 s7, s7, 0x7c00
	s_cmp_lg_u32 s6, 0
	s_movk_i32 s16, 0x7e00
	s_cselect_b32 s6, s16, 0x7c00
	s_cmpk_eq_i32 s15, 0x40f
	s_cselect_b32 s6, s6, s7
	s_lshr_b32 s7, s9, 16
	s_and_b32 s7, s7, 0x8000
	s_or_b32 s15, s7, s6
	s_lshr_b32 s6, s11, 8
	s_and_b32 s17, s6, 0xffe
	s_and_b32 s6, s11, 0x1ff
	s_or_b32 s6, s6, s10
	s_cmp_lg_u32 s6, 0
	s_cselect_b64 s[6:7], -1, 0
	v_cndmask_b32_e64 v3, 0, 1, s[6:7]
	v_readfirstlane_b32 s6, v3
	s_or_b32 s6, s17, s6
	s_bfe_u32 s17, s11, 0xb0014
	s_sub_i32 s18, 0x3f1, s17
	v_med3_i32 v3, s18, 0, 13
	s_or_b32 s7, s6, 0x1000
	v_readfirstlane_b32 s18, v3
	s_lshr_b32 s19, s7, s18
	s_lshl_b32 s18, s19, s18
	s_cmp_lg_u32 s18, s7
	s_cselect_b32 s7, 1, 0
	s_addk_i32 s17, 0xfc10
	s_lshl_b32 s18, s17, 12
	s_or_b32 s7, s19, s7
	s_or_b32 s18, s6, s18
	s_cmp_lt_i32 s17, 1
	s_cselect_b32 s7, s7, s18
	s_and_b32 s18, s7, 7
	s_cmp_gt_i32 s18, 5
	s_cselect_b32 s19, 1, 0
	s_cmp_eq_u32 s18, 3
	s_cselect_b32 s18, 1, 0
	s_or_b32 s18, s18, s19
	s_lshr_b32 s7, s7, 2
	s_add_i32 s7, s7, s18
	s_cmp_lt_i32 s17, 31
	s_cselect_b32 s7, s7, 0x7c00
	s_cmp_lg_u32 s6, 0
	s_cselect_b32 s6, s16, 0x7c00
	s_cmpk_eq_i32 s17, 0x40f
	s_cselect_b32 s6, s6, s7
	s_lshr_b32 s7, s11, 16
	s_and_b32 s7, s7, 0x8000
	s_or_b32 s6, s7, s6
	s_lshl_b32 s6, s6, 16
	s_and_b32 s7, s15, 0xffff
	s_or_b32 s6, s6, s7
	v_mov_b32_e32 v3, s6
	global_store_dword v[0:1], v3, off
.LBB62_633:
	s_mov_b64 s[6:7], 0
.LBB62_634:
	s_andn2_b64 vcc, exec, s[6:7]
	s_cbranch_vccnz .LBB62_643
; %bb.635:
	s_cmp_lt_i32 s14, 6
	s_mov_b64 s[6:7], -1
	s_cbranch_scc1 .LBB62_641
; %bb.636:
	s_cmp_gt_i32 s14, 6
	s_cbranch_scc0 .LBB62_638
; %bb.637:
	v_mov_b32_e32 v3, s8
	v_mov_b32_e32 v4, s9
	global_store_dwordx2 v[0:1], v[3:4], off
	s_mov_b64 s[6:7], 0
.LBB62_638:
	s_andn2_b64 vcc, exec, s[6:7]
	s_cbranch_vccnz .LBB62_640
; %bb.639:
	v_cvt_f32_f64_e32 v3, s[8:9]
	global_store_dword v[0:1], v3, off
.LBB62_640:
	s_mov_b64 s[6:7], 0
.LBB62_641:
	s_andn2_b64 vcc, exec, s[6:7]
	s_cbranch_vccnz .LBB62_643
; %bb.642:
	s_lshr_b32 s6, s9, 8
	s_and_b32 s15, s6, 0xffe
	s_and_b32 s6, s9, 0x1ff
	s_or_b32 s6, s6, s8
	s_cmp_lg_u32 s6, 0
	s_cselect_b64 s[6:7], -1, 0
	v_cndmask_b32_e64 v3, 0, 1, s[6:7]
	v_readfirstlane_b32 s6, v3
	s_or_b32 s6, s15, s6
	s_bfe_u32 s15, s9, 0xb0014
	s_sub_i32 s16, 0x3f1, s15
	v_med3_i32 v3, s16, 0, 13
	s_or_b32 s7, s6, 0x1000
	v_readfirstlane_b32 s16, v3
	s_lshr_b32 s17, s7, s16
	s_lshl_b32 s16, s17, s16
	s_cmp_lg_u32 s16, s7
	s_cselect_b32 s7, 1, 0
	s_addk_i32 s15, 0xfc10
	s_lshl_b32 s16, s15, 12
	s_or_b32 s7, s17, s7
	s_or_b32 s16, s6, s16
	s_cmp_lt_i32 s15, 1
	s_cselect_b32 s7, s7, s16
	s_and_b32 s16, s7, 7
	s_cmp_gt_i32 s16, 5
	s_cselect_b32 s17, 1, 0
	s_cmp_eq_u32 s16, 3
	s_cselect_b32 s16, 1, 0
	s_or_b32 s16, s16, s17
	s_lshr_b32 s7, s7, 2
	s_add_i32 s7, s7, s16
	s_cmp_lt_i32 s15, 31
	s_cselect_b32 s7, s7, 0x7c00
	s_cmp_lg_u32 s6, 0
	s_movk_i32 s6, 0x7e00
	s_cselect_b32 s6, s6, 0x7c00
	s_cmpk_eq_i32 s15, 0x40f
	s_cselect_b32 s6, s6, s7
	s_lshr_b32 s7, s9, 16
	s_and_b32 s7, s7, 0x8000
	s_or_b32 s6, s7, s6
	v_mov_b32_e32 v3, s6
	global_store_short v[0:1], v3, off
.LBB62_643:
	s_mov_b64 s[6:7], 0
.LBB62_644:
	s_andn2_b64 vcc, exec, s[6:7]
	s_cbranch_vccnz .LBB62_660
; %bb.645:
	s_cmp_lt_i32 s14, 2
	s_mov_b64 s[6:7], -1
	s_cbranch_scc1 .LBB62_655
; %bb.646:
	s_cmp_lt_i32 s14, 3
	s_cbranch_scc1 .LBB62_652
; %bb.647:
	s_cmp_gt_i32 s14, 3
	s_cbranch_scc0 .LBB62_649
; %bb.648:
	v_trunc_f64_e32 v[3:4], s[8:9]
	s_movk_i32 s6, 0xffe0
	v_ldexp_f64 v[5:6], v[3:4], s6
	s_mov_b32 s6, 0
	s_mov_b32 s7, 0xc1f00000
	v_floor_f64_e32 v[5:6], v[5:6]
	v_fma_f64 v[3:4], v[5:6], s[6:7], v[3:4]
	v_cvt_i32_f64_e32 v5, v[5:6]
	s_mov_b64 s[6:7], 0
	v_cvt_u32_f64_e32 v4, v[3:4]
	global_store_dwordx2 v[0:1], v[4:5], off
.LBB62_649:
	s_andn2_b64 vcc, exec, s[6:7]
	s_cbranch_vccnz .LBB62_651
; %bb.650:
	v_cvt_i32_f64_e32 v3, s[8:9]
	global_store_dword v[0:1], v3, off
.LBB62_651:
	s_mov_b64 s[6:7], 0
.LBB62_652:
	s_andn2_b64 vcc, exec, s[6:7]
	s_cbranch_vccnz .LBB62_654
; %bb.653:
	v_cvt_i32_f64_e32 v3, s[8:9]
	global_store_short v[0:1], v3, off
.LBB62_654:
	s_mov_b64 s[6:7], 0
.LBB62_655:
	s_andn2_b64 vcc, exec, s[6:7]
	s_cbranch_vccnz .LBB62_660
; %bb.656:
	s_cmp_gt_i32 s14, 0
	s_mov_b64 s[6:7], -1
	s_cbranch_scc0 .LBB62_658
; %bb.657:
	v_cvt_i32_f64_e32 v3, s[8:9]
	s_mov_b64 s[6:7], 0
	global_store_byte v[0:1], v3, off
.LBB62_658:
	s_andn2_b64 vcc, exec, s[6:7]
	s_cbranch_vccnz .LBB62_660
; %bb.659:
	v_trunc_f64_e32 v[3:4], s[8:9]
	s_movk_i32 s6, 0xffe0
	v_ldexp_f64 v[5:6], v[3:4], s6
	s_mov_b32 s6, 0
	s_mov_b32 s7, 0xc1f00000
	v_floor_f64_e32 v[5:6], v[5:6]
	v_fma_f64 v[3:4], v[5:6], s[6:7], v[3:4]
	v_cvt_u32_f64_e32 v3, v[3:4]
	global_store_byte v[0:1], v3, off
.LBB62_660:
.LBB62_661:
	v_add_u32_e32 v2, s21, v2
	v_ashrrev_i32_e32 v1, 31, v2
	v_mov_b32_e32 v3, s13
	v_add_co_u32_e32 v0, vcc, s12, v2
	s_cmp_lt_i32 s20, 11
	v_addc_co_u32_e32 v1, vcc, v3, v1, vcc
	s_cbranch_scc1 .LBB62_689
; %bb.662:
	s_and_b32 s22, 0xffff, s20
	s_mov_b64 s[18:19], -1
	s_mov_b64 s[14:15], 0
	s_cmp_gt_i32 s22, 25
	s_mov_b64 s[16:17], 0
	s_mov_b64 s[6:7], 0
	s_cbranch_scc0 .LBB62_730
; %bb.663:
	s_cmp_gt_i32 s22, 28
	s_cbranch_scc0 .LBB62_678
; %bb.664:
	s_cmp_gt_i32 s22, 43
	s_cbranch_scc0 .LBB62_674
; %bb.665:
	s_cmp_gt_i32 s22, 45
	s_cbranch_scc0 .LBB62_668
; %bb.666:
	s_mov_b64 s[6:7], -1
	s_mov_b64 s[18:19], 0
	s_cmp_eq_u32 s22, 46
	s_cbranch_scc0 .LBB62_668
; %bb.667:
	v_cvt_f32_f64_e32 v4, s[10:11]
	v_cvt_f32_f64_e32 v3, s[8:9]
	v_mov_b32_e32 v7, 0x7fc00000
	s_mov_b64 s[6:7], 0
	v_bfe_u32 v6, v4, 16, 1
	v_add_u32_e32 v6, v4, v6
	v_bfe_u32 v5, v3, 16, 1
	v_add_u32_e32 v6, 0x7fff, v6
	v_add_u32_e32 v5, v3, v5
	v_and_b32_e32 v6, 0xffff0000, v6
	v_cmp_o_f32_e32 vcc, v4, v4
	v_add_u32_e32 v5, 0x7fff, v5
	v_cndmask_b32_e32 v4, v7, v6, vcc
	v_cmp_o_f32_e32 vcc, v3, v3
	v_mov_b32_e32 v3, 0x7fc0
	v_cndmask_b32_sdwa v3, v3, v5, vcc dst_sel:DWORD dst_unused:UNUSED_PAD src0_sel:DWORD src1_sel:WORD_1
	v_or_b32_e32 v3, v4, v3
	global_store_dword v[0:1], v3, off
	s_mov_b64 s[16:17], -1
.LBB62_668:
	s_and_b64 vcc, exec, s[18:19]
	s_cbranch_vccz .LBB62_673
; %bb.669:
	s_cmp_eq_u32 s22, 44
	s_mov_b64 s[6:7], -1
	s_cbranch_scc0 .LBB62_673
; %bb.670:
	v_cvt_f32_f64_e32 v3, s[8:9]
	v_mov_b32_e32 v4, 0xff
	v_readfirstlane_b32 s6, v3
	s_bfe_u32 s7, s6, 0x80017
	s_cmpk_eq_i32 s7, 0xff
	s_cbranch_scc1 .LBB62_672
; %bb.671:
	s_bitcmp1_b32 s6, 22
	s_cselect_b64 s[16:17], -1, 0
	s_and_b32 s6, s6, 0x3fffff
	s_or_b32 s6, s7, s6
	s_cmp_lg_u32 s6, 0
	s_cselect_b64 s[6:7], -1, 0
	s_and_b64 s[6:7], s[16:17], s[6:7]
	v_lshrrev_b32_e32 v3, 23, v3
	v_cndmask_b32_e64 v4, 0, 1, s[6:7]
	v_add_u32_e32 v4, v3, v4
.LBB62_672:
	s_mov_b64 s[6:7], 0
	s_mov_b64 s[16:17], -1
	global_store_byte v[0:1], v4, off
.LBB62_673:
	s_mov_b64 s[18:19], 0
.LBB62_674:
	s_and_b64 vcc, exec, s[18:19]
	s_cbranch_vccz .LBB62_677
; %bb.675:
	s_cmp_eq_u32 s22, 29
	s_mov_b64 s[6:7], -1
	s_cbranch_scc0 .LBB62_677
; %bb.676:
	v_trunc_f64_e32 v[3:4], s[8:9]
	s_movk_i32 s6, 0xffe0
	s_mov_b64 s[16:17], -1
	v_ldexp_f64 v[5:6], v[3:4], s6
	s_mov_b32 s6, 0
	s_mov_b32 s7, 0xc1f00000
	v_floor_f64_e32 v[5:6], v[5:6]
	v_fma_f64 v[3:4], v[5:6], s[6:7], v[3:4]
	v_cvt_u32_f64_e32 v5, v[5:6]
	s_mov_b64 s[6:7], 0
	v_cvt_u32_f64_e32 v4, v[3:4]
	global_store_dwordx2 v[0:1], v[4:5], off
.LBB62_677:
	s_mov_b64 s[18:19], 0
.LBB62_678:
	s_and_b64 vcc, exec, s[18:19]
	s_cbranch_vccz .LBB62_729
; %bb.679:
	s_cmp_lt_i32 s22, 27
	s_mov_b64 s[16:17], -1
	s_cbranch_scc1 .LBB62_685
; %bb.680:
	s_cmp_gt_i32 s22, 27
	s_cbranch_scc0 .LBB62_682
; %bb.681:
	v_cvt_u32_f64_e32 v3, s[8:9]
	s_mov_b64 s[16:17], 0
	global_store_dword v[0:1], v3, off
.LBB62_682:
	s_andn2_b64 vcc, exec, s[16:17]
	s_cbranch_vccnz .LBB62_684
; %bb.683:
	v_cvt_u32_f64_e32 v3, s[8:9]
	global_store_short v[0:1], v3, off
.LBB62_684:
	s_mov_b64 s[16:17], 0
.LBB62_685:
	s_andn2_b64 vcc, exec, s[16:17]
	s_cbranch_vccnz .LBB62_728
; %bb.686:
	v_cvt_f32_f64_e32 v3, s[8:9]
	v_mov_b32_e32 v4, 0x80
	v_readfirstlane_b32 s23, v3
	s_and_b32 s16, s23, 0x7fffffff
	s_cmp_gt_u32 s16, 0x437fffff
	s_cbranch_scc1 .LBB62_727
; %bb.687:
	s_cmp_gt_u32 s16, 0x3bffffff
	s_cbranch_scc0 .LBB62_722
; %bb.688:
	s_bfe_u32 s16, s23, 0x10014
	s_add_i32 s16, s23, s16
	s_add_i32 s16, s16, 0x487ffff
	s_lshr_b32 s24, s16, 20
	s_mov_b64 s[18:19], 0
	s_mov_b64 s[16:17], -1
	s_branch .LBB62_723
.LBB62_689:
	s_mov_b64 s[16:17], 0
	s_cbranch_execnz .LBB62_794
.LBB62_690:
	s_andn2_b64 vcc, exec, s[16:17]
	s_cbranch_vccnz .LBB62_832
.LBB62_691:
	v_add_u32_e32 v0, s21, v2
	v_ashrrev_i32_e32 v1, 31, v0
	v_mov_b32_e32 v2, s13
	v_add_co_u32_e32 v0, vcc, s12, v0
	s_cmp_lt_i32 s20, 11
	v_addc_co_u32_e32 v1, vcc, v2, v1, vcc
	s_cbranch_scc1 .LBB62_720
; %bb.692:
	s_and_b32 s18, 0xffff, s20
	s_mov_b64 s[14:15], -1
	s_mov_b64 s[12:13], 0
	s_cmp_gt_i32 s18, 25
	s_mov_b64 s[6:7], 0
	s_cbranch_scc0 .LBB62_744
; %bb.693:
	s_cmp_gt_i32 s18, 28
	s_cbranch_scc0 .LBB62_709
; %bb.694:
	s_cmp_gt_i32 s18, 43
	;; [unrolled: 3-line block ×3, first 2 shown]
	s_cbranch_scc0 .LBB62_699
; %bb.696:
	s_cmp_eq_u32 s18, 46
	s_mov_b64 s[6:7], -1
	s_cbranch_scc0 .LBB62_698
; %bb.697:
	v_cvt_f32_f64_e32 v3, s[10:11]
	v_cvt_f32_f64_e32 v2, s[8:9]
	v_mov_b32_e32 v6, 0x7fc00000
	s_mov_b64 s[6:7], 0
	v_bfe_u32 v5, v3, 16, 1
	v_add_u32_e32 v5, v3, v5
	v_bfe_u32 v4, v2, 16, 1
	v_add_u32_e32 v5, 0x7fff, v5
	v_add_u32_e32 v4, v2, v4
	v_and_b32_e32 v5, 0xffff0000, v5
	v_cmp_o_f32_e32 vcc, v3, v3
	v_add_u32_e32 v4, 0x7fff, v4
	v_cndmask_b32_e32 v3, v6, v5, vcc
	v_cmp_o_f32_e32 vcc, v2, v2
	v_mov_b32_e32 v2, 0x7fc0
	v_cndmask_b32_sdwa v2, v2, v4, vcc dst_sel:DWORD dst_unused:UNUSED_PAD src0_sel:DWORD src1_sel:WORD_1
	v_or_b32_e32 v2, v3, v2
	global_store_dword v[0:1], v2, off
.LBB62_698:
	s_mov_b64 s[14:15], 0
.LBB62_699:
	s_and_b64 vcc, exec, s[14:15]
	s_cbranch_vccz .LBB62_704
; %bb.700:
	s_cmp_eq_u32 s18, 44
	s_mov_b64 s[6:7], -1
	s_cbranch_scc0 .LBB62_704
; %bb.701:
	v_cvt_f32_f64_e32 v2, s[8:9]
	v_mov_b32_e32 v3, 0xff
	v_readfirstlane_b32 s6, v2
	s_bfe_u32 s7, s6, 0x80017
	s_cmpk_eq_i32 s7, 0xff
	s_cbranch_scc1 .LBB62_703
; %bb.702:
	s_bitcmp1_b32 s6, 22
	s_cselect_b64 s[14:15], -1, 0
	s_and_b32 s6, s6, 0x3fffff
	s_or_b32 s6, s7, s6
	s_cmp_lg_u32 s6, 0
	s_cselect_b64 s[6:7], -1, 0
	s_and_b64 s[6:7], s[14:15], s[6:7]
	v_lshrrev_b32_e32 v2, 23, v2
	v_cndmask_b32_e64 v3, 0, 1, s[6:7]
	v_add_u32_e32 v3, v2, v3
.LBB62_703:
	s_mov_b64 s[6:7], 0
	global_store_byte v[0:1], v3, off
.LBB62_704:
	s_mov_b64 s[14:15], 0
.LBB62_705:
	s_and_b64 vcc, exec, s[14:15]
	s_cbranch_vccz .LBB62_708
; %bb.706:
	s_cmp_eq_u32 s18, 29
	s_mov_b64 s[6:7], -1
	s_cbranch_scc0 .LBB62_708
; %bb.707:
	v_trunc_f64_e32 v[2:3], s[8:9]
	s_movk_i32 s6, 0xffe0
	v_ldexp_f64 v[4:5], v[2:3], s6
	s_mov_b32 s6, 0
	s_mov_b32 s7, 0xc1f00000
	v_floor_f64_e32 v[4:5], v[4:5]
	v_fma_f64 v[2:3], v[4:5], s[6:7], v[2:3]
	v_cvt_u32_f64_e32 v4, v[4:5]
	s_mov_b64 s[6:7], 0
	v_cvt_u32_f64_e32 v3, v[2:3]
	global_store_dwordx2 v[0:1], v[3:4], off
.LBB62_708:
	s_mov_b64 s[14:15], 0
.LBB62_709:
	s_and_b64 vcc, exec, s[14:15]
	s_cbranch_vccz .LBB62_743
; %bb.710:
	s_cmp_lt_i32 s18, 27
	s_mov_b64 s[14:15], -1
	s_cbranch_scc1 .LBB62_716
; %bb.711:
	v_cvt_u32_f64_e32 v2, s[8:9]
	s_cmp_gt_i32 s18, 27
	s_cbranch_scc0 .LBB62_713
; %bb.712:
	global_store_dword v[0:1], v2, off
	s_mov_b64 s[14:15], 0
.LBB62_713:
	s_andn2_b64 vcc, exec, s[14:15]
	s_cbranch_vccnz .LBB62_715
; %bb.714:
	global_store_short v[0:1], v2, off
.LBB62_715:
	s_mov_b64 s[14:15], 0
.LBB62_716:
	s_andn2_b64 vcc, exec, s[14:15]
	s_cbranch_vccnz .LBB62_743
; %bb.717:
	v_cvt_f32_f64_e32 v2, s[8:9]
	v_mov_b32_e32 v3, 0x80
	v_readfirstlane_b32 s19, v2
	s_and_b32 s14, s19, 0x7fffffff
	s_cmp_gt_u32 s14, 0x437fffff
	s_cbranch_scc1 .LBB62_742
; %bb.718:
	s_cmp_gt_u32 s14, 0x3bffffff
	s_cbranch_scc0 .LBB62_737
; %bb.719:
	s_bfe_u32 s14, s19, 0x10014
	s_add_i32 s14, s19, s14
	s_add_i32 s14, s14, 0x487ffff
	s_lshr_b32 s21, s14, 20
	s_mov_b64 s[16:17], 0
	s_mov_b64 s[14:15], -1
	s_branch .LBB62_738
.LBB62_720:
	s_mov_b64 s[12:13], 0
	s_mov_b64 s[6:7], -1
	s_branch .LBB62_833
.LBB62_721:
	s_trap 2
	s_or_b64 s[4:5], s[4:5], exec
	s_cbranch_execz .LBB62_621
	s_branch .LBB62_622
.LBB62_722:
	s_mov_b64 s[18:19], -1
	s_mov_b64 s[16:17], 0
                                        ; implicit-def: $sgpr24
.LBB62_723:
	s_andn2_b64 vcc, exec, s[18:19]
	v_mov_b32_e32 v3, s24
	s_cbranch_vccnz .LBB62_725
; %bb.724:
	v_mov_b32_e32 v3, 0x46000000
	v_add_f32_e64 v3, |s23|, v3
	v_and_b32_e32 v3, 0xff, v3
	v_cmp_ne_u32_e64 s[16:17], 0, v3
.LBB62_725:
	s_andn2_b64 vcc, exec, s[16:17]
	v_mov_b32_e32 v4, 0
	s_cbranch_vccnz .LBB62_727
; %bb.726:
	s_lshr_b32 s16, s23, 24
	s_and_b32 s16, s16, 0x80
	v_or_b32_e32 v4, s16, v3
.LBB62_727:
	global_store_byte v[0:1], v4, off
.LBB62_728:
	s_mov_b64 s[16:17], -1
.LBB62_729:
	s_mov_b64 s[18:19], 0
.LBB62_730:
	s_and_b64 vcc, exec, s[18:19]
	s_cbranch_vccz .LBB62_790
; %bb.731:
	s_cmp_gt_i32 s22, 22
	s_mov_b64 s[14:15], -1
	s_cbranch_scc0 .LBB62_783
; %bb.732:
	s_cmp_lt_i32 s22, 24
	s_cbranch_scc1 .LBB62_770
; %bb.733:
	s_cmp_gt_i32 s22, 24
	s_cbranch_scc0 .LBB62_757
; %bb.734:
	v_cvt_f32_f64_e32 v3, s[8:9]
	v_mov_b32_e32 v4, 0x80
	v_readfirstlane_b32 s18, v3
	s_and_b32 s14, s18, 0x7fffffff
	s_cmp_gt_u32 s14, 0x477fffff
	s_cbranch_scc1 .LBB62_756
; %bb.735:
	s_cmp_gt_u32 s14, 0x37ffffff
	s_cbranch_scc0 .LBB62_751
; %bb.736:
	s_bfe_u32 s14, s18, 0x10015
	s_add_i32 s14, s18, s14
	s_add_i32 s14, s14, 0x88fffff
	s_lshr_b32 s19, s14, 21
	s_mov_b64 s[16:17], 0
	s_mov_b64 s[14:15], -1
	s_branch .LBB62_752
.LBB62_737:
	s_mov_b64 s[16:17], -1
	s_mov_b64 s[14:15], 0
                                        ; implicit-def: $sgpr21
.LBB62_738:
	s_andn2_b64 vcc, exec, s[16:17]
	v_mov_b32_e32 v2, s21
	s_cbranch_vccnz .LBB62_740
; %bb.739:
	v_mov_b32_e32 v2, 0x46000000
	v_add_f32_e64 v2, |s19|, v2
	v_and_b32_e32 v2, 0xff, v2
	v_cmp_ne_u32_e64 s[14:15], 0, v2
.LBB62_740:
	s_andn2_b64 vcc, exec, s[14:15]
	v_mov_b32_e32 v3, 0
	s_cbranch_vccnz .LBB62_742
; %bb.741:
	s_lshr_b32 s14, s19, 24
	s_and_b32 s14, s14, 0x80
	v_or_b32_e32 v3, s14, v2
.LBB62_742:
	global_store_byte v[0:1], v3, off
.LBB62_743:
	s_mov_b64 s[14:15], 0
.LBB62_744:
	s_and_b64 vcc, exec, s[14:15]
	s_cbranch_vccz .LBB62_914
; %bb.745:
	s_cmp_gt_i32 s18, 22
	s_mov_b64 s[12:13], -1
	s_cbranch_scc0 .LBB62_907
; %bb.746:
	s_cmp_lt_i32 s18, 24
	s_cbranch_scc1 .LBB62_894
; %bb.747:
	s_cmp_gt_i32 s18, 24
	s_cbranch_scc0 .LBB62_881
; %bb.748:
	v_cvt_f32_f64_e32 v2, s[8:9]
	v_mov_b32_e32 v3, 0x80
	v_readfirstlane_b32 s16, v2
	s_and_b32 s12, s16, 0x7fffffff
	s_cmp_gt_u32 s12, 0x477fffff
	s_cbranch_scc1 .LBB62_880
; %bb.749:
	s_cmp_gt_u32 s12, 0x37ffffff
	s_cbranch_scc0 .LBB62_875
; %bb.750:
	s_bfe_u32 s12, s16, 0x10015
	s_add_i32 s12, s16, s12
	s_add_i32 s12, s12, 0x88fffff
	s_lshr_b32 s17, s12, 21
	s_mov_b64 s[14:15], 0
	s_mov_b64 s[12:13], -1
	s_branch .LBB62_876
.LBB62_751:
	s_mov_b64 s[16:17], -1
	s_mov_b64 s[14:15], 0
                                        ; implicit-def: $sgpr19
.LBB62_752:
	s_andn2_b64 vcc, exec, s[16:17]
	v_mov_b32_e32 v3, s19
	s_cbranch_vccnz .LBB62_754
; %bb.753:
	v_mov_b32_e32 v3, 0x42800000
	v_add_f32_e64 v3, |s18|, v3
	v_and_b32_e32 v3, 0xff, v3
	v_cmp_ne_u32_e64 s[14:15], 0, v3
.LBB62_754:
	s_andn2_b64 vcc, exec, s[14:15]
	v_mov_b32_e32 v4, 0
	s_cbranch_vccnz .LBB62_756
; %bb.755:
	s_lshr_b32 s14, s18, 24
	s_and_b32 s14, s14, 0x80
	v_or_b32_e32 v4, s14, v3
.LBB62_756:
	s_mov_b64 s[14:15], 0
	global_store_byte v[0:1], v4, off
.LBB62_757:
	s_and_b64 vcc, exec, s[14:15]
	s_cbranch_vccz .LBB62_769
; %bb.758:
	v_cvt_f32_f64_e32 v3, s[8:9]
	v_readfirstlane_b32 s16, v3
	s_and_b32 s17, s16, 0x7fffffff
	s_cmp_lt_u32 s17, 0x43f00000
	s_cbranch_scc0 .LBB62_761
; %bb.759:
	s_cmp_gt_u32 s17, 0x3c7fffff
	s_cbranch_scc0 .LBB62_762
; %bb.760:
	s_bfe_u32 s14, s16, 0x10014
	s_add_i32 s14, s16, s14
	s_add_i32 s14, s14, 0x407ffff
	s_lshr_b32 s15, s14, 20
	s_and_b32 s14, s14, 0xff00000
	s_cmp_lg_u32 s14, 0x7f00000
	s_cselect_b32 s18, s15, 0x7e
	s_mov_b64 s[14:15], 0
	s_branch .LBB62_763
.LBB62_761:
	s_mov_b64 s[14:15], -1
                                        ; implicit-def: $vgpr4
	s_branch .LBB62_766
.LBB62_762:
	s_mov_b64 s[14:15], -1
                                        ; implicit-def: $sgpr18
.LBB62_763:
	s_andn2_b64 vcc, exec, s[14:15]
	v_mov_b32_e32 v4, s18
	s_cbranch_vccnz .LBB62_765
; %bb.764:
	s_mov_b32 s14, 0x46800000
	v_add_f32_e64 v4, |v3|, s14
.LBB62_765:
	s_mov_b64 s[14:15], 0
.LBB62_766:
	s_andn2_b64 vcc, exec, s[14:15]
	s_cbranch_vccnz .LBB62_768
; %bb.767:
	s_cmp_gt_u32 s17, 0x7f800000
	s_movk_i32 s14, 0x7f
	s_cselect_b32 s14, s14, 0x7e
	v_mov_b32_e32 v4, s14
.LBB62_768:
	s_lshr_b32 s14, s16, 24
	s_and_b32 s14, s14, 0x80
	v_or_b32_e32 v3, s14, v4
	global_store_byte v[0:1], v3, off
.LBB62_769:
	s_mov_b64 s[14:15], 0
.LBB62_770:
	s_andn2_b64 vcc, exec, s[14:15]
	s_cbranch_vccnz .LBB62_782
; %bb.771:
	v_cvt_f32_f64_e32 v3, s[8:9]
	v_readfirstlane_b32 s16, v3
	s_and_b32 s17, s16, 0x7fffffff
	s_cmp_lt_u32 s17, 0x47800000
	s_cbranch_scc0 .LBB62_774
; %bb.772:
	s_cmp_gt_u32 s17, 0x387fffff
	s_cbranch_scc0 .LBB62_775
; %bb.773:
	s_bfe_u32 s14, s16, 0x10015
	s_add_i32 s14, s16, s14
	s_add_i32 s14, s14, 0x80fffff
	s_lshr_b32 s18, s14, 21
	s_mov_b64 s[14:15], 0
	s_branch .LBB62_776
.LBB62_774:
	s_mov_b64 s[14:15], -1
                                        ; implicit-def: $vgpr4
	s_branch .LBB62_779
.LBB62_775:
	s_mov_b64 s[14:15], -1
                                        ; implicit-def: $sgpr18
.LBB62_776:
	s_andn2_b64 vcc, exec, s[14:15]
	v_mov_b32_e32 v4, s18
	s_cbranch_vccnz .LBB62_778
; %bb.777:
	s_mov_b32 s14, 0x43000000
	v_add_f32_e64 v4, |v3|, s14
.LBB62_778:
	s_mov_b64 s[14:15], 0
.LBB62_779:
	s_andn2_b64 vcc, exec, s[14:15]
	s_cbranch_vccnz .LBB62_781
; %bb.780:
	s_cmp_gt_u32 s17, 0x7f800000
	s_movk_i32 s14, 0x7f
	s_cselect_b32 s14, s14, 0x7c
	v_mov_b32_e32 v4, s14
.LBB62_781:
	s_lshr_b32 s14, s16, 24
	s_and_b32 s14, s14, 0x80
	v_or_b32_e32 v3, s14, v4
	global_store_byte v[0:1], v3, off
.LBB62_782:
	s_mov_b64 s[14:15], 0
	s_mov_b64 s[16:17], -1
.LBB62_783:
	s_andn2_b64 vcc, exec, s[14:15]
	s_mov_b64 s[14:15], 0
	s_cbranch_vccnz .LBB62_790
; %bb.784:
	s_cmp_gt_i32 s22, 14
	s_mov_b64 s[18:19], -1
	s_cbranch_scc0 .LBB62_788
; %bb.785:
	s_cmp_eq_u32 s22, 15
	s_mov_b64 s[6:7], -1
	s_cbranch_scc0 .LBB62_787
; %bb.786:
	v_cvt_f32_f64_e32 v3, s[8:9]
	v_mov_b32_e32 v4, 0x7fc0
	s_mov_b64 s[6:7], 0
	s_mov_b64 s[16:17], -1
	v_bfe_u32 v5, v3, 16, 1
	v_cmp_o_f32_e32 vcc, v3, v3
	v_add_u32_e32 v3, v3, v5
	v_add_u32_e32 v3, 0x7fff, v3
	v_cndmask_b32_sdwa v3, v4, v3, vcc dst_sel:DWORD dst_unused:UNUSED_PAD src0_sel:DWORD src1_sel:WORD_1
	global_store_short v[0:1], v3, off
.LBB62_787:
	s_mov_b64 s[18:19], 0
.LBB62_788:
	s_and_b64 vcc, exec, s[18:19]
	s_cbranch_vccz .LBB62_790
; %bb.789:
	s_cmp_lg_u32 s22, 11
	s_mov_b64 s[14:15], -1
	s_cselect_b64 s[6:7], -1, 0
.LBB62_790:
	s_and_b64 vcc, exec, s[6:7]
	s_cbranch_vccnz .LBB62_874
; %bb.791:
	s_andn2_b64 vcc, exec, s[14:15]
	s_cbranch_vccnz .LBB62_793
.LBB62_792:
	v_cmp_neq_f64_e64 s[6:7], s[8:9], 0
	v_cmp_neq_f64_e64 s[14:15], s[10:11], 0
	s_mov_b64 s[16:17], -1
	s_or_b64 s[6:7], s[6:7], s[14:15]
	v_cndmask_b32_e64 v3, 0, 1, s[6:7]
	global_store_byte v[0:1], v3, off
.LBB62_793:
	s_branch .LBB62_690
.LBB62_794:
	s_and_b32 s14, 0xffff, s20
	s_cmp_lt_i32 s14, 5
	s_mov_b64 s[6:7], -1
	s_cbranch_scc1 .LBB62_815
; %bb.795:
	s_cmp_lt_i32 s14, 8
	s_cbranch_scc1 .LBB62_805
; %bb.796:
	s_cmp_lt_i32 s14, 9
	s_cbranch_scc1 .LBB62_802
; %bb.797:
	s_cmp_gt_i32 s14, 9
	s_cbranch_scc0 .LBB62_799
; %bb.798:
	v_mov_b32_e32 v3, s8
	v_mov_b32_e32 v4, s9
	;; [unrolled: 1-line block ×4, first 2 shown]
	global_store_dwordx4 v[0:1], v[3:6], off
	s_mov_b64 s[6:7], 0
.LBB62_799:
	s_andn2_b64 vcc, exec, s[6:7]
	s_cbranch_vccnz .LBB62_801
; %bb.800:
	v_cvt_f32_f64_e32 v3, s[8:9]
	v_cvt_f32_f64_e32 v4, s[10:11]
	global_store_dwordx2 v[0:1], v[3:4], off
.LBB62_801:
	s_mov_b64 s[6:7], 0
.LBB62_802:
	s_andn2_b64 vcc, exec, s[6:7]
	s_cbranch_vccnz .LBB62_804
; %bb.803:
	s_lshr_b32 s6, s9, 8
	s_and_b32 s15, s6, 0xffe
	s_and_b32 s6, s9, 0x1ff
	s_or_b32 s6, s6, s8
	s_cmp_lg_u32 s6, 0
	s_cselect_b64 s[6:7], -1, 0
	v_cndmask_b32_e64 v3, 0, 1, s[6:7]
	v_readfirstlane_b32 s6, v3
	s_or_b32 s6, s15, s6
	s_bfe_u32 s15, s9, 0xb0014
	s_sub_i32 s16, 0x3f1, s15
	v_med3_i32 v3, s16, 0, 13
	s_or_b32 s7, s6, 0x1000
	v_readfirstlane_b32 s16, v3
	s_lshr_b32 s17, s7, s16
	s_lshl_b32 s16, s17, s16
	s_cmp_lg_u32 s16, s7
	s_cselect_b32 s7, 1, 0
	s_addk_i32 s15, 0xfc10
	s_lshl_b32 s16, s15, 12
	s_or_b32 s7, s17, s7
	s_or_b32 s16, s6, s16
	s_cmp_lt_i32 s15, 1
	s_cselect_b32 s7, s7, s16
	s_and_b32 s16, s7, 7
	s_cmp_gt_i32 s16, 5
	s_cselect_b32 s17, 1, 0
	s_cmp_eq_u32 s16, 3
	s_cselect_b32 s16, 1, 0
	s_or_b32 s16, s16, s17
	s_lshr_b32 s7, s7, 2
	s_add_i32 s7, s7, s16
	s_cmp_lt_i32 s15, 31
	s_cselect_b32 s7, s7, 0x7c00
	s_cmp_lg_u32 s6, 0
	s_movk_i32 s16, 0x7e00
	s_cselect_b32 s6, s16, 0x7c00
	s_cmpk_eq_i32 s15, 0x40f
	s_cselect_b32 s6, s6, s7
	s_lshr_b32 s7, s9, 16
	s_and_b32 s7, s7, 0x8000
	s_or_b32 s15, s7, s6
	s_lshr_b32 s6, s11, 8
	s_and_b32 s17, s6, 0xffe
	s_and_b32 s6, s11, 0x1ff
	s_or_b32 s6, s6, s10
	s_cmp_lg_u32 s6, 0
	s_cselect_b64 s[6:7], -1, 0
	v_cndmask_b32_e64 v3, 0, 1, s[6:7]
	v_readfirstlane_b32 s6, v3
	s_or_b32 s6, s17, s6
	s_bfe_u32 s17, s11, 0xb0014
	s_sub_i32 s18, 0x3f1, s17
	v_med3_i32 v3, s18, 0, 13
	s_or_b32 s7, s6, 0x1000
	v_readfirstlane_b32 s18, v3
	s_lshr_b32 s19, s7, s18
	s_lshl_b32 s18, s19, s18
	s_cmp_lg_u32 s18, s7
	s_cselect_b32 s7, 1, 0
	s_addk_i32 s17, 0xfc10
	s_lshl_b32 s18, s17, 12
	s_or_b32 s7, s19, s7
	s_or_b32 s18, s6, s18
	s_cmp_lt_i32 s17, 1
	s_cselect_b32 s7, s7, s18
	s_and_b32 s18, s7, 7
	s_cmp_gt_i32 s18, 5
	s_cselect_b32 s19, 1, 0
	s_cmp_eq_u32 s18, 3
	s_cselect_b32 s18, 1, 0
	s_or_b32 s18, s18, s19
	s_lshr_b32 s7, s7, 2
	s_add_i32 s7, s7, s18
	s_cmp_lt_i32 s17, 31
	s_cselect_b32 s7, s7, 0x7c00
	s_cmp_lg_u32 s6, 0
	s_cselect_b32 s6, s16, 0x7c00
	s_cmpk_eq_i32 s17, 0x40f
	s_cselect_b32 s6, s6, s7
	s_lshr_b32 s7, s11, 16
	s_and_b32 s7, s7, 0x8000
	s_or_b32 s6, s7, s6
	s_lshl_b32 s6, s6, 16
	s_and_b32 s7, s15, 0xffff
	s_or_b32 s6, s6, s7
	v_mov_b32_e32 v3, s6
	global_store_dword v[0:1], v3, off
.LBB62_804:
	s_mov_b64 s[6:7], 0
.LBB62_805:
	s_andn2_b64 vcc, exec, s[6:7]
	s_cbranch_vccnz .LBB62_814
; %bb.806:
	s_cmp_lt_i32 s14, 6
	s_mov_b64 s[6:7], -1
	s_cbranch_scc1 .LBB62_812
; %bb.807:
	s_cmp_gt_i32 s14, 6
	s_cbranch_scc0 .LBB62_809
; %bb.808:
	v_mov_b32_e32 v3, s8
	v_mov_b32_e32 v4, s9
	global_store_dwordx2 v[0:1], v[3:4], off
	s_mov_b64 s[6:7], 0
.LBB62_809:
	s_andn2_b64 vcc, exec, s[6:7]
	s_cbranch_vccnz .LBB62_811
; %bb.810:
	v_cvt_f32_f64_e32 v3, s[8:9]
	global_store_dword v[0:1], v3, off
.LBB62_811:
	s_mov_b64 s[6:7], 0
.LBB62_812:
	s_andn2_b64 vcc, exec, s[6:7]
	s_cbranch_vccnz .LBB62_814
; %bb.813:
	s_lshr_b32 s6, s9, 8
	s_and_b32 s15, s6, 0xffe
	s_and_b32 s6, s9, 0x1ff
	s_or_b32 s6, s6, s8
	s_cmp_lg_u32 s6, 0
	s_cselect_b64 s[6:7], -1, 0
	v_cndmask_b32_e64 v3, 0, 1, s[6:7]
	v_readfirstlane_b32 s6, v3
	s_or_b32 s6, s15, s6
	s_bfe_u32 s15, s9, 0xb0014
	s_sub_i32 s16, 0x3f1, s15
	v_med3_i32 v3, s16, 0, 13
	s_or_b32 s7, s6, 0x1000
	v_readfirstlane_b32 s16, v3
	s_lshr_b32 s17, s7, s16
	s_lshl_b32 s16, s17, s16
	s_cmp_lg_u32 s16, s7
	s_cselect_b32 s7, 1, 0
	s_addk_i32 s15, 0xfc10
	s_lshl_b32 s16, s15, 12
	s_or_b32 s7, s17, s7
	s_or_b32 s16, s6, s16
	s_cmp_lt_i32 s15, 1
	s_cselect_b32 s7, s7, s16
	s_and_b32 s16, s7, 7
	s_cmp_gt_i32 s16, 5
	s_cselect_b32 s17, 1, 0
	s_cmp_eq_u32 s16, 3
	s_cselect_b32 s16, 1, 0
	s_or_b32 s16, s16, s17
	s_lshr_b32 s7, s7, 2
	s_add_i32 s7, s7, s16
	s_cmp_lt_i32 s15, 31
	s_cselect_b32 s7, s7, 0x7c00
	s_cmp_lg_u32 s6, 0
	s_movk_i32 s6, 0x7e00
	s_cselect_b32 s6, s6, 0x7c00
	s_cmpk_eq_i32 s15, 0x40f
	s_cselect_b32 s6, s6, s7
	s_lshr_b32 s7, s9, 16
	s_and_b32 s7, s7, 0x8000
	s_or_b32 s6, s7, s6
	v_mov_b32_e32 v3, s6
	global_store_short v[0:1], v3, off
.LBB62_814:
	s_mov_b64 s[6:7], 0
.LBB62_815:
	s_andn2_b64 vcc, exec, s[6:7]
	s_cbranch_vccnz .LBB62_831
; %bb.816:
	s_cmp_lt_i32 s14, 2
	s_mov_b64 s[6:7], -1
	s_cbranch_scc1 .LBB62_826
; %bb.817:
	s_cmp_lt_i32 s14, 3
	s_cbranch_scc1 .LBB62_823
; %bb.818:
	s_cmp_gt_i32 s14, 3
	s_cbranch_scc0 .LBB62_820
; %bb.819:
	v_trunc_f64_e32 v[3:4], s[8:9]
	s_movk_i32 s6, 0xffe0
	v_ldexp_f64 v[5:6], v[3:4], s6
	s_mov_b32 s6, 0
	s_mov_b32 s7, 0xc1f00000
	v_floor_f64_e32 v[5:6], v[5:6]
	v_fma_f64 v[3:4], v[5:6], s[6:7], v[3:4]
	v_cvt_i32_f64_e32 v5, v[5:6]
	s_mov_b64 s[6:7], 0
	v_cvt_u32_f64_e32 v4, v[3:4]
	global_store_dwordx2 v[0:1], v[4:5], off
.LBB62_820:
	s_andn2_b64 vcc, exec, s[6:7]
	s_cbranch_vccnz .LBB62_822
; %bb.821:
	v_cvt_i32_f64_e32 v3, s[8:9]
	global_store_dword v[0:1], v3, off
.LBB62_822:
	s_mov_b64 s[6:7], 0
.LBB62_823:
	s_andn2_b64 vcc, exec, s[6:7]
	s_cbranch_vccnz .LBB62_825
; %bb.824:
	v_cvt_i32_f64_e32 v3, s[8:9]
	global_store_short v[0:1], v3, off
.LBB62_825:
	s_mov_b64 s[6:7], 0
.LBB62_826:
	s_andn2_b64 vcc, exec, s[6:7]
	s_cbranch_vccnz .LBB62_831
; %bb.827:
	s_cmp_gt_i32 s14, 0
	s_mov_b64 s[6:7], -1
	s_cbranch_scc0 .LBB62_829
; %bb.828:
	v_cvt_i32_f64_e32 v3, s[8:9]
	s_mov_b64 s[6:7], 0
	global_store_byte v[0:1], v3, off
.LBB62_829:
	s_andn2_b64 vcc, exec, s[6:7]
	s_cbranch_vccnz .LBB62_831
; %bb.830:
	v_trunc_f64_e32 v[3:4], s[8:9]
	s_movk_i32 s6, 0xffe0
	v_ldexp_f64 v[5:6], v[3:4], s6
	s_mov_b32 s6, 0
	s_mov_b32 s7, 0xc1f00000
	v_floor_f64_e32 v[5:6], v[5:6]
	v_fma_f64 v[3:4], v[5:6], s[6:7], v[3:4]
	v_cvt_u32_f64_e32 v3, v[3:4]
	global_store_byte v[0:1], v3, off
.LBB62_831:
	s_branch .LBB62_691
.LBB62_832:
	s_mov_b64 s[6:7], 0
	s_mov_b64 s[12:13], 0
                                        ; implicit-def: $sgpr20
                                        ; implicit-def: $vgpr0_vgpr1
.LBB62_833:
	s_andn2_b64 s[0:1], s[0:1], exec
	s_and_b64 s[4:5], s[4:5], exec
	s_and_b64 s[14:15], s[6:7], exec
	;; [unrolled: 1-line block ×3, first 2 shown]
	s_or_b64 s[0:1], s[0:1], s[4:5]
	s_or_b64 exec, exec, s[2:3]
	s_and_saveexec_b64 s[2:3], s[0:1]
	s_cbranch_execnz .LBB62_434
.LBB62_834:
	s_or_b64 exec, exec, s[2:3]
	s_and_saveexec_b64 s[0:1], s[6:7]
	s_xor_b64 s[0:1], exec, s[0:1]
	s_cbranch_execz .LBB62_435
.LBB62_835:
	v_cmp_neq_f64_e64 s[2:3], s[8:9], 0
	v_cmp_neq_f64_e64 s[4:5], s[10:11], 0
	s_or_b64 s[2:3], s[2:3], s[4:5]
	v_cndmask_b32_e64 v2, 0, 1, s[2:3]
	global_store_byte v[0:1], v2, off
	s_or_b64 exec, exec, s[0:1]
	s_and_saveexec_b64 s[0:1], s[14:15]
	s_cbranch_execz .LBB62_873
.LBB62_836:
	s_sext_i32_i16 s2, s20
	s_cmp_lt_i32 s2, 5
	s_mov_b64 s[0:1], -1
	s_cbranch_scc1 .LBB62_857
; %bb.837:
	s_cmp_lt_i32 s2, 8
	s_cbranch_scc1 .LBB62_847
; %bb.838:
	s_cmp_lt_i32 s2, 9
	s_cbranch_scc1 .LBB62_844
; %bb.839:
	s_cmp_gt_i32 s2, 9
	s_cbranch_scc0 .LBB62_841
; %bb.840:
	v_mov_b32_e32 v2, s8
	v_mov_b32_e32 v3, s9
	;; [unrolled: 1-line block ×4, first 2 shown]
	global_store_dwordx4 v[0:1], v[2:5], off
	s_mov_b64 s[0:1], 0
.LBB62_841:
	s_andn2_b64 vcc, exec, s[0:1]
	s_cbranch_vccnz .LBB62_843
; %bb.842:
	v_cvt_f32_f64_e32 v2, s[8:9]
	v_cvt_f32_f64_e32 v3, s[10:11]
	global_store_dwordx2 v[0:1], v[2:3], off
.LBB62_843:
	s_mov_b64 s[0:1], 0
.LBB62_844:
	s_andn2_b64 vcc, exec, s[0:1]
	s_cbranch_vccnz .LBB62_846
; %bb.845:
	s_lshr_b32 s0, s9, 8
	s_and_b32 s2, s0, 0xffe
	s_and_b32 s0, s9, 0x1ff
	s_or_b32 s0, s0, s8
	s_cmp_lg_u32 s0, 0
	s_cselect_b64 s[0:1], -1, 0
	v_cndmask_b32_e64 v2, 0, 1, s[0:1]
	v_readfirstlane_b32 s0, v2
	s_or_b32 s0, s2, s0
	s_bfe_u32 s2, s9, 0xb0014
	s_sub_i32 s3, 0x3f1, s2
	v_med3_i32 v2, s3, 0, 13
	s_or_b32 s1, s0, 0x1000
	v_readfirstlane_b32 s3, v2
	s_lshr_b32 s4, s1, s3
	s_lshl_b32 s3, s4, s3
	s_cmp_lg_u32 s3, s1
	s_cselect_b32 s1, 1, 0
	s_addk_i32 s2, 0xfc10
	s_lshl_b32 s3, s2, 12
	s_or_b32 s1, s4, s1
	s_or_b32 s3, s0, s3
	s_cmp_lt_i32 s2, 1
	s_cselect_b32 s1, s1, s3
	s_and_b32 s3, s1, 7
	s_cmp_gt_i32 s3, 5
	s_cselect_b32 s4, 1, 0
	s_cmp_eq_u32 s3, 3
	s_cselect_b32 s3, 1, 0
	s_or_b32 s3, s3, s4
	s_lshr_b32 s1, s1, 2
	s_add_i32 s1, s1, s3
	s_cmp_lt_i32 s2, 31
	s_cselect_b32 s1, s1, 0x7c00
	s_cmp_lg_u32 s0, 0
	s_movk_i32 s3, 0x7e00
	s_cselect_b32 s0, s3, 0x7c00
	s_cmpk_eq_i32 s2, 0x40f
	s_cselect_b32 s0, s0, s1
	s_lshr_b32 s1, s9, 16
	s_and_b32 s1, s1, 0x8000
	s_or_b32 s2, s1, s0
	s_lshr_b32 s0, s11, 8
	s_and_b32 s4, s0, 0xffe
	s_and_b32 s0, s11, 0x1ff
	s_or_b32 s0, s0, s10
	s_cmp_lg_u32 s0, 0
	s_cselect_b64 s[0:1], -1, 0
	v_cndmask_b32_e64 v2, 0, 1, s[0:1]
	v_readfirstlane_b32 s0, v2
	s_or_b32 s0, s4, s0
	s_bfe_u32 s4, s11, 0xb0014
	s_sub_i32 s5, 0x3f1, s4
	v_med3_i32 v2, s5, 0, 13
	s_or_b32 s1, s0, 0x1000
	v_readfirstlane_b32 s5, v2
	s_lshr_b32 s6, s1, s5
	s_lshl_b32 s5, s6, s5
	s_cmp_lg_u32 s5, s1
	s_cselect_b32 s1, 1, 0
	s_addk_i32 s4, 0xfc10
	s_lshl_b32 s5, s4, 12
	s_or_b32 s1, s6, s1
	s_or_b32 s5, s0, s5
	s_cmp_lt_i32 s4, 1
	s_cselect_b32 s1, s1, s5
	s_and_b32 s5, s1, 7
	s_cmp_gt_i32 s5, 5
	s_cselect_b32 s6, 1, 0
	s_cmp_eq_u32 s5, 3
	s_cselect_b32 s5, 1, 0
	s_or_b32 s5, s5, s6
	s_lshr_b32 s1, s1, 2
	s_add_i32 s1, s1, s5
	s_cmp_lt_i32 s4, 31
	s_cselect_b32 s1, s1, 0x7c00
	s_cmp_lg_u32 s0, 0
	s_cselect_b32 s0, s3, 0x7c00
	s_cmpk_eq_i32 s4, 0x40f
	s_cselect_b32 s0, s0, s1
	s_lshr_b32 s1, s11, 16
	s_and_b32 s1, s1, 0x8000
	s_or_b32 s0, s1, s0
	s_lshl_b32 s0, s0, 16
	s_and_b32 s1, s2, 0xffff
	s_or_b32 s0, s0, s1
	v_mov_b32_e32 v2, s0
	global_store_dword v[0:1], v2, off
.LBB62_846:
	s_mov_b64 s[0:1], 0
.LBB62_847:
	s_andn2_b64 vcc, exec, s[0:1]
	s_cbranch_vccnz .LBB62_856
; %bb.848:
	s_sext_i32_i16 s2, s20
	s_cmp_lt_i32 s2, 6
	s_mov_b64 s[0:1], -1
	s_cbranch_scc1 .LBB62_854
; %bb.849:
	s_cmp_gt_i32 s2, 6
	s_cbranch_scc0 .LBB62_851
; %bb.850:
	v_mov_b32_e32 v2, s8
	v_mov_b32_e32 v3, s9
	global_store_dwordx2 v[0:1], v[2:3], off
	s_mov_b64 s[0:1], 0
.LBB62_851:
	s_andn2_b64 vcc, exec, s[0:1]
	s_cbranch_vccnz .LBB62_853
; %bb.852:
	v_cvt_f32_f64_e32 v2, s[8:9]
	global_store_dword v[0:1], v2, off
.LBB62_853:
	s_mov_b64 s[0:1], 0
.LBB62_854:
	s_andn2_b64 vcc, exec, s[0:1]
	s_cbranch_vccnz .LBB62_856
; %bb.855:
	s_lshr_b32 s0, s9, 8
	s_and_b32 s2, s0, 0xffe
	s_and_b32 s0, s9, 0x1ff
	s_or_b32 s0, s0, s8
	s_cmp_lg_u32 s0, 0
	s_cselect_b64 s[0:1], -1, 0
	v_cndmask_b32_e64 v2, 0, 1, s[0:1]
	v_readfirstlane_b32 s0, v2
	s_or_b32 s0, s2, s0
	s_bfe_u32 s2, s9, 0xb0014
	s_sub_i32 s3, 0x3f1, s2
	v_med3_i32 v2, s3, 0, 13
	s_or_b32 s1, s0, 0x1000
	v_readfirstlane_b32 s3, v2
	s_lshr_b32 s4, s1, s3
	s_lshl_b32 s3, s4, s3
	s_cmp_lg_u32 s3, s1
	s_cselect_b32 s1, 1, 0
	s_addk_i32 s2, 0xfc10
	s_lshl_b32 s3, s2, 12
	s_or_b32 s1, s4, s1
	s_or_b32 s3, s0, s3
	s_cmp_lt_i32 s2, 1
	s_cselect_b32 s1, s1, s3
	s_and_b32 s3, s1, 7
	s_cmp_gt_i32 s3, 5
	s_cselect_b32 s4, 1, 0
	s_cmp_eq_u32 s3, 3
	s_cselect_b32 s3, 1, 0
	s_or_b32 s3, s3, s4
	s_lshr_b32 s1, s1, 2
	s_add_i32 s1, s1, s3
	s_cmp_lt_i32 s2, 31
	s_cselect_b32 s1, s1, 0x7c00
	s_cmp_lg_u32 s0, 0
	s_movk_i32 s0, 0x7e00
	s_cselect_b32 s0, s0, 0x7c00
	s_cmpk_eq_i32 s2, 0x40f
	s_cselect_b32 s0, s0, s1
	s_lshr_b32 s1, s9, 16
	s_and_b32 s1, s1, 0x8000
	s_or_b32 s0, s1, s0
	v_mov_b32_e32 v2, s0
	global_store_short v[0:1], v2, off
.LBB62_856:
	s_mov_b64 s[0:1], 0
.LBB62_857:
	s_andn2_b64 vcc, exec, s[0:1]
	s_cbranch_vccnz .LBB62_873
; %bb.858:
	s_sext_i32_i16 s2, s20
	s_cmp_lt_i32 s2, 2
	s_mov_b64 s[0:1], -1
	s_cbranch_scc1 .LBB62_868
; %bb.859:
	s_cmp_lt_i32 s2, 3
	s_cbranch_scc1 .LBB62_865
; %bb.860:
	s_cmp_gt_i32 s2, 3
	s_cbranch_scc0 .LBB62_862
; %bb.861:
	v_trunc_f64_e32 v[2:3], s[8:9]
	s_movk_i32 s0, 0xffe0
	v_ldexp_f64 v[4:5], v[2:3], s0
	s_mov_b32 s0, 0
	s_mov_b32 s1, 0xc1f00000
	v_floor_f64_e32 v[4:5], v[4:5]
	v_fma_f64 v[2:3], v[4:5], s[0:1], v[2:3]
	v_cvt_i32_f64_e32 v4, v[4:5]
	s_mov_b64 s[0:1], 0
	v_cvt_u32_f64_e32 v3, v[2:3]
	global_store_dwordx2 v[0:1], v[3:4], off
.LBB62_862:
	s_andn2_b64 vcc, exec, s[0:1]
	s_cbranch_vccnz .LBB62_864
; %bb.863:
	v_cvt_i32_f64_e32 v2, s[8:9]
	global_store_dword v[0:1], v2, off
.LBB62_864:
	s_mov_b64 s[0:1], 0
.LBB62_865:
	s_andn2_b64 vcc, exec, s[0:1]
	s_cbranch_vccnz .LBB62_867
; %bb.866:
	v_cvt_i32_f64_e32 v2, s[8:9]
	global_store_short v[0:1], v2, off
.LBB62_867:
	s_mov_b64 s[0:1], 0
.LBB62_868:
	s_andn2_b64 vcc, exec, s[0:1]
	s_cbranch_vccnz .LBB62_873
; %bb.869:
	s_sext_i32_i16 s0, s20
	s_cmp_gt_i32 s0, 0
	s_mov_b64 s[0:1], -1
	s_cbranch_scc0 .LBB62_871
; %bb.870:
	v_cvt_i32_f64_e32 v2, s[8:9]
	s_mov_b64 s[0:1], 0
	global_store_byte v[0:1], v2, off
.LBB62_871:
	s_andn2_b64 vcc, exec, s[0:1]
	s_cbranch_vccnz .LBB62_873
; %bb.872:
	v_trunc_f64_e32 v[2:3], s[8:9]
	s_movk_i32 s0, 0xffe0
	v_ldexp_f64 v[4:5], v[2:3], s0
	s_mov_b32 s0, 0
	s_mov_b32 s1, 0xc1f00000
	v_floor_f64_e32 v[4:5], v[4:5]
	v_fma_f64 v[2:3], v[4:5], s[0:1], v[2:3]
	v_cvt_u32_f64_e32 v2, v[2:3]
	global_store_byte v[0:1], v2, off
	s_endpgm
.LBB62_873:
	s_endpgm
.LBB62_874:
	s_trap 2
	s_or_b64 s[4:5], s[4:5], exec
	s_cbranch_execz .LBB62_792
	s_branch .LBB62_793
.LBB62_875:
	s_mov_b64 s[14:15], -1
	s_mov_b64 s[12:13], 0
                                        ; implicit-def: $sgpr17
.LBB62_876:
	s_andn2_b64 vcc, exec, s[14:15]
	v_mov_b32_e32 v2, s17
	s_cbranch_vccnz .LBB62_878
; %bb.877:
	v_mov_b32_e32 v2, 0x42800000
	v_add_f32_e64 v2, |s16|, v2
	v_and_b32_e32 v2, 0xff, v2
	v_cmp_ne_u32_e64 s[12:13], 0, v2
.LBB62_878:
	s_andn2_b64 vcc, exec, s[12:13]
	v_mov_b32_e32 v3, 0
	s_cbranch_vccnz .LBB62_880
; %bb.879:
	s_lshr_b32 s12, s16, 24
	s_and_b32 s12, s12, 0x80
	v_or_b32_e32 v3, s12, v2
.LBB62_880:
	s_mov_b64 s[12:13], 0
	global_store_byte v[0:1], v3, off
.LBB62_881:
	s_and_b64 vcc, exec, s[12:13]
	s_cbranch_vccz .LBB62_893
; %bb.882:
	v_cvt_f32_f64_e32 v2, s[8:9]
	v_readfirstlane_b32 s14, v2
	s_and_b32 s15, s14, 0x7fffffff
	s_cmp_lt_u32 s15, 0x43f00000
	s_cbranch_scc0 .LBB62_885
; %bb.883:
	s_cmp_gt_u32 s15, 0x3c7fffff
	s_cbranch_scc0 .LBB62_886
; %bb.884:
	s_bfe_u32 s12, s14, 0x10014
	s_add_i32 s12, s14, s12
	s_add_i32 s12, s12, 0x407ffff
	s_lshr_b32 s13, s12, 20
	s_and_b32 s12, s12, 0xff00000
	s_cmp_lg_u32 s12, 0x7f00000
	s_cselect_b32 s16, s13, 0x7e
	s_mov_b64 s[12:13], 0
	s_branch .LBB62_887
.LBB62_885:
	s_mov_b64 s[12:13], -1
                                        ; implicit-def: $vgpr3
	s_branch .LBB62_890
.LBB62_886:
	s_mov_b64 s[12:13], -1
                                        ; implicit-def: $sgpr16
.LBB62_887:
	s_andn2_b64 vcc, exec, s[12:13]
	v_mov_b32_e32 v3, s16
	s_cbranch_vccnz .LBB62_889
; %bb.888:
	s_mov_b32 s12, 0x46800000
	v_add_f32_e64 v3, |v2|, s12
.LBB62_889:
	s_mov_b64 s[12:13], 0
.LBB62_890:
	s_andn2_b64 vcc, exec, s[12:13]
	s_cbranch_vccnz .LBB62_892
; %bb.891:
	s_cmp_gt_u32 s15, 0x7f800000
	s_movk_i32 s12, 0x7f
	s_cselect_b32 s12, s12, 0x7e
	v_mov_b32_e32 v3, s12
.LBB62_892:
	s_lshr_b32 s12, s14, 24
	s_and_b32 s12, s12, 0x80
	v_or_b32_e32 v2, s12, v3
	global_store_byte v[0:1], v2, off
.LBB62_893:
	s_mov_b64 s[12:13], 0
.LBB62_894:
	s_andn2_b64 vcc, exec, s[12:13]
	s_cbranch_vccnz .LBB62_906
; %bb.895:
	v_cvt_f32_f64_e32 v2, s[8:9]
	v_readfirstlane_b32 s14, v2
	s_and_b32 s15, s14, 0x7fffffff
	s_cmp_lt_u32 s15, 0x47800000
	s_cbranch_scc0 .LBB62_898
; %bb.896:
	s_cmp_gt_u32 s15, 0x387fffff
	s_cbranch_scc0 .LBB62_899
; %bb.897:
	s_bfe_u32 s12, s14, 0x10015
	s_add_i32 s12, s14, s12
	s_add_i32 s12, s12, 0x80fffff
	s_lshr_b32 s16, s12, 21
	s_mov_b64 s[12:13], 0
	s_branch .LBB62_900
.LBB62_898:
	s_mov_b64 s[12:13], -1
                                        ; implicit-def: $vgpr3
	s_branch .LBB62_903
.LBB62_899:
	s_mov_b64 s[12:13], -1
                                        ; implicit-def: $sgpr16
.LBB62_900:
	s_andn2_b64 vcc, exec, s[12:13]
	v_mov_b32_e32 v3, s16
	s_cbranch_vccnz .LBB62_902
; %bb.901:
	s_mov_b32 s12, 0x43000000
	v_add_f32_e64 v3, |v2|, s12
.LBB62_902:
	s_mov_b64 s[12:13], 0
.LBB62_903:
	s_andn2_b64 vcc, exec, s[12:13]
	s_cbranch_vccnz .LBB62_905
; %bb.904:
	s_cmp_gt_u32 s15, 0x7f800000
	s_movk_i32 s12, 0x7f
	s_cselect_b32 s12, s12, 0x7c
	v_mov_b32_e32 v3, s12
.LBB62_905:
	s_lshr_b32 s12, s14, 24
	s_and_b32 s12, s12, 0x80
	v_or_b32_e32 v2, s12, v3
	global_store_byte v[0:1], v2, off
.LBB62_906:
	s_mov_b64 s[12:13], 0
.LBB62_907:
	s_andn2_b64 vcc, exec, s[12:13]
	s_mov_b64 s[12:13], 0
	s_cbranch_vccnz .LBB62_914
; %bb.908:
	s_cmp_gt_i32 s18, 14
	s_mov_b64 s[14:15], -1
	s_cbranch_scc0 .LBB62_912
; %bb.909:
	s_cmp_eq_u32 s18, 15
	s_mov_b64 s[6:7], -1
	s_cbranch_scc0 .LBB62_911
; %bb.910:
	v_cvt_f32_f64_e32 v2, s[8:9]
	v_mov_b32_e32 v3, 0x7fc0
	s_mov_b64 s[6:7], 0
	v_bfe_u32 v4, v2, 16, 1
	v_cmp_o_f32_e32 vcc, v2, v2
	v_add_u32_e32 v2, v2, v4
	v_add_u32_e32 v2, 0x7fff, v2
	v_cndmask_b32_sdwa v2, v3, v2, vcc dst_sel:DWORD dst_unused:UNUSED_PAD src0_sel:DWORD src1_sel:WORD_1
	global_store_short v[0:1], v2, off
.LBB62_911:
	s_mov_b64 s[14:15], 0
.LBB62_912:
	s_and_b64 vcc, exec, s[14:15]
	s_cbranch_vccz .LBB62_914
; %bb.913:
	s_cmp_lg_u32 s18, 11
	s_mov_b64 s[12:13], -1
	s_cselect_b64 s[6:7], -1, 0
.LBB62_914:
	s_and_b64 vcc, exec, s[6:7]
	s_cbranch_vccnz .LBB62_916
.LBB62_915:
	s_mov_b64 s[6:7], 0
	s_branch .LBB62_833
.LBB62_916:
	s_mov_b64 s[12:13], 0
	s_or_b64 s[4:5], s[4:5], exec
	s_trap 2
	s_branch .LBB62_915
	.section	.rodata,"a",@progbits
	.p2align	6, 0x0
	.amdhsa_kernel _ZN2at6native32elementwise_kernel_manual_unrollILi128ELi4EZNS0_15gpu_kernel_implINS0_11FillFunctorIN3c107complexIdEEEEEEvRNS_18TensorIteratorBaseERKT_EUlibE_EEviT1_
		.amdhsa_group_segment_fixed_size 0
		.amdhsa_private_segment_fixed_size 0
		.amdhsa_kernarg_size 64
		.amdhsa_user_sgpr_count 6
		.amdhsa_user_sgpr_private_segment_buffer 1
		.amdhsa_user_sgpr_dispatch_ptr 0
		.amdhsa_user_sgpr_queue_ptr 0
		.amdhsa_user_sgpr_kernarg_segment_ptr 1
		.amdhsa_user_sgpr_dispatch_id 0
		.amdhsa_user_sgpr_flat_scratch_init 0
		.amdhsa_user_sgpr_private_segment_size 0
		.amdhsa_uses_dynamic_stack 0
		.amdhsa_system_sgpr_private_segment_wavefront_offset 0
		.amdhsa_system_sgpr_workgroup_id_x 1
		.amdhsa_system_sgpr_workgroup_id_y 0
		.amdhsa_system_sgpr_workgroup_id_z 0
		.amdhsa_system_sgpr_workgroup_info 0
		.amdhsa_system_vgpr_workitem_id 0
		.amdhsa_next_free_vgpr 22
		.amdhsa_next_free_sgpr 66
		.amdhsa_reserve_vcc 1
		.amdhsa_reserve_flat_scratch 0
		.amdhsa_float_round_mode_32 0
		.amdhsa_float_round_mode_16_64 0
		.amdhsa_float_denorm_mode_32 3
		.amdhsa_float_denorm_mode_16_64 3
		.amdhsa_dx10_clamp 1
		.amdhsa_ieee_mode 1
		.amdhsa_fp16_overflow 0
		.amdhsa_exception_fp_ieee_invalid_op 0
		.amdhsa_exception_fp_denorm_src 0
		.amdhsa_exception_fp_ieee_div_zero 0
		.amdhsa_exception_fp_ieee_overflow 0
		.amdhsa_exception_fp_ieee_underflow 0
		.amdhsa_exception_fp_ieee_inexact 0
		.amdhsa_exception_int_div_zero 0
	.end_amdhsa_kernel
	.section	.text._ZN2at6native32elementwise_kernel_manual_unrollILi128ELi4EZNS0_15gpu_kernel_implINS0_11FillFunctorIN3c107complexIdEEEEEEvRNS_18TensorIteratorBaseERKT_EUlibE_EEviT1_,"axG",@progbits,_ZN2at6native32elementwise_kernel_manual_unrollILi128ELi4EZNS0_15gpu_kernel_implINS0_11FillFunctorIN3c107complexIdEEEEEEvRNS_18TensorIteratorBaseERKT_EUlibE_EEviT1_,comdat
.Lfunc_end62:
	.size	_ZN2at6native32elementwise_kernel_manual_unrollILi128ELi4EZNS0_15gpu_kernel_implINS0_11FillFunctorIN3c107complexIdEEEEEEvRNS_18TensorIteratorBaseERKT_EUlibE_EEviT1_, .Lfunc_end62-_ZN2at6native32elementwise_kernel_manual_unrollILi128ELi4EZNS0_15gpu_kernel_implINS0_11FillFunctorIN3c107complexIdEEEEEEvRNS_18TensorIteratorBaseERKT_EUlibE_EEviT1_
                                        ; -- End function
	.set _ZN2at6native32elementwise_kernel_manual_unrollILi128ELi4EZNS0_15gpu_kernel_implINS0_11FillFunctorIN3c107complexIdEEEEEEvRNS_18TensorIteratorBaseERKT_EUlibE_EEviT1_.num_vgpr, 22
	.set _ZN2at6native32elementwise_kernel_manual_unrollILi128ELi4EZNS0_15gpu_kernel_implINS0_11FillFunctorIN3c107complexIdEEEEEEvRNS_18TensorIteratorBaseERKT_EUlibE_EEviT1_.num_agpr, 0
	.set _ZN2at6native32elementwise_kernel_manual_unrollILi128ELi4EZNS0_15gpu_kernel_implINS0_11FillFunctorIN3c107complexIdEEEEEEvRNS_18TensorIteratorBaseERKT_EUlibE_EEviT1_.numbered_sgpr, 66
	.set _ZN2at6native32elementwise_kernel_manual_unrollILi128ELi4EZNS0_15gpu_kernel_implINS0_11FillFunctorIN3c107complexIdEEEEEEvRNS_18TensorIteratorBaseERKT_EUlibE_EEviT1_.num_named_barrier, 0
	.set _ZN2at6native32elementwise_kernel_manual_unrollILi128ELi4EZNS0_15gpu_kernel_implINS0_11FillFunctorIN3c107complexIdEEEEEEvRNS_18TensorIteratorBaseERKT_EUlibE_EEviT1_.private_seg_size, 0
	.set _ZN2at6native32elementwise_kernel_manual_unrollILi128ELi4EZNS0_15gpu_kernel_implINS0_11FillFunctorIN3c107complexIdEEEEEEvRNS_18TensorIteratorBaseERKT_EUlibE_EEviT1_.uses_vcc, 1
	.set _ZN2at6native32elementwise_kernel_manual_unrollILi128ELi4EZNS0_15gpu_kernel_implINS0_11FillFunctorIN3c107complexIdEEEEEEvRNS_18TensorIteratorBaseERKT_EUlibE_EEviT1_.uses_flat_scratch, 0
	.set _ZN2at6native32elementwise_kernel_manual_unrollILi128ELi4EZNS0_15gpu_kernel_implINS0_11FillFunctorIN3c107complexIdEEEEEEvRNS_18TensorIteratorBaseERKT_EUlibE_EEviT1_.has_dyn_sized_stack, 0
	.set _ZN2at6native32elementwise_kernel_manual_unrollILi128ELi4EZNS0_15gpu_kernel_implINS0_11FillFunctorIN3c107complexIdEEEEEEvRNS_18TensorIteratorBaseERKT_EUlibE_EEviT1_.has_recursion, 0
	.set _ZN2at6native32elementwise_kernel_manual_unrollILi128ELi4EZNS0_15gpu_kernel_implINS0_11FillFunctorIN3c107complexIdEEEEEEvRNS_18TensorIteratorBaseERKT_EUlibE_EEviT1_.has_indirect_call, 0
	.section	.AMDGPU.csdata,"",@progbits
; Kernel info:
; codeLenInByte = 16128
; TotalNumSgprs: 70
; NumVgprs: 22
; ScratchSize: 0
; MemoryBound: 0
; FloatMode: 240
; IeeeMode: 1
; LDSByteSize: 0 bytes/workgroup (compile time only)
; SGPRBlocks: 8
; VGPRBlocks: 5
; NumSGPRsForWavesPerEU: 70
; NumVGPRsForWavesPerEU: 22
; Occupancy: 10
; WaveLimiterHint : 0
; COMPUTE_PGM_RSRC2:SCRATCH_EN: 0
; COMPUTE_PGM_RSRC2:USER_SGPR: 6
; COMPUTE_PGM_RSRC2:TRAP_HANDLER: 0
; COMPUTE_PGM_RSRC2:TGID_X_EN: 1
; COMPUTE_PGM_RSRC2:TGID_Y_EN: 0
; COMPUTE_PGM_RSRC2:TGID_Z_EN: 0
; COMPUTE_PGM_RSRC2:TIDIG_COMP_CNT: 0
	.section	.text._ZN2at6native32elementwise_kernel_manual_unrollILi128ELi4EZNS0_15gpu_kernel_implINS0_11FillFunctorIN3c107complexIdEEEEEEvRNS_18TensorIteratorBaseERKT_EUlibE0_EEviT1_,"axG",@progbits,_ZN2at6native32elementwise_kernel_manual_unrollILi128ELi4EZNS0_15gpu_kernel_implINS0_11FillFunctorIN3c107complexIdEEEEEEvRNS_18TensorIteratorBaseERKT_EUlibE0_EEviT1_,comdat
	.protected	_ZN2at6native32elementwise_kernel_manual_unrollILi128ELi4EZNS0_15gpu_kernel_implINS0_11FillFunctorIN3c107complexIdEEEEEEvRNS_18TensorIteratorBaseERKT_EUlibE0_EEviT1_ ; -- Begin function _ZN2at6native32elementwise_kernel_manual_unrollILi128ELi4EZNS0_15gpu_kernel_implINS0_11FillFunctorIN3c107complexIdEEEEEEvRNS_18TensorIteratorBaseERKT_EUlibE0_EEviT1_
	.globl	_ZN2at6native32elementwise_kernel_manual_unrollILi128ELi4EZNS0_15gpu_kernel_implINS0_11FillFunctorIN3c107complexIdEEEEEEvRNS_18TensorIteratorBaseERKT_EUlibE0_EEviT1_
	.p2align	8
	.type	_ZN2at6native32elementwise_kernel_manual_unrollILi128ELi4EZNS0_15gpu_kernel_implINS0_11FillFunctorIN3c107complexIdEEEEEEvRNS_18TensorIteratorBaseERKT_EUlibE0_EEviT1_,@function
_ZN2at6native32elementwise_kernel_manual_unrollILi128ELi4EZNS0_15gpu_kernel_implINS0_11FillFunctorIN3c107complexIdEEEEEEvRNS_18TensorIteratorBaseERKT_EUlibE0_EEviT1_: ; @_ZN2at6native32elementwise_kernel_manual_unrollILi128ELi4EZNS0_15gpu_kernel_implINS0_11FillFunctorIN3c107complexIdEEEEEEvRNS_18TensorIteratorBaseERKT_EUlibE0_EEviT1_
; %bb.0:
	s_load_dword s94, s[4:5], 0x0
	s_load_dword s33, s[4:5], 0x10
	s_add_u32 s34, s4, 16
	s_addc_u32 s35, s5, 0
	v_lshl_or_b32 v8, s6, 9, v0
	v_or_b32_e32 v9, 0x180, v8
	s_waitcnt lgkmcnt(0)
	s_add_i32 s82, s33, -1
	s_cmp_gt_u32 s82, 1
	v_cmp_le_i32_e32 vcc, s94, v9
	s_cselect_b64 s[36:37], -1, 0
	s_mov_b64 s[6:7], 0
	s_mov_b64 s[20:21], 0
	s_and_saveexec_b64 s[0:1], vcc
	s_xor_b64 s[38:39], exec, s[0:1]
	s_cbranch_execz .LBB63_466
; %bb.1:
	s_load_dwordx4 s[16:19], s[34:35], 0x108
	s_load_dwordx2 s[58:59], s[34:35], 0xc4
	s_movk_i32 s2, 0xffe0
	s_cmp_lg_u32 s33, 0
	s_mov_b32 s0, 0
	s_waitcnt lgkmcnt(0)
	v_trunc_f64_e32 v[0:1], s[18:19]
	v_cvt_f32_f64_e32 v2, s[18:19]
	s_cselect_b64 s[66:67], -1, 0
	s_add_u32 s62, s34, 0xc4
	s_mov_b32 s1, 0xc1f00000
	v_bfe_u32 v6, v2, 23, 8
	v_and_b32_e32 v7, 0x3fffff, v2
	s_movk_i32 s3, 0xff
	v_ldexp_f64 v[3:4], v[0:1], s2
	s_addc_u32 s63, s35, 0
	s_min_u32 s95, s82, 15
	s_cmp_gt_u32 s33, 1
	v_readfirstlane_b32 s8, v2
	v_cmp_eq_u32_e64 s[4:5], s3, v6
	s_cselect_b64 s[60:61], -1, 0
	s_and_b32 s9, s8, 0x7fffffff
	v_floor_f64_e32 v[4:5], v[3:4]
	v_and_b32_e32 v3, 0x400000, v2
	v_cmp_ne_u32_e32 vcc, 0, v3
	v_or_b32_e32 v3, v6, v7
	s_load_dwordx2 s[40:41], s[34:35], 0x118
	s_load_dword s26, s[34:35], 0x120
	v_lshrrev_b32_e32 v9, 23, v2
	s_load_dwordx2 s[80:81], s[34:35], 0x14
	s_load_dwordx4 s[20:23], s[34:35], 0x4
	v_cvt_u32_f64_e32 v14, s[18:19]
	v_fma_f64 v[6:7], v[4:5], s[0:1], v[0:1]
	v_cmp_ne_u32_e64 s[0:1], 0, v3
	s_and_b64 s[0:1], vcc, s[0:1]
	s_cmp_lt_u32 s9, 0x43800000
	s_cselect_b64 s[54:55], -1, 0
	s_cmp_gt_u32 s9, 0x3bffffff
	v_cndmask_b32_e64 v0, 0, 1, s[0:1]
	s_cselect_b64 s[86:87], -1, 0
	s_bfe_u32 s0, s8, 0x10014
	s_add_i32 s10, s8, s0
	s_add_i32 s0, s10, 0x487ffff
	s_lshr_b32 s92, s0, 20
	s_mov_b32 s0, 0x46000000
	v_add_f32_e64 v15, |v2|, s0
	v_readfirstlane_b32 s0, v15
	s_and_b32 s0, s0, 0xff
	s_cmp_lg_u32 s0, 0
	s_cselect_b64 s[56:57], -1, 0
	s_cmp_gt_u32 s9, 0x477fffff
	s_cselect_b64 s[42:43], -1, 0
	s_cmp_lt_u32 s9, 0x47800000
	s_movk_i32 s0, 0x80
	s_cselect_b64 s[50:51], -1, 0
	s_cmp_gt_u32 s9, 0x37ffffff
	v_and_b32_sdwa v11, v2, s0 dst_sel:DWORD dst_unused:UNUSED_PAD src0_sel:BYTE_3 src1_sel:DWORD
	s_cselect_b64 s[0:1], -1, 0
	s_bfe_u32 s11, s8, 0x10015
	s_add_i32 s8, s8, s11
	s_add_i32 s11, s8, 0x88fffff
	s_lshr_b32 s88, s11, 21
	s_mov_b32 s11, 0x42800000
	v_add_f32_e64 v13, |v2|, s11
	v_readfirstlane_b32 s11, v13
	s_and_b32 s11, s11, 0xff
	s_cmp_lg_u32 s11, 0
	s_cselect_b64 s[52:53], -1, 0
	s_cmp_gt_u32 s9, 0x43efffff
	s_cselect_b64 s[46:47], -1, 0
	s_cmp_lt_u32 s9, 0x3c800000
	s_cselect_b64 s[48:49], -1, 0
	s_add_i32 s10, s10, 0x407ffff
	s_lshr_b32 s11, s10, 20
	s_and_b32 s10, s10, 0xff00000
	s_cmp_lg_u32 s10, 0x7f00000
	s_cselect_b32 s89, s11, 0x7e
	s_cmp_lt_u32 s9, 0x38800000
	s_cselect_b64 s[44:45], -1, 0
	s_add_i32 s8, s8, 0x80fffff
	s_lshr_b32 s93, s8, 21
	s_mov_b32 s10, 0x46800000
	s_cmp_gt_u32 s9, 0x7f800000
	s_movk_i32 s8, 0x7f
	v_add_f32_e64 v3, |v2|, s10
	s_cselect_b32 s90, s8, 0x7e
	s_mov_b32 s8, 0x43000000
	v_readfirstlane_b32 s91, v3
	v_add_f32_e64 v3, |v2|, s8
	s_movk_i32 s8, 0x7c
	s_cselect_b32 s84, 0x7f, s8
	v_cmp_neq_f64_e64 s[8:9], s[18:19], 0
	s_waitcnt lgkmcnt(0)
	v_cmp_neq_f64_e64 s[10:11], s[40:41], 0
	v_readfirstlane_b32 s85, v3
	v_bfe_u32 v3, v2, 16, 1
	v_add_u32_e32 v3, v2, v3
	v_add_u32_e32 v3, 0x7fff, v3
	v_add_u32_e32 v16, v9, v0
	v_cvt_u32_f64_e32 v0, v[6:7]
	v_lshrrev_b32_e32 v3, 16, v3
	v_mov_b32_e32 v6, 0x7fc0
	v_cmp_o_f32_e32 vcc, v2, v2
	v_cndmask_b32_e32 v12, v6, v3, vcc
	v_cvt_f32_f64_e32 v3, s[40:41]
	s_or_b64 s[8:9], s[8:9], s[10:11]
	v_cndmask_b32_e64 v10, 0, 1, s[8:9]
	s_lshr_b32 s8, s19, 8
	v_bfe_u32 v6, v3, 16, 1
	v_add_u32_e32 v6, v3, v6
	s_and_b32 s10, s8, 0xffe
	s_and_b32 s8, s19, 0x1ff
	v_add_u32_e32 v6, 0x7fff, v6
	s_or_b32 s8, s8, s18
	v_and_b32_e32 v6, 0xffff0000, v6
	v_mov_b32_e32 v7, 0x7fc00000
	v_cmp_o_f32_e32 vcc, v3, v3
	s_cmp_lg_u32 s8, 0
	v_cndmask_b32_e32 v6, v7, v6, vcc
	s_cselect_b64 s[8:9], -1, 0
	v_or_b32_e32 v17, v6, v12
	v_cndmask_b32_e64 v6, 0, 1, s[8:9]
	v_readfirstlane_b32 s8, v6
	s_or_b32 s8, s10, s8
	s_bfe_u32 s10, s19, 0xb0014
	s_sub_i32 s11, 0x3f1, s10
	v_med3_i32 v6, s11, 0, 13
	s_or_b32 s9, s8, 0x1000
	v_readfirstlane_b32 s11, v6
	s_lshr_b32 s12, s9, s11
	s_lshl_b32 s11, s12, s11
	s_cmp_lg_u32 s11, s9
	s_cselect_b32 s9, 1, 0
	s_addk_i32 s10, 0xfc10
	s_lshl_b32 s11, s10, 12
	s_or_b32 s9, s12, s9
	s_or_b32 s11, s8, s11
	s_cmp_lt_i32 s10, 1
	s_cselect_b32 s9, s9, s11
	s_and_b32 s11, s9, 7
	s_cmp_gt_i32 s11, 5
	s_cselect_b32 s12, 1, 0
	s_cmp_eq_u32 s11, 3
	s_cselect_b32 s11, 1, 0
	s_or_b32 s11, s11, s12
	s_lshr_b32 s9, s9, 2
	s_add_i32 s9, s9, s11
	s_cmp_lt_i32 s10, 31
	s_cselect_b32 s9, s9, 0x7c00
	s_cmp_lg_u32 s8, 0
	s_movk_i32 s11, 0x7e00
	s_cselect_b32 s8, s11, 0x7c00
	s_cmpk_eq_i32 s10, 0x40f
	s_cselect_b32 s8, s8, s9
	s_lshr_b32 s9, s19, 16
	s_and_b32 s9, s9, 0x8000
	s_or_b32 s83, s9, s8
	s_lshr_b32 s8, s41, 8
	s_and_b32 s10, s8, 0xffe
	s_and_b32 s8, s41, 0x1ff
	s_or_b32 s8, s8, s40
	s_cmp_lg_u32 s8, 0
	s_cselect_b64 s[8:9], -1, 0
	v_cndmask_b32_e64 v6, 0, 1, s[8:9]
	v_readfirstlane_b32 s8, v6
	s_or_b32 s8, s10, s8
	s_bfe_u32 s10, s41, 0xb0014
	s_sub_i32 s12, 0x3f1, s10
	v_med3_i32 v6, s12, 0, 13
	s_or_b32 s9, s8, 0x1000
	v_readfirstlane_b32 s12, v6
	s_lshr_b32 s13, s9, s12
	s_lshl_b32 s12, s13, s12
	s_cmp_lg_u32 s12, s9
	s_cselect_b32 s9, 1, 0
	s_addk_i32 s10, 0xfc10
	s_lshl_b32 s12, s10, 12
	s_or_b32 s9, s13, s9
	s_or_b32 s12, s8, s12
	s_cmp_lt_i32 s10, 1
	s_cselect_b32 s9, s9, s12
	s_and_b32 s12, s9, 7
	s_cmp_gt_i32 s12, 5
	s_cselect_b32 s13, 1, 0
	s_cmp_eq_u32 s12, 3
	s_cselect_b32 s12, 1, 0
	s_or_b32 s12, s12, s13
	s_lshr_b32 s9, s9, 2
	s_add_i32 s9, s9, s12
	s_cmp_lt_i32 s10, 31
	s_cselect_b32 s9, s9, 0x7c00
	s_cmp_lg_u32 s8, 0
	s_cselect_b32 s8, s11, 0x7c00
	s_cmpk_eq_i32 s10, 0x40f
	s_cselect_b32 s8, s8, s9
	s_lshr_b32 s9, s41, 16
	v_cvt_u32_f64_e32 v1, v[4:5]
	s_and_b32 s9, s9, 0x8000
	v_cvt_i32_f64_e32 v5, v[4:5]
	v_cvt_i32_f64_e32 v9, s[18:19]
	s_or_b32 s8, s9, s8
	s_lshl_b32 s8, s8, 16
	s_and_b32 s9, s83, 0xffff
	s_mov_b64 s[74:75], 0
	s_or_b32 s25, s8, s9
	v_mov_b32_e32 v4, v0
	v_cmp_gt_i32_e32 vcc, s94, v8
	s_mov_b64 s[10:11], -1
	s_mov_b64 s[68:69], 0
	s_and_saveexec_b64 s[70:71], vcc
	s_cbranch_execz .LBB63_115
; %bb.2:
	s_andn2_b64 vcc, exec, s[36:37]
	s_cbranch_vccnz .LBB63_8
; %bb.3:
	s_andn2_b64 vcc, exec, s[66:67]
	s_cbranch_vccnz .LBB63_9
; %bb.4:
	s_add_i32 s64, s95, 1
	s_cmp_eq_u32 s82, 2
	s_cbranch_scc1 .LBB63_10
; %bb.5:
	s_mov_b32 s3, s26
	s_mov_b32 s2, s25
	s_and_b32 s76, s64, 28
	s_mov_b32 s65, 0
	v_mov_b32_e32 v6, 0
	s_mov_b64 s[68:69], s[34:35]
	s_mov_b64 s[72:73], s[62:63]
	v_mov_b32_e32 v7, v8
.LBB63_6:                               ; =>This Inner Loop Header: Depth=1
	s_load_dwordx8 s[8:15], s[68:69], 0x4
	s_load_dwordx4 s[24:27], s[68:69], 0x24
	s_load_dwordx4 s[28:31], s[72:73], 0x0
	s_add_u32 s68, s68, 48
	s_addc_u32 s69, s69, 0
	s_waitcnt lgkmcnt(0)
	v_mul_hi_u32 v18, s9, v7
	s_add_i32 s65, s65, 4
	s_add_u32 s72, s72, 16
	s_addc_u32 s73, s73, 0
	v_add_u32_e32 v18, v7, v18
	v_lshrrev_b32_e32 v18, s10, v18
	v_mul_lo_u32 v19, v18, s8
	v_mul_hi_u32 v20, s12, v18
	s_cmp_lg_u32 s76, s65
	v_sub_u32_e32 v7, v7, v19
	v_add_u32_e32 v19, v18, v20
	v_lshrrev_b32_e32 v19, s13, v19
	v_mul_lo_u32 v20, v7, s28
	v_mul_hi_u32 v7, s15, v19
	v_mul_lo_u32 v22, v19, s11
	v_add_u32_e32 v7, v19, v7
	v_lshrrev_b32_e32 v21, s24, v7
	v_mul_hi_u32 v7, s26, v21
	v_sub_u32_e32 v18, v18, v22
	v_mul_lo_u32 v22, v21, s14
	v_mul_lo_u32 v18, v18, s29
	v_add_u32_e32 v7, v21, v7
	v_lshrrev_b32_e32 v7, s27, v7
	v_mul_lo_u32 v23, v7, s25
	v_sub_u32_e32 v19, v19, v22
	v_mul_lo_u32 v19, v19, s30
	v_add3_u32 v6, v20, v6, v18
	v_sub_u32_e32 v21, v21, v23
	v_mul_lo_u32 v21, v21, s31
	v_add3_u32 v6, v19, v6, v21
	s_cbranch_scc1 .LBB63_6
; %bb.7:
	s_mov_b32 s25, s2
	s_mov_b32 s26, s3
	s_branch .LBB63_11
.LBB63_8:
                                        ; implicit-def: $vgpr6
	s_branch .LBB63_15
.LBB63_9:
	v_mov_b32_e32 v6, 0
	s_branch .LBB63_14
.LBB63_10:
	v_mov_b32_e32 v6, 0
	s_mov_b32 s76, 0
	v_mov_b32_e32 v7, v8
.LBB63_11:
	s_and_b32 s12, s64, 3
	s_cmp_eq_u32 s12, 0
	s_cbranch_scc1 .LBB63_14
; %bb.12:
	s_lshl_b32 s8, s76, 2
	s_add_u32 s8, s34, s8
	s_addc_u32 s9, s35, 0
	s_add_u32 s8, s8, 0xc4
	s_addc_u32 s9, s9, 0
	s_mul_i32 s10, s76, 12
	s_add_u32 s10, s34, s10
	s_addc_u32 s11, s35, 0
.LBB63_13:                              ; =>This Inner Loop Header: Depth=1
	s_load_dwordx2 s[14:15], s[10:11], 0x4
	s_load_dword s13, s[10:11], 0xc
	s_add_u32 s10, s10, 12
	s_addc_u32 s11, s11, 0
	s_waitcnt lgkmcnt(0)
	v_mul_hi_u32 v18, s15, v7
	s_load_dword s15, s[8:9], 0x0
	s_add_u32 s8, s8, 4
	s_addc_u32 s9, s9, 0
	v_add_u32_e32 v18, v7, v18
	v_lshrrev_b32_e32 v18, s13, v18
	v_mul_lo_u32 v19, v18, s14
	s_add_i32 s12, s12, -1
	s_cmp_lg_u32 s12, 0
	v_sub_u32_e32 v7, v7, v19
	s_waitcnt lgkmcnt(0)
	v_mad_u64_u32 v[6:7], s[14:15], v7, s15, v[6:7]
	v_mov_b32_e32 v7, v18
	s_cbranch_scc1 .LBB63_13
.LBB63_14:
	s_cbranch_execnz .LBB63_17
.LBB63_15:
	v_mul_hi_u32 v6, s21, v8
	s_andn2_b64 vcc, exec, s[60:61]
	v_add_u32_e32 v6, v8, v6
	v_lshrrev_b32_e32 v7, s22, v6
	v_mul_lo_u32 v6, v7, s20
	v_sub_u32_e32 v6, v8, v6
	v_mul_lo_u32 v6, v6, s58
	s_cbranch_vccnz .LBB63_17
; %bb.16:
	v_mul_hi_u32 v18, s80, v7
	v_add_u32_e32 v18, v7, v18
	v_lshrrev_b32_e32 v18, s81, v18
	v_mul_lo_u32 v18, v18, s23
	v_sub_u32_e32 v7, v7, v18
	v_mad_u64_u32 v[6:7], s[8:9], v7, s59, v[6:7]
.LBB63_17:
	v_mov_b32_e32 v7, s17
	s_and_b32 s14, s26, 0xff
	v_add_co_u32_e32 v6, vcc, s16, v6
	s_cmp_lt_i32 s14, 11
	v_addc_co_u32_e32 v7, vcc, 0, v7, vcc
	s_cbranch_scc1 .LBB63_24
; %bb.18:
	s_and_b32 s15, 0xffff, s14
	s_cmp_gt_i32 s15, 25
	s_cbranch_scc0 .LBB63_27
; %bb.19:
	s_cmp_gt_i32 s15, 28
	s_cbranch_scc0 .LBB63_28
; %bb.20:
	;; [unrolled: 3-line block ×4, first 2 shown]
	s_mov_b64 s[12:13], 0
	s_mov_b64 s[8:9], -1
	s_cmp_eq_u32 s15, 46
	s_mov_b64 s[10:11], 0
	s_cbranch_scc0 .LBB63_31
; %bb.23:
	global_store_dword v[6:7], v17, off
	s_mov_b64 s[10:11], -1
	s_mov_b64 s[8:9], 0
	s_branch .LBB63_31
.LBB63_24:
	s_mov_b64 s[8:9], 0
	s_mov_b64 s[10:11], 0
	s_cbranch_execnz .LBB63_75
.LBB63_25:
	s_andn2_b64 vcc, exec, s[10:11]
	s_cbranch_vccnz .LBB63_113
.LBB63_26:
	v_add_u32_e32 v8, 0x80, v8
	s_mov_b64 s[10:11], -1
	s_branch .LBB63_114
.LBB63_27:
	s_mov_b64 s[8:9], 0
	s_mov_b64 s[10:11], 0
	s_cbranch_execnz .LBB63_53
	s_branch .LBB63_74
.LBB63_28:
	s_mov_b64 s[12:13], -1
	s_mov_b64 s[8:9], 0
	s_mov_b64 s[10:11], 0
	s_branch .LBB63_39
.LBB63_29:
	s_mov_b64 s[12:13], -1
	s_mov_b64 s[8:9], 0
	s_mov_b64 s[10:11], 0
	s_branch .LBB63_35
.LBB63_30:
	s_mov_b64 s[12:13], -1
	s_mov_b64 s[8:9], 0
	s_mov_b64 s[10:11], 0
.LBB63_31:
	s_and_b64 vcc, exec, s[12:13]
	s_cbranch_vccz .LBB63_34
; %bb.32:
	s_cmp_eq_u32 s15, 44
	s_mov_b64 s[8:9], -1
	s_cbranch_scc0 .LBB63_34
; %bb.33:
	v_mov_b32_e32 v18, 0xffff
	v_cndmask_b32_e64 v18, v16, v18, s[4:5]
	global_store_byte v[6:7], v18, off
	s_mov_b64 s[10:11], -1
	s_mov_b64 s[8:9], 0
.LBB63_34:
	s_mov_b64 s[12:13], 0
.LBB63_35:
	s_and_b64 vcc, exec, s[12:13]
	s_cbranch_vccz .LBB63_38
; %bb.36:
	s_cmp_eq_u32 s15, 29
	s_mov_b64 s[8:9], -1
	s_cbranch_scc0 .LBB63_38
; %bb.37:
	global_store_dwordx2 v[6:7], v[0:1], off
	s_mov_b64 s[10:11], -1
	s_mov_b64 s[8:9], 0
.LBB63_38:
	s_mov_b64 s[12:13], 0
.LBB63_39:
	s_and_b64 vcc, exec, s[12:13]
	s_cbranch_vccz .LBB63_52
; %bb.40:
	s_cmp_lt_i32 s15, 27
	s_mov_b64 s[10:11], -1
	s_cbranch_scc1 .LBB63_46
; %bb.41:
	s_cmp_gt_i32 s15, 27
	s_cbranch_scc0 .LBB63_43
; %bb.42:
	s_mov_b64 s[10:11], 0
	global_store_dword v[6:7], v14, off
.LBB63_43:
	s_andn2_b64 vcc, exec, s[10:11]
	s_cbranch_vccnz .LBB63_45
; %bb.44:
	global_store_short v[6:7], v14, off
.LBB63_45:
	s_mov_b64 s[10:11], 0
.LBB63_46:
	s_andn2_b64 vcc, exec, s[10:11]
	s_cbranch_vccnz .LBB63_51
; %bb.47:
	s_andn2_b64 vcc, exec, s[54:55]
	v_mov_b32_e32 v18, 0x80
	s_cbranch_vccnz .LBB63_50
; %bb.48:
	s_or_b64 s[10:11], s[86:87], s[56:57]
	s_andn2_b64 vcc, exec, s[10:11]
	v_mov_b32_e32 v18, 0
	s_cbranch_vccnz .LBB63_50
; %bb.49:
	v_mov_b32_e32 v18, s92
	v_cndmask_b32_e64 v18, v15, v18, s[86:87]
	v_or_b32_e32 v18, v18, v11
.LBB63_50:
	global_store_byte v[6:7], v18, off
.LBB63_51:
	s_mov_b64 s[10:11], -1
.LBB63_52:
	s_branch .LBB63_74
.LBB63_53:
	s_cmp_gt_i32 s15, 22
	s_mov_b64 s[12:13], -1
	s_cbranch_scc0 .LBB63_66
; %bb.54:
	s_cmp_lt_i32 s15, 24
	s_mov_b64 s[10:11], -1
	s_cbranch_scc1 .LBB63_63
; %bb.55:
	s_cmp_gt_i32 s15, 24
	s_cbranch_scc0 .LBB63_60
; %bb.56:
	s_andn2_b64 vcc, exec, s[50:51]
	v_mov_b32_e32 v18, 0x80
	s_cbranch_vccnz .LBB63_59
; %bb.57:
	s_or_b64 s[10:11], s[0:1], s[52:53]
	s_andn2_b64 vcc, exec, s[10:11]
	v_mov_b32_e32 v18, 0
	s_cbranch_vccnz .LBB63_59
; %bb.58:
	v_mov_b32_e32 v18, s88
	v_cndmask_b32_e64 v18, v13, v18, s[0:1]
	v_or_b32_e32 v18, v18, v11
.LBB63_59:
	s_mov_b64 s[10:11], 0
	global_store_byte v[6:7], v18, off
.LBB63_60:
	s_and_b64 vcc, exec, s[10:11]
	s_cbranch_vccz .LBB63_62
; %bb.61:
	s_and_b64 s[10:11], s[48:49], exec
	s_cselect_b32 s12, s91, s89
	s_and_b64 s[10:11], s[46:47], exec
	s_cselect_b32 s10, s90, s12
	v_or_b32_e32 v18, s10, v11
	global_store_byte v[6:7], v18, off
.LBB63_62:
	s_mov_b64 s[10:11], 0
.LBB63_63:
	s_andn2_b64 vcc, exec, s[10:11]
	s_cbranch_vccnz .LBB63_65
; %bb.64:
	s_and_b64 s[10:11], s[44:45], exec
	s_cselect_b32 s12, s85, s93
	s_and_b64 s[10:11], s[42:43], exec
	s_cselect_b32 s10, s84, s12
	v_or_b32_e32 v18, s10, v11
	global_store_byte v[6:7], v18, off
.LBB63_65:
	s_mov_b64 s[12:13], 0
	s_mov_b64 s[10:11], -1
.LBB63_66:
	s_andn2_b64 vcc, exec, s[12:13]
	s_cbranch_vccnz .LBB63_74
; %bb.67:
	s_cmp_gt_i32 s15, 14
	s_mov_b64 s[12:13], -1
	s_cbranch_scc0 .LBB63_71
; %bb.68:
	s_cmp_eq_u32 s15, 15
	s_mov_b64 s[8:9], -1
	s_cbranch_scc0 .LBB63_70
; %bb.69:
	global_store_short v[6:7], v12, off
	s_mov_b64 s[10:11], -1
	s_mov_b64 s[8:9], 0
.LBB63_70:
	s_mov_b64 s[12:13], 0
.LBB63_71:
	s_and_b64 vcc, exec, s[12:13]
	s_cbranch_vccz .LBB63_74
; %bb.72:
	s_cmp_eq_u32 s15, 11
	s_mov_b64 s[8:9], -1
	s_cbranch_scc0 .LBB63_74
; %bb.73:
	s_mov_b64 s[10:11], -1
	s_mov_b64 s[8:9], 0
	global_store_byte v[6:7], v10, off
.LBB63_74:
	s_branch .LBB63_25
.LBB63_75:
	s_and_b32 s12, 0xffff, s14
	s_cmp_lt_i32 s12, 5
	s_mov_b64 s[10:11], -1
	s_cbranch_scc1 .LBB63_96
; %bb.76:
	s_cmp_lt_i32 s12, 8
	s_cbranch_scc1 .LBB63_86
; %bb.77:
	s_cmp_lt_i32 s12, 9
	s_cbranch_scc1 .LBB63_83
; %bb.78:
	s_cmp_gt_i32 s12, 9
	s_cbranch_scc0 .LBB63_80
; %bb.79:
	v_mov_b32_e32 v18, s18
	v_mov_b32_e32 v19, s19
	;; [unrolled: 1-line block ×4, first 2 shown]
	global_store_dwordx4 v[6:7], v[18:21], off
	s_mov_b64 s[10:11], 0
.LBB63_80:
	s_andn2_b64 vcc, exec, s[10:11]
	s_cbranch_vccnz .LBB63_82
; %bb.81:
	global_store_dwordx2 v[6:7], v[2:3], off
.LBB63_82:
	s_mov_b64 s[10:11], 0
.LBB63_83:
	s_andn2_b64 vcc, exec, s[10:11]
	s_cbranch_vccnz .LBB63_85
; %bb.84:
	v_mov_b32_e32 v18, s25
	global_store_dword v[6:7], v18, off
.LBB63_85:
	s_mov_b64 s[10:11], 0
.LBB63_86:
	s_andn2_b64 vcc, exec, s[10:11]
	s_cbranch_vccnz .LBB63_95
; %bb.87:
	s_cmp_lt_i32 s12, 6
	s_mov_b64 s[10:11], -1
	s_cbranch_scc1 .LBB63_93
; %bb.88:
	s_cmp_gt_i32 s12, 6
	s_cbranch_scc0 .LBB63_90
; %bb.89:
	v_mov_b32_e32 v18, s18
	v_mov_b32_e32 v19, s19
	global_store_dwordx2 v[6:7], v[18:19], off
	s_mov_b64 s[10:11], 0
.LBB63_90:
	s_andn2_b64 vcc, exec, s[10:11]
	s_cbranch_vccnz .LBB63_92
; %bb.91:
	global_store_dword v[6:7], v2, off
.LBB63_92:
	s_mov_b64 s[10:11], 0
.LBB63_93:
	s_andn2_b64 vcc, exec, s[10:11]
	s_cbranch_vccnz .LBB63_95
; %bb.94:
	v_mov_b32_e32 v18, s83
	global_store_short v[6:7], v18, off
.LBB63_95:
	s_mov_b64 s[10:11], 0
.LBB63_96:
	s_andn2_b64 vcc, exec, s[10:11]
	s_cbranch_vccnz .LBB63_112
; %bb.97:
	s_cmp_lt_i32 s12, 2
	s_mov_b64 s[10:11], -1
	s_cbranch_scc1 .LBB63_107
; %bb.98:
	s_cmp_lt_i32 s12, 3
	s_cbranch_scc1 .LBB63_104
; %bb.99:
	s_cmp_gt_i32 s12, 3
	s_cbranch_scc0 .LBB63_101
; %bb.100:
	global_store_dwordx2 v[6:7], v[4:5], off
	s_mov_b64 s[10:11], 0
.LBB63_101:
	s_andn2_b64 vcc, exec, s[10:11]
	s_cbranch_vccnz .LBB63_103
; %bb.102:
	global_store_dword v[6:7], v9, off
.LBB63_103:
	s_mov_b64 s[10:11], 0
.LBB63_104:
	s_andn2_b64 vcc, exec, s[10:11]
	s_cbranch_vccnz .LBB63_106
; %bb.105:
	global_store_short v[6:7], v9, off
.LBB63_106:
	s_mov_b64 s[10:11], 0
.LBB63_107:
	s_andn2_b64 vcc, exec, s[10:11]
	s_cbranch_vccnz .LBB63_112
; %bb.108:
	s_cmp_gt_i32 s12, 0
	s_mov_b64 s[10:11], -1
	s_cbranch_scc0 .LBB63_110
; %bb.109:
	global_store_byte v[6:7], v9, off
	s_mov_b64 s[10:11], 0
.LBB63_110:
	s_andn2_b64 vcc, exec, s[10:11]
	s_cbranch_vccnz .LBB63_112
; %bb.111:
	global_store_byte v[6:7], v0, off
.LBB63_112:
	s_branch .LBB63_26
.LBB63_113:
	s_mov_b64 s[10:11], 0
                                        ; implicit-def: $vgpr8
.LBB63_114:
	s_and_b64 s[68:69], s[8:9], exec
	s_orn2_b64 s[10:11], s[10:11], exec
.LBB63_115:
	s_or_b64 exec, exec, s[70:71]
	s_mov_b64 s[8:9], 0
                                        ; implicit-def: $sgpr24
                                        ; implicit-def: $vgpr6_vgpr7
	s_and_saveexec_b64 s[70:71], s[10:11]
	s_cbranch_execz .LBB63_123
; %bb.116:
	v_cmp_gt_i32_e32 vcc, s94, v8
	s_mov_b64 s[8:9], -1
	s_mov_b64 s[72:73], s[68:69]
	s_and_saveexec_b64 s[74:75], vcc
	s_cbranch_execz .LBB63_234
; %bb.117:
	s_andn2_b64 vcc, exec, s[36:37]
	s_cbranch_vccnz .LBB63_126
; %bb.118:
	s_andn2_b64 vcc, exec, s[66:67]
	s_cbranch_vccnz .LBB63_127
; %bb.119:
	s_add_i32 s64, s95, 1
	s_cmp_eq_u32 s82, 2
	s_cbranch_scc1 .LBB63_128
; %bb.120:
	s_mov_b32 s3, s26
	s_mov_b32 s2, s25
	s_and_b32 s78, s64, 28
	s_mov_b32 s65, 0
	v_mov_b32_e32 v6, 0
	s_mov_b64 s[72:73], s[34:35]
	s_mov_b64 s[76:77], s[62:63]
	v_mov_b32_e32 v7, v8
.LBB63_121:                             ; =>This Inner Loop Header: Depth=1
	s_load_dwordx8 s[8:15], s[72:73], 0x4
	s_load_dwordx4 s[24:27], s[72:73], 0x24
	s_load_dwordx4 s[28:31], s[76:77], 0x0
	s_add_u32 s72, s72, 48
	s_addc_u32 s73, s73, 0
	s_waitcnt lgkmcnt(0)
	v_mul_hi_u32 v18, s9, v7
	s_add_i32 s65, s65, 4
	s_add_u32 s76, s76, 16
	s_addc_u32 s77, s77, 0
	v_add_u32_e32 v18, v7, v18
	v_lshrrev_b32_e32 v18, s10, v18
	v_mul_lo_u32 v19, v18, s8
	v_mul_hi_u32 v20, s12, v18
	s_cmp_eq_u32 s78, s65
	v_sub_u32_e32 v7, v7, v19
	v_add_u32_e32 v19, v18, v20
	v_lshrrev_b32_e32 v19, s13, v19
	v_mul_lo_u32 v20, v7, s28
	v_mul_hi_u32 v7, s15, v19
	v_mul_lo_u32 v22, v19, s11
	v_add_u32_e32 v7, v19, v7
	v_lshrrev_b32_e32 v21, s24, v7
	v_mul_hi_u32 v7, s26, v21
	v_sub_u32_e32 v18, v18, v22
	v_mul_lo_u32 v22, v21, s14
	v_mul_lo_u32 v18, v18, s29
	v_add_u32_e32 v7, v21, v7
	v_lshrrev_b32_e32 v7, s27, v7
	v_mul_lo_u32 v23, v7, s25
	v_sub_u32_e32 v19, v19, v22
	v_mul_lo_u32 v19, v19, s30
	v_add3_u32 v6, v20, v6, v18
	v_sub_u32_e32 v21, v21, v23
	v_mul_lo_u32 v21, v21, s31
	v_add3_u32 v6, v19, v6, v21
	s_cbranch_scc0 .LBB63_121
; %bb.122:
	s_mov_b32 s25, s2
	s_mov_b32 s26, s3
	s_branch .LBB63_129
.LBB63_123:
	s_or_b64 exec, exec, s[70:71]
	s_mov_b64 s[0:1], 0
	s_and_saveexec_b64 s[2:3], s[68:69]
	s_cbranch_execnz .LBB63_426
.LBB63_124:
	s_or_b64 exec, exec, s[2:3]
	s_and_saveexec_b64 s[2:3], s[74:75]
	s_xor_b64 s[2:3], exec, s[2:3]
	s_cbranch_execz .LBB63_427
.LBB63_125:
	global_store_byte v[6:7], v10, off
	s_or_b64 exec, exec, s[2:3]
	s_and_saveexec_b64 s[2:3], s[8:9]
	s_xor_b64 s[2:3], exec, s[2:3]
	s_cbranch_execz .LBB63_465
	s_branch .LBB63_428
.LBB63_126:
                                        ; implicit-def: $vgpr6
	s_andn2_b64 vcc, exec, s[8:9]
	s_cbranch_vccz .LBB63_133
	s_branch .LBB63_135
.LBB63_127:
	v_mov_b32_e32 v6, 0
	s_branch .LBB63_132
.LBB63_128:
	v_mov_b32_e32 v6, 0
	s_mov_b32 s78, 0
	v_mov_b32_e32 v7, v8
.LBB63_129:
	s_and_b32 s12, s64, 3
	s_cmp_eq_u32 s12, 0
	s_cbranch_scc1 .LBB63_132
; %bb.130:
	s_lshl_b32 s8, s78, 2
	s_add_u32 s8, s34, s8
	s_addc_u32 s9, s35, 0
	s_add_u32 s8, s8, 0xc4
	s_addc_u32 s9, s9, 0
	s_mul_i32 s10, s78, 12
	s_add_u32 s10, s34, s10
	s_addc_u32 s11, s35, 0
.LBB63_131:                             ; =>This Inner Loop Header: Depth=1
	s_load_dwordx2 s[14:15], s[10:11], 0x4
	s_load_dword s13, s[10:11], 0xc
	s_add_u32 s10, s10, 12
	s_addc_u32 s11, s11, 0
	s_waitcnt lgkmcnt(0)
	v_mul_hi_u32 v18, s15, v7
	s_load_dword s15, s[8:9], 0x0
	s_add_u32 s8, s8, 4
	s_addc_u32 s9, s9, 0
	v_add_u32_e32 v18, v7, v18
	v_lshrrev_b32_e32 v18, s13, v18
	v_mul_lo_u32 v19, v18, s14
	s_add_i32 s12, s12, -1
	s_cmp_lg_u32 s12, 0
	v_sub_u32_e32 v7, v7, v19
	s_waitcnt lgkmcnt(0)
	v_mad_u64_u32 v[6:7], s[14:15], v7, s15, v[6:7]
	v_mov_b32_e32 v7, v18
	s_cbranch_scc1 .LBB63_131
.LBB63_132:
	s_cbranch_execnz .LBB63_135
.LBB63_133:
	v_mul_hi_u32 v6, s21, v8
	s_andn2_b64 vcc, exec, s[60:61]
	v_add_u32_e32 v6, v8, v6
	v_lshrrev_b32_e32 v7, s22, v6
	v_mul_lo_u32 v6, v7, s20
	v_sub_u32_e32 v6, v8, v6
	v_mul_lo_u32 v6, v6, s58
	s_cbranch_vccnz .LBB63_135
; %bb.134:
	v_mul_hi_u32 v18, s80, v7
	v_add_u32_e32 v18, v7, v18
	v_lshrrev_b32_e32 v18, s81, v18
	v_mul_lo_u32 v18, v18, s23
	v_sub_u32_e32 v7, v7, v18
	v_mad_u64_u32 v[6:7], s[8:9], v7, s59, v[6:7]
.LBB63_135:
	v_mov_b32_e32 v7, s17
	s_and_b32 s14, s26, 0xff
	v_add_co_u32_e32 v6, vcc, s16, v6
	s_cmp_lt_i32 s14, 11
	v_addc_co_u32_e32 v7, vcc, 0, v7, vcc
	s_cbranch_scc1 .LBB63_142
; %bb.136:
	s_and_b32 s15, 0xffff, s14
	s_cmp_gt_i32 s15, 25
	s_cbranch_scc0 .LBB63_145
; %bb.137:
	s_cmp_gt_i32 s15, 28
	s_cbranch_scc0 .LBB63_146
; %bb.138:
	;; [unrolled: 3-line block ×4, first 2 shown]
	s_mov_b64 s[12:13], 0
	s_mov_b64 s[8:9], -1
	s_cmp_eq_u32 s15, 46
	s_mov_b64 s[10:11], 0
	s_cbranch_scc0 .LBB63_149
; %bb.141:
	global_store_dword v[6:7], v17, off
	s_mov_b64 s[10:11], -1
	s_mov_b64 s[8:9], 0
	s_branch .LBB63_149
.LBB63_142:
	s_mov_b64 s[10:11], 0
	s_mov_b64 s[8:9], s[68:69]
	s_cbranch_execnz .LBB63_194
.LBB63_143:
	s_andn2_b64 vcc, exec, s[10:11]
	s_cbranch_vccnz .LBB63_232
.LBB63_144:
	v_add_u32_e32 v8, 0x80, v8
	s_mov_b64 s[10:11], -1
	s_branch .LBB63_233
.LBB63_145:
	s_mov_b64 s[12:13], -1
	s_mov_b64 s[10:11], 0
	s_mov_b64 s[8:9], s[68:69]
	s_branch .LBB63_171
.LBB63_146:
	s_mov_b64 s[12:13], -1
	s_mov_b64 s[10:11], 0
	s_mov_b64 s[8:9], s[68:69]
	s_branch .LBB63_157
.LBB63_147:
	s_mov_b64 s[12:13], -1
	s_mov_b64 s[10:11], 0
	s_mov_b64 s[8:9], s[68:69]
	s_branch .LBB63_153
.LBB63_148:
	s_mov_b64 s[12:13], -1
	s_mov_b64 s[10:11], 0
	s_mov_b64 s[8:9], s[68:69]
.LBB63_149:
	s_and_b64 vcc, exec, s[12:13]
	s_cbranch_vccz .LBB63_152
; %bb.150:
	s_cmp_eq_u32 s15, 44
	s_mov_b64 s[8:9], -1
	s_cbranch_scc0 .LBB63_152
; %bb.151:
	v_mov_b32_e32 v18, 0xffff
	v_cndmask_b32_e64 v18, v16, v18, s[4:5]
	s_mov_b64 s[10:11], -1
	s_mov_b64 s[8:9], 0
	global_store_byte v[6:7], v18, off
.LBB63_152:
	s_mov_b64 s[12:13], 0
.LBB63_153:
	s_and_b64 vcc, exec, s[12:13]
	s_cbranch_vccz .LBB63_156
; %bb.154:
	s_cmp_eq_u32 s15, 29
	s_mov_b64 s[8:9], -1
	s_cbranch_scc0 .LBB63_156
; %bb.155:
	global_store_dwordx2 v[6:7], v[0:1], off
	s_mov_b64 s[10:11], -1
	s_mov_b64 s[8:9], 0
.LBB63_156:
	s_mov_b64 s[12:13], 0
.LBB63_157:
	s_and_b64 vcc, exec, s[12:13]
	s_cbranch_vccz .LBB63_170
; %bb.158:
	s_cmp_lt_i32 s15, 27
	s_mov_b64 s[10:11], -1
	s_cbranch_scc1 .LBB63_164
; %bb.159:
	s_cmp_gt_i32 s15, 27
	s_cbranch_scc0 .LBB63_161
; %bb.160:
	s_mov_b64 s[10:11], 0
	global_store_dword v[6:7], v14, off
.LBB63_161:
	s_andn2_b64 vcc, exec, s[10:11]
	s_cbranch_vccnz .LBB63_163
; %bb.162:
	global_store_short v[6:7], v14, off
.LBB63_163:
	s_mov_b64 s[10:11], 0
.LBB63_164:
	s_andn2_b64 vcc, exec, s[10:11]
	s_cbranch_vccnz .LBB63_169
; %bb.165:
	s_andn2_b64 vcc, exec, s[54:55]
	v_mov_b32_e32 v18, 0x80
	s_cbranch_vccnz .LBB63_168
; %bb.166:
	s_or_b64 s[10:11], s[86:87], s[56:57]
	s_andn2_b64 vcc, exec, s[10:11]
	v_mov_b32_e32 v18, 0
	s_cbranch_vccnz .LBB63_168
; %bb.167:
	v_mov_b32_e32 v18, s92
	v_cndmask_b32_e64 v18, v15, v18, s[86:87]
	v_or_b32_e32 v18, v18, v11
.LBB63_168:
	global_store_byte v[6:7], v18, off
.LBB63_169:
	s_mov_b64 s[10:11], -1
.LBB63_170:
	s_mov_b64 s[12:13], 0
.LBB63_171:
	s_and_b64 vcc, exec, s[12:13]
	s_cbranch_vccz .LBB63_193
; %bb.172:
	s_cmp_gt_i32 s15, 22
	s_mov_b64 s[12:13], -1
	s_cbranch_scc0 .LBB63_185
; %bb.173:
	s_cmp_lt_i32 s15, 24
	s_mov_b64 s[10:11], -1
	s_cbranch_scc1 .LBB63_182
; %bb.174:
	s_cmp_gt_i32 s15, 24
	s_cbranch_scc0 .LBB63_179
; %bb.175:
	s_andn2_b64 vcc, exec, s[50:51]
	v_mov_b32_e32 v18, 0x80
	s_cbranch_vccnz .LBB63_178
; %bb.176:
	s_or_b64 s[10:11], s[0:1], s[52:53]
	s_andn2_b64 vcc, exec, s[10:11]
	v_mov_b32_e32 v18, 0
	s_cbranch_vccnz .LBB63_178
; %bb.177:
	v_mov_b32_e32 v18, s88
	v_cndmask_b32_e64 v18, v13, v18, s[0:1]
	v_or_b32_e32 v18, v18, v11
.LBB63_178:
	s_mov_b64 s[10:11], 0
	global_store_byte v[6:7], v18, off
.LBB63_179:
	s_and_b64 vcc, exec, s[10:11]
	s_cbranch_vccz .LBB63_181
; %bb.180:
	s_and_b64 s[10:11], s[48:49], exec
	s_cselect_b32 s12, s91, s89
	s_and_b64 s[10:11], s[46:47], exec
	s_cselect_b32 s10, s90, s12
	v_or_b32_e32 v18, s10, v11
	global_store_byte v[6:7], v18, off
.LBB63_181:
	s_mov_b64 s[10:11], 0
.LBB63_182:
	s_andn2_b64 vcc, exec, s[10:11]
	s_cbranch_vccnz .LBB63_184
; %bb.183:
	s_and_b64 s[10:11], s[44:45], exec
	s_cselect_b32 s12, s85, s93
	s_and_b64 s[10:11], s[42:43], exec
	s_cselect_b32 s10, s84, s12
	v_or_b32_e32 v18, s10, v11
	global_store_byte v[6:7], v18, off
.LBB63_184:
	s_mov_b64 s[12:13], 0
	s_mov_b64 s[10:11], -1
.LBB63_185:
	s_andn2_b64 vcc, exec, s[12:13]
	s_cbranch_vccnz .LBB63_193
; %bb.186:
	s_cmp_gt_i32 s15, 14
	s_mov_b64 s[12:13], -1
	s_cbranch_scc0 .LBB63_190
; %bb.187:
	s_cmp_eq_u32 s15, 15
	s_mov_b64 s[8:9], -1
	s_cbranch_scc0 .LBB63_189
; %bb.188:
	global_store_short v[6:7], v12, off
	s_mov_b64 s[10:11], -1
	s_mov_b64 s[8:9], 0
.LBB63_189:
	s_mov_b64 s[12:13], 0
.LBB63_190:
	s_and_b64 vcc, exec, s[12:13]
	s_cbranch_vccz .LBB63_193
; %bb.191:
	s_cmp_eq_u32 s15, 11
	s_mov_b64 s[8:9], -1
	s_cbranch_scc0 .LBB63_193
; %bb.192:
	s_mov_b64 s[10:11], -1
	s_mov_b64 s[8:9], 0
	global_store_byte v[6:7], v10, off
.LBB63_193:
	s_branch .LBB63_143
.LBB63_194:
	s_and_b32 s12, 0xffff, s14
	s_cmp_lt_i32 s12, 5
	s_mov_b64 s[10:11], -1
	s_cbranch_scc1 .LBB63_215
; %bb.195:
	s_cmp_lt_i32 s12, 8
	s_cbranch_scc1 .LBB63_205
; %bb.196:
	s_cmp_lt_i32 s12, 9
	s_cbranch_scc1 .LBB63_202
; %bb.197:
	s_cmp_gt_i32 s12, 9
	s_cbranch_scc0 .LBB63_199
; %bb.198:
	v_mov_b32_e32 v18, s18
	v_mov_b32_e32 v19, s19
	;; [unrolled: 1-line block ×4, first 2 shown]
	s_mov_b64 s[10:11], 0
	global_store_dwordx4 v[6:7], v[18:21], off
.LBB63_199:
	s_andn2_b64 vcc, exec, s[10:11]
	s_cbranch_vccnz .LBB63_201
; %bb.200:
	global_store_dwordx2 v[6:7], v[2:3], off
.LBB63_201:
	s_mov_b64 s[10:11], 0
.LBB63_202:
	s_andn2_b64 vcc, exec, s[10:11]
	s_cbranch_vccnz .LBB63_204
; %bb.203:
	v_mov_b32_e32 v18, s25
	global_store_dword v[6:7], v18, off
.LBB63_204:
	s_mov_b64 s[10:11], 0
.LBB63_205:
	s_andn2_b64 vcc, exec, s[10:11]
	s_cbranch_vccnz .LBB63_214
; %bb.206:
	s_cmp_lt_i32 s12, 6
	s_mov_b64 s[10:11], -1
	s_cbranch_scc1 .LBB63_212
; %bb.207:
	s_cmp_gt_i32 s12, 6
	s_cbranch_scc0 .LBB63_209
; %bb.208:
	v_mov_b32_e32 v18, s18
	v_mov_b32_e32 v19, s19
	s_mov_b64 s[10:11], 0
	global_store_dwordx2 v[6:7], v[18:19], off
.LBB63_209:
	s_andn2_b64 vcc, exec, s[10:11]
	s_cbranch_vccnz .LBB63_211
; %bb.210:
	global_store_dword v[6:7], v2, off
.LBB63_211:
	s_mov_b64 s[10:11], 0
.LBB63_212:
	s_andn2_b64 vcc, exec, s[10:11]
	s_cbranch_vccnz .LBB63_214
; %bb.213:
	v_mov_b32_e32 v18, s83
	global_store_short v[6:7], v18, off
.LBB63_214:
	s_mov_b64 s[10:11], 0
.LBB63_215:
	s_andn2_b64 vcc, exec, s[10:11]
	s_cbranch_vccnz .LBB63_231
; %bb.216:
	s_cmp_lt_i32 s12, 2
	s_mov_b64 s[10:11], -1
	s_cbranch_scc1 .LBB63_226
; %bb.217:
	s_cmp_lt_i32 s12, 3
	s_cbranch_scc1 .LBB63_223
; %bb.218:
	s_cmp_gt_i32 s12, 3
	s_cbranch_scc0 .LBB63_220
; %bb.219:
	s_mov_b64 s[10:11], 0
	global_store_dwordx2 v[6:7], v[4:5], off
.LBB63_220:
	s_andn2_b64 vcc, exec, s[10:11]
	s_cbranch_vccnz .LBB63_222
; %bb.221:
	global_store_dword v[6:7], v9, off
.LBB63_222:
	s_mov_b64 s[10:11], 0
.LBB63_223:
	s_andn2_b64 vcc, exec, s[10:11]
	s_cbranch_vccnz .LBB63_225
; %bb.224:
	global_store_short v[6:7], v9, off
.LBB63_225:
	s_mov_b64 s[10:11], 0
.LBB63_226:
	s_andn2_b64 vcc, exec, s[10:11]
	s_cbranch_vccnz .LBB63_231
; %bb.227:
	s_cmp_gt_i32 s12, 0
	s_mov_b64 s[10:11], -1
	s_cbranch_scc0 .LBB63_229
; %bb.228:
	s_mov_b64 s[10:11], 0
	global_store_byte v[6:7], v9, off
.LBB63_229:
	s_andn2_b64 vcc, exec, s[10:11]
	s_cbranch_vccnz .LBB63_231
; %bb.230:
	global_store_byte v[6:7], v0, off
.LBB63_231:
	s_branch .LBB63_144
.LBB63_232:
	s_mov_b64 s[10:11], 0
                                        ; implicit-def: $vgpr8
.LBB63_233:
	s_andn2_b64 s[12:13], s[68:69], exec
	s_and_b64 s[8:9], s[8:9], exec
	s_or_b64 s[72:73], s[12:13], s[8:9]
	s_orn2_b64 s[8:9], s[10:11], exec
.LBB63_234:
	s_or_b64 exec, exec, s[74:75]
	s_mov_b64 s[10:11], 0
	s_mov_b64 s[12:13], 0
                                        ; implicit-def: $sgpr24
                                        ; implicit-def: $vgpr6_vgpr7
	s_and_saveexec_b64 s[74:75], s[8:9]
	s_cbranch_execz .LBB63_425
; %bb.235:
	v_cmp_gt_i32_e32 vcc, s94, v8
	s_mov_b64 s[10:11], -1
	s_mov_b64 s[78:79], s[72:73]
	s_and_saveexec_b64 s[76:77], vcc
	s_cbranch_execz .LBB63_352
; %bb.236:
	s_andn2_b64 vcc, exec, s[36:37]
	s_cbranch_vccnz .LBB63_242
; %bb.237:
	s_andn2_b64 vcc, exec, s[66:67]
	s_cbranch_vccnz .LBB63_243
; %bb.238:
	s_add_i32 s65, s95, 1
	s_cmp_eq_u32 s82, 2
	s_cbranch_scc1 .LBB63_244
; %bb.239:
                                        ; implicit-def: $vgpr24 : SGPR spill to VGPR lane
	s_mov_b32 s3, s25
	v_writelane_b32 v24, s84, 0
	v_writelane_b32 v24, s54, 1
	s_mov_b32 s84, s26
	v_writelane_b32 v24, s55, 2
	s_mov_b64 s[54:55], s[86:87]
	s_mov_b32 s2, s85
	s_mov_b32 s85, s93
	s_mov_b64 s[86:87], s[4:5]
	s_mov_b64 s[4:5], s[44:45]
	;; [unrolled: 1-line block ×4, first 2 shown]
	s_mov_b32 s42, s92
	s_mov_b32 vcc_hi, s91
	s_mov_b64 s[92:93], s[50:51]
	s_mov_b32 s50, s90
	s_mov_b32 s91, s89
	;; [unrolled: 1-line block ×3, first 2 shown]
	s_mov_b64 s[88:89], s[48:49]
	s_mov_b64 s[48:49], s[46:47]
	;; [unrolled: 1-line block ×6, first 2 shown]
	s_and_b32 s64, s65, 28
	s_mov_b32 vcc_lo, 0
	v_mov_b32_e32 v6, 0
	s_mov_b64 s[78:79], s[34:35]
	s_mov_b64 s[80:81], s[62:63]
	v_mov_b32_e32 v7, v8
.LBB63_240:                             ; =>This Inner Loop Header: Depth=1
	s_load_dwordx8 s[8:15], s[78:79], 0x4
	s_load_dwordx4 s[24:27], s[78:79], 0x24
	s_load_dwordx4 s[28:31], s[80:81], 0x0
	s_add_u32 s78, s78, 48
	s_addc_u32 s79, s79, 0
	s_waitcnt lgkmcnt(0)
	v_mul_hi_u32 v18, s9, v7
	s_add_i32 vcc_lo, vcc_lo, 4
	s_add_u32 s80, s80, 16
	s_addc_u32 s81, s81, 0
	v_add_u32_e32 v18, v7, v18
	v_lshrrev_b32_e32 v18, s10, v18
	v_mul_lo_u32 v19, v18, s8
	v_mul_hi_u32 v20, s12, v18
	s_cmp_eq_u32 s64, vcc_lo
	v_sub_u32_e32 v7, v7, v19
	v_add_u32_e32 v19, v18, v20
	v_lshrrev_b32_e32 v19, s13, v19
	v_mul_lo_u32 v20, v7, s28
	v_mul_hi_u32 v7, s15, v19
	v_mul_lo_u32 v22, v19, s11
	v_add_u32_e32 v7, v19, v7
	v_lshrrev_b32_e32 v21, s24, v7
	v_mul_hi_u32 v7, s26, v21
	v_sub_u32_e32 v18, v18, v22
	v_mul_lo_u32 v22, v21, s14
	v_mul_lo_u32 v18, v18, s29
	v_add_u32_e32 v7, v21, v7
	v_lshrrev_b32_e32 v7, s27, v7
	v_mul_lo_u32 v23, v7, s25
	v_sub_u32_e32 v19, v19, v22
	v_mul_lo_u32 v19, v19, s30
	v_add3_u32 v6, v20, v6, v18
	v_sub_u32_e32 v21, v21, v23
	v_mul_lo_u32 v21, v21, s31
	v_add3_u32 v6, v19, v6, v21
	s_cbranch_scc0 .LBB63_240
; %bb.241:
	s_mov_b64 s[80:81], s[58:59]
	s_mov_b64 s[58:59], s[52:53]
	;; [unrolled: 1-line block ×6, first 2 shown]
	s_mov_b32 s88, s90
	s_mov_b32 s90, s50
	s_mov_b64 s[50:51], s[92:93]
	s_mov_b32 s92, s42
	s_mov_b64 s[42:43], s[56:57]
	s_mov_b64 s[56:57], s[44:45]
	;; [unrolled: 1-line block ×5, first 2 shown]
	v_readlane_b32 s54, v24, 1
	s_mov_b32 s89, s91
	s_mov_b32 s91, vcc_hi
	s_mov_b32 s93, s85
	s_mov_b32 s85, s2
	v_readlane_b32 s55, v24, 2
	s_mov_b32 s25, s3
	s_mov_b32 s26, s84
	v_readlane_b32 s84, v24, 0
	s_branch .LBB63_245
.LBB63_242:
	s_mov_b64 s[8:9], -1
                                        ; implicit-def: $vgpr6
	s_branch .LBB63_249
.LBB63_243:
	v_mov_b32_e32 v6, 0
	s_branch .LBB63_248
.LBB63_244:
	v_mov_b32_e32 v6, 0
	s_mov_b32 s64, 0
	v_mov_b32_e32 v7, v8
.LBB63_245:
	s_and_b32 s12, s65, 3
	s_cmp_eq_u32 s12, 0
	s_cbranch_scc1 .LBB63_248
; %bb.246:
	s_lshl_b32 s8, s64, 2
	s_add_u32 s8, s34, s8
	s_addc_u32 s9, s35, 0
	s_add_u32 s8, s8, 0xc4
	s_addc_u32 s9, s9, 0
	s_mul_i32 s10, s64, 12
	s_add_u32 s10, s34, s10
	s_addc_u32 s11, s35, 0
.LBB63_247:                             ; =>This Inner Loop Header: Depth=1
	s_load_dwordx2 s[14:15], s[10:11], 0x4
	s_load_dword s13, s[10:11], 0xc
	s_add_u32 s10, s10, 12
	s_addc_u32 s11, s11, 0
	s_waitcnt lgkmcnt(0)
	v_mul_hi_u32 v18, s15, v7
	s_load_dword s15, s[8:9], 0x0
	s_add_u32 s8, s8, 4
	s_addc_u32 s9, s9, 0
	v_add_u32_e32 v18, v7, v18
	v_lshrrev_b32_e32 v18, s13, v18
	v_mul_lo_u32 v19, v18, s14
	s_add_i32 s12, s12, -1
	s_cmp_lg_u32 s12, 0
	v_sub_u32_e32 v7, v7, v19
	s_waitcnt lgkmcnt(0)
	v_mad_u64_u32 v[6:7], s[14:15], v7, s15, v[6:7]
	v_mov_b32_e32 v7, v18
	s_cbranch_scc1 .LBB63_247
.LBB63_248:
	s_mov_b64 s[8:9], 0
.LBB63_249:
	s_andn2_b64 vcc, exec, s[8:9]
	s_cbranch_vccnz .LBB63_252
; %bb.250:
	v_mul_hi_u32 v6, s21, v8
	s_andn2_b64 vcc, exec, s[60:61]
	v_add_u32_e32 v6, v8, v6
	v_lshrrev_b32_e32 v7, s22, v6
	v_mul_lo_u32 v6, v7, s20
	v_sub_u32_e32 v6, v8, v6
	v_mul_lo_u32 v6, v6, s58
	s_cbranch_vccnz .LBB63_252
; %bb.251:
	v_mul_hi_u32 v18, s80, v7
	v_add_u32_e32 v18, v7, v18
	v_lshrrev_b32_e32 v18, s81, v18
	v_mul_lo_u32 v18, v18, s23
	v_sub_u32_e32 v7, v7, v18
	v_mad_u64_u32 v[6:7], s[8:9], v7, s59, v[6:7]
.LBB63_252:
	v_mov_b32_e32 v7, s17
	s_and_b32 s14, s26, 0xff
	v_add_co_u32_e32 v6, vcc, s16, v6
	s_cmp_lt_i32 s14, 11
	v_addc_co_u32_e32 v7, vcc, 0, v7, vcc
	s_cbranch_scc1 .LBB63_259
; %bb.253:
	s_and_b32 s15, 0xffff, s14
	s_cmp_gt_i32 s15, 25
	s_cbranch_scc0 .LBB63_260
; %bb.254:
	s_cmp_gt_i32 s15, 28
	s_cbranch_scc0 .LBB63_261
; %bb.255:
	;; [unrolled: 3-line block ×4, first 2 shown]
	s_mov_b64 s[12:13], 0
	s_mov_b64 s[8:9], -1
	s_cmp_eq_u32 s15, 46
	s_mov_b64 s[10:11], 0
	s_cbranch_scc0 .LBB63_264
; %bb.258:
	global_store_dword v[6:7], v17, off
	s_mov_b64 s[10:11], -1
	s_mov_b64 s[8:9], 0
	s_branch .LBB63_264
.LBB63_259:
	s_mov_b64 s[12:13], -1
	s_mov_b64 s[10:11], 0
	s_mov_b64 s[8:9], s[72:73]
	s_branch .LBB63_309
.LBB63_260:
	s_mov_b64 s[12:13], -1
	s_mov_b64 s[10:11], 0
	s_mov_b64 s[8:9], s[72:73]
	s_branch .LBB63_286
.LBB63_261:
	s_mov_b64 s[12:13], -1
	s_mov_b64 s[10:11], 0
	s_mov_b64 s[8:9], s[72:73]
	s_branch .LBB63_272
.LBB63_262:
	s_mov_b64 s[12:13], -1
	s_mov_b64 s[10:11], 0
	s_mov_b64 s[8:9], s[72:73]
	s_branch .LBB63_268
.LBB63_263:
	s_mov_b64 s[12:13], -1
	s_mov_b64 s[10:11], 0
	s_mov_b64 s[8:9], s[72:73]
.LBB63_264:
	s_and_b64 vcc, exec, s[12:13]
	s_cbranch_vccz .LBB63_267
; %bb.265:
	s_cmp_eq_u32 s15, 44
	s_mov_b64 s[8:9], -1
	s_cbranch_scc0 .LBB63_267
; %bb.266:
	v_mov_b32_e32 v18, 0xffff
	v_cndmask_b32_e64 v18, v16, v18, s[4:5]
	s_mov_b64 s[10:11], -1
	s_mov_b64 s[8:9], 0
	global_store_byte v[6:7], v18, off
.LBB63_267:
	s_mov_b64 s[12:13], 0
.LBB63_268:
	s_and_b64 vcc, exec, s[12:13]
	s_cbranch_vccz .LBB63_271
; %bb.269:
	s_cmp_eq_u32 s15, 29
	s_mov_b64 s[8:9], -1
	s_cbranch_scc0 .LBB63_271
; %bb.270:
	global_store_dwordx2 v[6:7], v[0:1], off
	s_mov_b64 s[10:11], -1
	s_mov_b64 s[8:9], 0
.LBB63_271:
	s_mov_b64 s[12:13], 0
.LBB63_272:
	s_and_b64 vcc, exec, s[12:13]
	s_cbranch_vccz .LBB63_285
; %bb.273:
	s_cmp_lt_i32 s15, 27
	s_mov_b64 s[10:11], -1
	s_cbranch_scc1 .LBB63_279
; %bb.274:
	s_cmp_gt_i32 s15, 27
	s_cbranch_scc0 .LBB63_276
; %bb.275:
	s_mov_b64 s[10:11], 0
	global_store_dword v[6:7], v14, off
.LBB63_276:
	s_andn2_b64 vcc, exec, s[10:11]
	s_cbranch_vccnz .LBB63_278
; %bb.277:
	global_store_short v[6:7], v14, off
.LBB63_278:
	s_mov_b64 s[10:11], 0
.LBB63_279:
	s_andn2_b64 vcc, exec, s[10:11]
	s_cbranch_vccnz .LBB63_284
; %bb.280:
	s_andn2_b64 vcc, exec, s[54:55]
	v_mov_b32_e32 v18, 0x80
	s_cbranch_vccnz .LBB63_283
; %bb.281:
	s_or_b64 s[10:11], s[86:87], s[56:57]
	s_andn2_b64 vcc, exec, s[10:11]
	v_mov_b32_e32 v18, 0
	s_cbranch_vccnz .LBB63_283
; %bb.282:
	v_mov_b32_e32 v18, s92
	v_cndmask_b32_e64 v18, v15, v18, s[86:87]
	v_or_b32_e32 v18, v18, v11
.LBB63_283:
	global_store_byte v[6:7], v18, off
.LBB63_284:
	s_mov_b64 s[10:11], -1
.LBB63_285:
	s_mov_b64 s[12:13], 0
.LBB63_286:
	s_and_b64 vcc, exec, s[12:13]
	s_cbranch_vccz .LBB63_308
; %bb.287:
	s_cmp_gt_i32 s15, 22
	s_mov_b64 s[12:13], -1
	s_cbranch_scc0 .LBB63_300
; %bb.288:
	s_cmp_lt_i32 s15, 24
	s_mov_b64 s[10:11], -1
	s_cbranch_scc1 .LBB63_297
; %bb.289:
	s_cmp_gt_i32 s15, 24
	s_cbranch_scc0 .LBB63_294
; %bb.290:
	s_andn2_b64 vcc, exec, s[50:51]
	v_mov_b32_e32 v18, 0x80
	s_cbranch_vccnz .LBB63_293
; %bb.291:
	s_or_b64 s[10:11], s[0:1], s[52:53]
	s_andn2_b64 vcc, exec, s[10:11]
	v_mov_b32_e32 v18, 0
	s_cbranch_vccnz .LBB63_293
; %bb.292:
	v_mov_b32_e32 v18, s88
	v_cndmask_b32_e64 v18, v13, v18, s[0:1]
	v_or_b32_e32 v18, v18, v11
.LBB63_293:
	s_mov_b64 s[10:11], 0
	global_store_byte v[6:7], v18, off
.LBB63_294:
	s_and_b64 vcc, exec, s[10:11]
	s_cbranch_vccz .LBB63_296
; %bb.295:
	s_and_b64 s[10:11], s[48:49], exec
	s_cselect_b32 s12, s91, s89
	s_and_b64 s[10:11], s[46:47], exec
	s_cselect_b32 s10, s90, s12
	v_or_b32_e32 v18, s10, v11
	global_store_byte v[6:7], v18, off
.LBB63_296:
	s_mov_b64 s[10:11], 0
.LBB63_297:
	s_andn2_b64 vcc, exec, s[10:11]
	s_cbranch_vccnz .LBB63_299
; %bb.298:
	s_and_b64 s[10:11], s[44:45], exec
	s_cselect_b32 s12, s85, s93
	s_and_b64 s[10:11], s[42:43], exec
	s_cselect_b32 s10, s84, s12
	v_or_b32_e32 v18, s10, v11
	global_store_byte v[6:7], v18, off
.LBB63_299:
	s_mov_b64 s[12:13], 0
	s_mov_b64 s[10:11], -1
.LBB63_300:
	s_andn2_b64 vcc, exec, s[12:13]
	s_cbranch_vccnz .LBB63_308
; %bb.301:
	s_cmp_gt_i32 s15, 14
	s_mov_b64 s[12:13], -1
	s_cbranch_scc0 .LBB63_305
; %bb.302:
	s_cmp_eq_u32 s15, 15
	s_mov_b64 s[8:9], -1
	s_cbranch_scc0 .LBB63_304
; %bb.303:
	global_store_short v[6:7], v12, off
	s_mov_b64 s[10:11], -1
	s_mov_b64 s[8:9], 0
.LBB63_304:
	s_mov_b64 s[12:13], 0
.LBB63_305:
	s_and_b64 vcc, exec, s[12:13]
	s_cbranch_vccz .LBB63_308
; %bb.306:
	s_cmp_eq_u32 s15, 11
	s_mov_b64 s[8:9], -1
	s_cbranch_scc0 .LBB63_308
; %bb.307:
	s_mov_b64 s[10:11], -1
	s_mov_b64 s[8:9], 0
	global_store_byte v[6:7], v10, off
.LBB63_308:
	s_mov_b64 s[12:13], 0
.LBB63_309:
	s_and_b64 vcc, exec, s[12:13]
	s_cbranch_vccz .LBB63_348
; %bb.310:
	s_and_b32 s12, 0xffff, s14
	s_cmp_lt_i32 s12, 5
	s_mov_b64 s[10:11], -1
	s_cbranch_scc1 .LBB63_331
; %bb.311:
	s_cmp_lt_i32 s12, 8
	s_cbranch_scc1 .LBB63_321
; %bb.312:
	s_cmp_lt_i32 s12, 9
	s_cbranch_scc1 .LBB63_318
; %bb.313:
	s_cmp_gt_i32 s12, 9
	s_cbranch_scc0 .LBB63_315
; %bb.314:
	v_mov_b32_e32 v18, s18
	v_mov_b32_e32 v19, s19
	;; [unrolled: 1-line block ×4, first 2 shown]
	s_mov_b64 s[10:11], 0
	global_store_dwordx4 v[6:7], v[18:21], off
.LBB63_315:
	s_andn2_b64 vcc, exec, s[10:11]
	s_cbranch_vccnz .LBB63_317
; %bb.316:
	global_store_dwordx2 v[6:7], v[2:3], off
.LBB63_317:
	s_mov_b64 s[10:11], 0
.LBB63_318:
	s_andn2_b64 vcc, exec, s[10:11]
	s_cbranch_vccnz .LBB63_320
; %bb.319:
	v_mov_b32_e32 v18, s25
	global_store_dword v[6:7], v18, off
.LBB63_320:
	s_mov_b64 s[10:11], 0
.LBB63_321:
	s_andn2_b64 vcc, exec, s[10:11]
	s_cbranch_vccnz .LBB63_330
; %bb.322:
	s_cmp_lt_i32 s12, 6
	s_mov_b64 s[10:11], -1
	s_cbranch_scc1 .LBB63_328
; %bb.323:
	s_cmp_gt_i32 s12, 6
	s_cbranch_scc0 .LBB63_325
; %bb.324:
	v_mov_b32_e32 v18, s18
	v_mov_b32_e32 v19, s19
	s_mov_b64 s[10:11], 0
	global_store_dwordx2 v[6:7], v[18:19], off
.LBB63_325:
	s_andn2_b64 vcc, exec, s[10:11]
	s_cbranch_vccnz .LBB63_327
; %bb.326:
	global_store_dword v[6:7], v2, off
.LBB63_327:
	s_mov_b64 s[10:11], 0
.LBB63_328:
	s_andn2_b64 vcc, exec, s[10:11]
	s_cbranch_vccnz .LBB63_330
; %bb.329:
	v_mov_b32_e32 v18, s83
	global_store_short v[6:7], v18, off
.LBB63_330:
	s_mov_b64 s[10:11], 0
.LBB63_331:
	s_andn2_b64 vcc, exec, s[10:11]
	s_cbranch_vccnz .LBB63_347
; %bb.332:
	s_cmp_lt_i32 s12, 2
	s_mov_b64 s[10:11], -1
	s_cbranch_scc1 .LBB63_342
; %bb.333:
	s_cmp_lt_i32 s12, 3
	s_cbranch_scc1 .LBB63_339
; %bb.334:
	s_cmp_gt_i32 s12, 3
	s_cbranch_scc0 .LBB63_336
; %bb.335:
	s_mov_b64 s[10:11], 0
	global_store_dwordx2 v[6:7], v[4:5], off
.LBB63_336:
	s_andn2_b64 vcc, exec, s[10:11]
	s_cbranch_vccnz .LBB63_338
; %bb.337:
	global_store_dword v[6:7], v9, off
.LBB63_338:
	s_mov_b64 s[10:11], 0
.LBB63_339:
	s_andn2_b64 vcc, exec, s[10:11]
	s_cbranch_vccnz .LBB63_341
; %bb.340:
	global_store_short v[6:7], v9, off
.LBB63_341:
	s_mov_b64 s[10:11], 0
.LBB63_342:
	s_andn2_b64 vcc, exec, s[10:11]
	s_cbranch_vccnz .LBB63_347
; %bb.343:
	s_cmp_gt_i32 s12, 0
	s_mov_b64 s[10:11], -1
	s_cbranch_scc0 .LBB63_345
; %bb.344:
	s_mov_b64 s[10:11], 0
	global_store_byte v[6:7], v9, off
.LBB63_345:
	s_andn2_b64 vcc, exec, s[10:11]
	s_cbranch_vccnz .LBB63_347
; %bb.346:
	global_store_byte v[6:7], v0, off
.LBB63_347:
	s_mov_b64 s[10:11], -1
.LBB63_348:
	s_andn2_b64 vcc, exec, s[10:11]
	s_cbranch_vccnz .LBB63_350
; %bb.349:
	v_add_u32_e32 v8, 0x80, v8
	s_mov_b64 s[10:11], -1
	s_branch .LBB63_351
.LBB63_350:
	s_mov_b64 s[10:11], 0
                                        ; implicit-def: $vgpr8
.LBB63_351:
	s_andn2_b64 s[12:13], s[72:73], exec
	s_and_b64 s[8:9], s[8:9], exec
	s_or_b64 s[78:79], s[12:13], s[8:9]
	s_orn2_b64 s[10:11], s[10:11], exec
.LBB63_352:
	s_or_b64 exec, exec, s[76:77]
	s_mov_b64 s[8:9], 0
	s_mov_b64 s[14:15], 0
                                        ; implicit-def: $sgpr24
                                        ; implicit-def: $vgpr6_vgpr7
	s_and_saveexec_b64 s[76:77], s[10:11]
	s_cbranch_execz .LBB63_424
; %bb.353:
	s_mov_b64 s[2:3], s[80:81]
	v_cmp_gt_i32_e32 vcc, s94, v8
	s_mov_b64 s[10:11], 0
	s_mov_b64 s[12:13], s[78:79]
                                        ; implicit-def: $sgpr24
                                        ; implicit-def: $vgpr6_vgpr7
	s_and_saveexec_b64 s[80:81], vcc
	s_cbranch_execz .LBB63_423
; %bb.354:
	s_andn2_b64 vcc, exec, s[36:37]
	s_cbranch_vccnz .LBB63_360
; %bb.355:
	s_andn2_b64 vcc, exec, s[66:67]
	s_cbranch_vccnz .LBB63_361
; %bb.356:
	s_add_i32 s95, s95, 1
	s_cmp_eq_u32 s82, 2
	s_cbranch_scc1 .LBB63_362
; %bb.357:
	s_mov_b32 vcc_lo, s84
	s_mov_b32 s84, s26
	s_mov_b32 s94, s25
	s_and_b32 s64, s95, 28
	s_mov_b32 s65, 0
	v_mov_b32_e32 v6, 0
	s_mov_b64 s[66:67], s[34:35]
	v_mov_b32_e32 v7, v8
.LBB63_358:                             ; =>This Inner Loop Header: Depth=1
	s_load_dwordx8 s[8:15], s[66:67], 0x4
	s_load_dwordx4 s[24:27], s[66:67], 0x24
	s_load_dwordx4 s[28:31], s[62:63], 0x0
	s_add_u32 s66, s66, 48
	s_addc_u32 s67, s67, 0
	s_waitcnt lgkmcnt(0)
	v_mul_hi_u32 v18, s9, v7
	s_add_i32 s65, s65, 4
	s_add_u32 s62, s62, 16
	s_addc_u32 s63, s63, 0
	v_add_u32_e32 v18, v7, v18
	v_lshrrev_b32_e32 v18, s10, v18
	v_mul_lo_u32 v19, v18, s8
	v_mul_hi_u32 v20, s12, v18
	s_cmp_eq_u32 s64, s65
	v_sub_u32_e32 v7, v7, v19
	v_add_u32_e32 v19, v18, v20
	v_lshrrev_b32_e32 v19, s13, v19
	v_mul_lo_u32 v20, v7, s28
	v_mul_hi_u32 v7, s15, v19
	v_mul_lo_u32 v22, v19, s11
	v_add_u32_e32 v7, v19, v7
	v_lshrrev_b32_e32 v21, s24, v7
	v_mul_hi_u32 v7, s26, v21
	v_sub_u32_e32 v18, v18, v22
	v_mul_lo_u32 v22, v21, s14
	v_mul_lo_u32 v18, v18, s29
	v_add_u32_e32 v7, v21, v7
	v_lshrrev_b32_e32 v7, s27, v7
	v_mul_lo_u32 v23, v7, s25
	v_sub_u32_e32 v19, v19, v22
	v_mul_lo_u32 v19, v19, s30
	v_add3_u32 v6, v20, v6, v18
	v_sub_u32_e32 v21, v21, v23
	v_mul_lo_u32 v21, v21, s31
	v_add3_u32 v6, v19, v6, v21
	s_cbranch_scc0 .LBB63_358
; %bb.359:
	s_mov_b32 s25, s94
	s_mov_b32 s26, s84
	s_mov_b32 s84, vcc_lo
	s_branch .LBB63_363
.LBB63_360:
	s_mov_b64 s[8:9], -1
                                        ; implicit-def: $vgpr6
	s_branch .LBB63_367
.LBB63_361:
	v_mov_b32_e32 v6, 0
	s_branch .LBB63_366
.LBB63_362:
	v_mov_b32_e32 v6, 0
	s_mov_b32 s64, 0
	v_mov_b32_e32 v7, v8
.LBB63_363:
	s_and_b32 s12, s95, 3
	s_cmp_eq_u32 s12, 0
	s_cbranch_scc1 .LBB63_366
; %bb.364:
	s_lshl_b32 s8, s64, 2
	s_add_u32 s8, s34, s8
	s_addc_u32 s9, s35, 0
	s_add_u32 s8, s8, 0xc4
	s_addc_u32 s9, s9, 0
	s_mul_i32 s10, s64, 12
	s_add_u32 s10, s34, s10
	s_addc_u32 s11, s35, 0
.LBB63_365:                             ; =>This Inner Loop Header: Depth=1
	s_load_dwordx2 s[14:15], s[10:11], 0x4
	s_load_dword s13, s[10:11], 0xc
	s_add_u32 s10, s10, 12
	s_addc_u32 s11, s11, 0
	s_waitcnt lgkmcnt(0)
	v_mul_hi_u32 v18, s15, v7
	s_load_dword s15, s[8:9], 0x0
	s_add_u32 s8, s8, 4
	s_addc_u32 s9, s9, 0
	v_add_u32_e32 v18, v7, v18
	v_lshrrev_b32_e32 v18, s13, v18
	v_mul_lo_u32 v19, v18, s14
	s_add_i32 s12, s12, -1
	s_cmp_lg_u32 s12, 0
	v_sub_u32_e32 v7, v7, v19
	s_waitcnt lgkmcnt(0)
	v_mad_u64_u32 v[6:7], s[14:15], v7, s15, v[6:7]
	v_mov_b32_e32 v7, v18
	s_cbranch_scc1 .LBB63_365
.LBB63_366:
	s_mov_b64 s[8:9], 0
.LBB63_367:
	s_andn2_b64 vcc, exec, s[8:9]
	s_cbranch_vccnz .LBB63_370
; %bb.368:
	v_mul_hi_u32 v6, s21, v8
	s_andn2_b64 vcc, exec, s[60:61]
	v_add_u32_e32 v6, v8, v6
	v_lshrrev_b32_e32 v7, s22, v6
	v_mul_lo_u32 v6, v7, s20
	v_sub_u32_e32 v6, v8, v6
	v_mul_lo_u32 v6, v6, s58
	s_cbranch_vccnz .LBB63_370
; %bb.369:
	v_mul_hi_u32 v8, s2, v7
	v_add_u32_e32 v8, v7, v8
	v_lshrrev_b32_e32 v8, s3, v8
	v_mul_lo_u32 v8, v8, s23
	v_sub_u32_e32 v7, v7, v8
	v_mad_u64_u32 v[6:7], s[8:9], v7, s59, v[6:7]
.LBB63_370:
	v_mov_b32_e32 v7, s17
	s_and_b32 s24, s26, 0xff
	v_add_co_u32_e32 v6, vcc, s16, v6
	s_cmp_lt_i32 s24, 11
	v_addc_co_u32_e32 v7, vcc, 0, v7, vcc
	s_cbranch_scc1 .LBB63_420
; %bb.371:
	s_and_b32 s12, 0xffff, s24
	s_mov_b64 s[10:11], -1
	s_cmp_gt_i32 s12, 25
	s_mov_b64 s[8:9], s[78:79]
	s_cbranch_scc0 .LBB63_399
; %bb.372:
	s_cmp_gt_i32 s12, 28
	s_mov_b64 s[8:9], s[78:79]
	s_cbranch_scc0 .LBB63_386
; %bb.373:
	;; [unrolled: 4-line block ×4, first 2 shown]
	s_cmp_eq_u32 s12, 46
	s_mov_b64 s[8:9], -1
	s_cbranch_scc0 .LBB63_377
; %bb.376:
	global_store_dword v[6:7], v17, off
	s_mov_b64 s[8:9], 0
.LBB63_377:
	s_mov_b64 s[10:11], 0
.LBB63_378:
	s_and_b64 vcc, exec, s[10:11]
	s_cbranch_vccz .LBB63_381
; %bb.379:
	s_cmp_eq_u32 s12, 44
	s_mov_b64 s[8:9], -1
	s_cbranch_scc0 .LBB63_381
; %bb.380:
	v_mov_b32_e32 v8, 0xffff
	v_cndmask_b32_e64 v8, v16, v8, s[4:5]
	global_store_byte v[6:7], v8, off
	s_mov_b64 s[8:9], 0
.LBB63_381:
	s_mov_b64 s[10:11], 0
.LBB63_382:
	s_and_b64 vcc, exec, s[10:11]
	s_cbranch_vccz .LBB63_385
; %bb.383:
	s_cmp_eq_u32 s12, 29
	s_mov_b64 s[8:9], -1
	s_cbranch_scc0 .LBB63_385
; %bb.384:
	global_store_dwordx2 v[6:7], v[0:1], off
	s_mov_b64 s[8:9], 0
.LBB63_385:
	s_mov_b64 s[10:11], 0
.LBB63_386:
	s_and_b64 vcc, exec, s[10:11]
	s_cbranch_vccz .LBB63_398
; %bb.387:
	s_cmp_lt_i32 s12, 27
	s_mov_b64 s[4:5], -1
	s_cbranch_scc1 .LBB63_393
; %bb.388:
	s_cmp_gt_i32 s12, 27
	s_cbranch_scc0 .LBB63_390
; %bb.389:
	s_mov_b64 s[4:5], 0
	global_store_dword v[6:7], v14, off
.LBB63_390:
	s_andn2_b64 vcc, exec, s[4:5]
	s_cbranch_vccnz .LBB63_392
; %bb.391:
	global_store_short v[6:7], v14, off
.LBB63_392:
	s_mov_b64 s[4:5], 0
.LBB63_393:
	s_andn2_b64 vcc, exec, s[4:5]
	s_cbranch_vccnz .LBB63_398
; %bb.394:
	s_andn2_b64 vcc, exec, s[54:55]
	v_mov_b32_e32 v1, 0x80
	s_cbranch_vccnz .LBB63_397
; %bb.395:
	s_or_b64 s[4:5], s[86:87], s[56:57]
	s_andn2_b64 vcc, exec, s[4:5]
	v_mov_b32_e32 v1, 0
	s_cbranch_vccnz .LBB63_397
; %bb.396:
	v_mov_b32_e32 v1, s92
	v_cndmask_b32_e64 v1, v15, v1, s[86:87]
	v_or_b32_e32 v1, v1, v11
.LBB63_397:
	global_store_byte v[6:7], v1, off
.LBB63_398:
	s_mov_b64 s[10:11], 0
.LBB63_399:
	s_mov_b64 s[2:3], 0
	s_and_b64 vcc, exec, s[10:11]
	s_cbranch_vccz .LBB63_421
; %bb.400:
	s_cmp_gt_i32 s12, 22
	s_mov_b64 s[4:5], -1
	s_cbranch_scc0 .LBB63_413
; %bb.401:
	s_mov_b32 s13, s84
	s_cmp_lt_i32 s12, 24
	s_cbranch_scc1 .LBB63_410
; %bb.402:
	s_cmp_gt_i32 s12, 24
	s_cbranch_scc0 .LBB63_407
; %bb.403:
	s_andn2_b64 vcc, exec, s[50:51]
	v_mov_b32_e32 v1, 0x80
	s_cbranch_vccnz .LBB63_406
; %bb.404:
	s_or_b64 s[4:5], s[0:1], s[52:53]
	s_andn2_b64 vcc, exec, s[4:5]
	v_mov_b32_e32 v1, 0
	s_cbranch_vccnz .LBB63_406
; %bb.405:
	v_mov_b32_e32 v1, s88
	v_cndmask_b32_e64 v1, v13, v1, s[0:1]
	v_or_b32_e32 v1, v1, v11
.LBB63_406:
	s_mov_b64 s[4:5], 0
	global_store_byte v[6:7], v1, off
.LBB63_407:
	s_and_b64 vcc, exec, s[4:5]
	s_cbranch_vccz .LBB63_409
; %bb.408:
	s_and_b64 s[0:1], s[48:49], exec
	s_cselect_b32 s4, s91, s89
	s_and_b64 s[0:1], s[46:47], exec
	s_cselect_b32 s0, s90, s4
	v_or_b32_e32 v1, s0, v11
	global_store_byte v[6:7], v1, off
.LBB63_409:
	s_mov_b64 s[4:5], 0
.LBB63_410:
	s_andn2_b64 vcc, exec, s[4:5]
	s_cbranch_vccnz .LBB63_412
; %bb.411:
	s_and_b64 s[0:1], s[44:45], exec
	s_cselect_b32 s4, s85, s93
	s_and_b64 s[0:1], s[42:43], exec
	s_cselect_b32 s0, s13, s4
	v_or_b32_e32 v1, s0, v11
	global_store_byte v[6:7], v1, off
.LBB63_412:
	s_mov_b64 s[4:5], 0
.LBB63_413:
	s_andn2_b64 vcc, exec, s[4:5]
	s_mov_b64 s[0:1], 0
	s_cbranch_vccnz .LBB63_422
; %bb.414:
	s_cmp_gt_i32 s12, 14
	s_mov_b64 s[4:5], -1
	s_cbranch_scc0 .LBB63_418
; %bb.415:
	s_cmp_eq_u32 s12, 15
	s_mov_b64 s[8:9], -1
	s_cbranch_scc0 .LBB63_417
; %bb.416:
	global_store_short v[6:7], v12, off
	s_mov_b64 s[8:9], 0
.LBB63_417:
	s_mov_b64 s[4:5], 0
.LBB63_418:
	s_and_b64 vcc, exec, s[4:5]
	s_cbranch_vccz .LBB63_422
; %bb.419:
	s_cmp_lg_u32 s12, 11
	s_cselect_b64 s[4:5], -1, 0
	s_andn2_b64 s[8:9], s[8:9], exec
	s_and_b64 s[4:5], s[4:5], exec
	s_mov_b64 s[0:1], -1
	s_or_b64 s[8:9], s[8:9], s[4:5]
	s_branch .LBB63_422
.LBB63_420:
	s_mov_b64 s[0:1], 0
	s_mov_b64 s[2:3], -1
	s_mov_b64 s[8:9], s[78:79]
	s_branch .LBB63_422
.LBB63_421:
	s_mov_b64 s[0:1], 0
.LBB63_422:
	s_and_b64 s[14:15], s[2:3], exec
	s_and_b64 s[10:11], s[0:1], exec
	s_andn2_b64 s[0:1], s[78:79], exec
	s_and_b64 s[2:3], s[8:9], exec
	s_or_b64 s[12:13], s[0:1], s[2:3]
.LBB63_423:
	s_or_b64 exec, exec, s[80:81]
	s_andn2_b64 s[0:1], s[78:79], exec
	s_and_b64 s[2:3], s[12:13], exec
	s_and_b64 s[14:15], s[14:15], exec
	;; [unrolled: 1-line block ×3, first 2 shown]
	s_or_b64 s[78:79], s[0:1], s[2:3]
.LBB63_424:
	s_or_b64 exec, exec, s[76:77]
	s_andn2_b64 s[0:1], s[72:73], exec
	s_and_b64 s[2:3], s[78:79], exec
	s_and_b64 s[12:13], s[14:15], exec
	;; [unrolled: 1-line block ×3, first 2 shown]
	s_or_b64 s[72:73], s[0:1], s[2:3]
.LBB63_425:
	s_or_b64 exec, exec, s[74:75]
	s_andn2_b64 s[0:1], s[68:69], exec
	s_and_b64 s[2:3], s[72:73], exec
	s_and_b64 s[8:9], s[12:13], exec
	;; [unrolled: 1-line block ×3, first 2 shown]
	s_or_b64 s[68:69], s[0:1], s[2:3]
	s_or_b64 exec, exec, s[70:71]
	s_mov_b64 s[0:1], 0
	s_and_saveexec_b64 s[2:3], s[68:69]
	s_cbranch_execz .LBB63_124
.LBB63_426:
	s_mov_b64 s[0:1], exec
	s_andn2_b64 s[74:75], s[74:75], exec
	s_trap 2
	s_or_b64 exec, exec, s[2:3]
	s_and_saveexec_b64 s[2:3], s[74:75]
	s_xor_b64 s[2:3], exec, s[2:3]
	s_cbranch_execnz .LBB63_125
.LBB63_427:
	s_or_b64 exec, exec, s[2:3]
	s_and_saveexec_b64 s[2:3], s[8:9]
	s_xor_b64 s[2:3], exec, s[2:3]
	s_cbranch_execz .LBB63_465
.LBB63_428:
	s_sext_i32_i16 s8, s24
	s_cmp_lt_i32 s8, 5
	s_mov_b64 s[4:5], -1
	s_cbranch_scc1 .LBB63_449
; %bb.429:
	s_cmp_lt_i32 s8, 8
	s_cbranch_scc1 .LBB63_439
; %bb.430:
	s_cmp_lt_i32 s8, 9
	s_cbranch_scc1 .LBB63_436
; %bb.431:
	s_cmp_gt_i32 s8, 9
	s_cbranch_scc0 .LBB63_433
; %bb.432:
	v_mov_b32_e32 v10, s18
	v_mov_b32_e32 v11, s19
	;; [unrolled: 1-line block ×4, first 2 shown]
	s_mov_b64 s[4:5], 0
	global_store_dwordx4 v[6:7], v[10:13], off
.LBB63_433:
	s_andn2_b64 vcc, exec, s[4:5]
	s_cbranch_vccnz .LBB63_435
; %bb.434:
	global_store_dwordx2 v[6:7], v[2:3], off
.LBB63_435:
	s_mov_b64 s[4:5], 0
.LBB63_436:
	s_andn2_b64 vcc, exec, s[4:5]
	s_cbranch_vccnz .LBB63_438
; %bb.437:
	v_mov_b32_e32 v1, s25
	global_store_dword v[6:7], v1, off
.LBB63_438:
	s_mov_b64 s[4:5], 0
.LBB63_439:
	s_andn2_b64 vcc, exec, s[4:5]
	s_cbranch_vccnz .LBB63_448
; %bb.440:
	s_sext_i32_i16 s8, s24
	s_cmp_lt_i32 s8, 6
	s_mov_b64 s[4:5], -1
	s_cbranch_scc1 .LBB63_446
; %bb.441:
	s_cmp_gt_i32 s8, 6
	s_cbranch_scc0 .LBB63_443
; %bb.442:
	v_mov_b32_e32 v10, s18
	v_mov_b32_e32 v11, s19
	s_mov_b64 s[4:5], 0
	global_store_dwordx2 v[6:7], v[10:11], off
.LBB63_443:
	s_andn2_b64 vcc, exec, s[4:5]
	s_cbranch_vccnz .LBB63_445
; %bb.444:
	global_store_dword v[6:7], v2, off
.LBB63_445:
	s_mov_b64 s[4:5], 0
.LBB63_446:
	s_andn2_b64 vcc, exec, s[4:5]
	s_cbranch_vccnz .LBB63_448
; %bb.447:
	v_mov_b32_e32 v1, s83
	global_store_short v[6:7], v1, off
.LBB63_448:
	s_mov_b64 s[4:5], 0
.LBB63_449:
	s_andn2_b64 vcc, exec, s[4:5]
	s_cbranch_vccnz .LBB63_465
; %bb.450:
	s_sext_i32_i16 s8, s24
	s_cmp_lt_i32 s8, 2
	s_mov_b64 s[4:5], -1
	s_cbranch_scc1 .LBB63_460
; %bb.451:
	s_cmp_lt_i32 s8, 3
	s_cbranch_scc1 .LBB63_457
; %bb.452:
	s_cmp_gt_i32 s8, 3
	s_cbranch_scc0 .LBB63_454
; %bb.453:
	s_mov_b64 s[4:5], 0
	global_store_dwordx2 v[6:7], v[4:5], off
.LBB63_454:
	s_andn2_b64 vcc, exec, s[4:5]
	s_cbranch_vccnz .LBB63_456
; %bb.455:
	global_store_dword v[6:7], v9, off
.LBB63_456:
	s_mov_b64 s[4:5], 0
.LBB63_457:
	s_andn2_b64 vcc, exec, s[4:5]
	s_cbranch_vccnz .LBB63_459
; %bb.458:
	global_store_short v[6:7], v9, off
.LBB63_459:
	s_mov_b64 s[4:5], 0
.LBB63_460:
	s_andn2_b64 vcc, exec, s[4:5]
	s_cbranch_vccnz .LBB63_465
; %bb.461:
	s_sext_i32_i16 s4, s24
	s_cmp_gt_i32 s4, 0
	s_mov_b64 s[4:5], -1
	s_cbranch_scc0 .LBB63_463
; %bb.462:
	s_mov_b64 s[4:5], 0
	global_store_byte v[6:7], v9, off
.LBB63_463:
	s_andn2_b64 vcc, exec, s[4:5]
	s_cbranch_vccnz .LBB63_465
; %bb.464:
	global_store_byte v[6:7], v0, off
.LBB63_465:
	s_or_b64 exec, exec, s[2:3]
	s_and_b64 s[20:21], s[0:1], exec
                                        ; implicit-def: $vgpr9
                                        ; implicit-def: $vgpr8
.LBB63_466:
	s_or_saveexec_b64 s[22:23], s[38:39]
	s_mov_b64 s[0:1], 0
                                        ; implicit-def: $sgpr16
                                        ; implicit-def: $vgpr0_vgpr1
                                        ; implicit-def: $sgpr4_sgpr5
                                        ; implicit-def: $sgpr2_sgpr3
	s_xor_b64 exec, exec, s[22:23]
	s_cbranch_execz .LBB63_949
; %bb.467:
	v_cndmask_b32_e64 v0, 0, 1, s[36:37]
	v_cmp_ne_u32_e64 s[0:1], 1, v0
	s_andn2_b64 vcc, exec, s[36:37]
	s_cbranch_vccnz .LBB63_473
; %bb.468:
	s_cmp_lg_u32 s33, 0
	s_mov_b32 s26, 0
	s_cbranch_scc0 .LBB63_474
; %bb.469:
	s_min_u32 s27, s82, 15
	s_add_i32 s27, s27, 1
	s_cmp_eq_u32 s82, 2
	s_cbranch_scc1 .LBB63_475
; %bb.470:
	s_and_b32 s26, s27, 28
	s_add_u32 s2, s34, 0xc4
	s_addc_u32 s3, s35, 0
	s_mov_b32 s28, 0
	v_mov_b32_e32 v6, 0
	s_mov_b64 s[24:25], s[34:35]
	v_mov_b32_e32 v0, v8
.LBB63_471:                             ; =>This Inner Loop Header: Depth=1
	s_load_dwordx8 s[4:11], s[24:25], 0x4
	s_load_dwordx4 s[12:15], s[24:25], 0x24
	s_load_dwordx4 s[16:19], s[2:3], 0x0
	s_add_u32 s24, s24, 48
	s_addc_u32 s25, s25, 0
	s_waitcnt lgkmcnt(0)
	v_mul_hi_u32 v1, s5, v0
	s_add_i32 s28, s28, 4
	s_add_u32 s2, s2, 16
	s_addc_u32 s3, s3, 0
	v_add_u32_e32 v1, v0, v1
	v_lshrrev_b32_e32 v1, s6, v1
	v_mul_lo_u32 v2, v1, s4
	v_mul_hi_u32 v3, s8, v1
	s_cmp_lg_u32 s26, s28
	v_sub_u32_e32 v0, v0, v2
	v_add_u32_e32 v2, v1, v3
	v_lshrrev_b32_e32 v2, s9, v2
	v_mul_lo_u32 v3, v0, s16
	v_mul_hi_u32 v0, s11, v2
	v_mul_lo_u32 v5, v2, s7
	v_add_u32_e32 v0, v2, v0
	v_lshrrev_b32_e32 v4, s12, v0
	v_mul_hi_u32 v0, s14, v4
	v_sub_u32_e32 v1, v1, v5
	v_mul_lo_u32 v5, v4, s10
	v_mul_lo_u32 v1, v1, s17
	v_add_u32_e32 v0, v4, v0
	v_lshrrev_b32_e32 v0, s15, v0
	v_mul_lo_u32 v7, v0, s13
	v_sub_u32_e32 v2, v2, v5
	v_mul_lo_u32 v2, v2, s18
	v_add3_u32 v1, v3, v6, v1
	v_sub_u32_e32 v4, v4, v7
	v_mul_lo_u32 v4, v4, s19
	v_add3_u32 v6, v2, v1, v4
	s_cbranch_scc1 .LBB63_471
; %bb.472:
	s_and_b32 s6, s27, 3
	s_cmp_eq_u32 s6, 0
	s_cbranch_scc0 .LBB63_476
	s_branch .LBB63_478
.LBB63_473:
                                        ; implicit-def: $vgpr6
	s_branch .LBB63_479
.LBB63_474:
	v_mov_b32_e32 v6, 0
	s_branch .LBB63_478
.LBB63_475:
	v_mov_b32_e32 v6, 0
	v_mov_b32_e32 v0, v8
	s_and_b32 s6, s27, 3
	s_cmp_eq_u32 s6, 0
	s_cbranch_scc1 .LBB63_478
.LBB63_476:
	s_lshl_b32 s2, s26, 2
	s_add_u32 s2, s34, s2
	s_addc_u32 s3, s35, 0
	s_add_u32 s2, s2, 0xc4
	s_addc_u32 s3, s3, 0
	s_mul_i32 s4, s26, 12
	s_add_u32 s4, s34, s4
	s_addc_u32 s5, s35, 0
.LBB63_477:                             ; =>This Inner Loop Header: Depth=1
	s_load_dwordx2 s[8:9], s[4:5], 0x4
	s_load_dword s7, s[4:5], 0xc
	s_add_u32 s4, s4, 12
	s_addc_u32 s5, s5, 0
	s_waitcnt lgkmcnt(0)
	v_mul_hi_u32 v1, s9, v0
	s_load_dword s9, s[2:3], 0x0
	s_add_u32 s2, s2, 4
	s_addc_u32 s3, s3, 0
	v_add_u32_e32 v1, v0, v1
	v_lshrrev_b32_e32 v1, s7, v1
	v_mul_lo_u32 v2, v1, s8
	s_add_i32 s6, s6, -1
	s_cmp_lg_u32 s6, 0
	v_sub_u32_e32 v0, v0, v2
	s_waitcnt lgkmcnt(0)
	v_mad_u64_u32 v[6:7], s[8:9], v0, s9, v[6:7]
	v_mov_b32_e32 v0, v1
	s_cbranch_scc1 .LBB63_477
.LBB63_478:
	s_cbranch_execnz .LBB63_481
.LBB63_479:
	s_load_dwordx4 s[4:7], s[34:35], 0x4
	s_load_dword s2, s[34:35], 0xc4
	s_cmp_lt_u32 s33, 2
	s_waitcnt lgkmcnt(0)
	v_mul_hi_u32 v0, s5, v8
	v_add_u32_e32 v0, v8, v0
	v_lshrrev_b32_e32 v0, s6, v0
	v_mul_lo_u32 v1, v0, s4
	v_sub_u32_e32 v1, v8, v1
	v_mul_lo_u32 v6, v1, s2
	s_cbranch_scc1 .LBB63_481
; %bb.480:
	s_load_dwordx4 s[4:7], s[34:35], 0x10
	s_load_dword s2, s[34:35], 0xc8
	s_waitcnt lgkmcnt(0)
	v_mul_hi_u32 v1, s5, v0
	v_add_u32_e32 v1, v0, v1
	v_lshrrev_b32_e32 v1, s6, v1
	v_mul_lo_u32 v1, v1, s4
	v_sub_u32_e32 v0, v0, v1
	v_mad_u64_u32 v[6:7], s[2:3], v0, s2, v[6:7]
.LBB63_481:
	s_and_b64 vcc, exec, s[0:1]
	v_add_u32_e32 v0, 0x80, v8
	s_cbranch_vccnz .LBB63_487
; %bb.482:
	s_cmp_lg_u32 s33, 0
	s_mov_b32 s26, 0
	s_cbranch_scc0 .LBB63_488
; %bb.483:
	s_min_u32 s27, s82, 15
	s_add_i32 s27, s27, 1
	s_cmp_eq_u32 s82, 2
	s_cbranch_scc1 .LBB63_489
; %bb.484:
	s_and_b32 s26, s27, 28
	s_add_u32 s2, s34, 0xc4
	s_addc_u32 s3, s35, 0
	s_mov_b32 s28, 0
	v_mov_b32_e32 v4, 0
	s_mov_b64 s[24:25], s[34:35]
	v_mov_b32_e32 v1, v0
.LBB63_485:                             ; =>This Inner Loop Header: Depth=1
	s_load_dwordx8 s[4:11], s[24:25], 0x4
	s_load_dwordx4 s[12:15], s[24:25], 0x24
	s_load_dwordx4 s[16:19], s[2:3], 0x0
	s_add_u32 s24, s24, 48
	s_addc_u32 s25, s25, 0
	s_waitcnt lgkmcnt(0)
	v_mul_hi_u32 v2, s5, v1
	s_add_i32 s28, s28, 4
	s_add_u32 s2, s2, 16
	s_addc_u32 s3, s3, 0
	v_add_u32_e32 v2, v1, v2
	v_lshrrev_b32_e32 v2, s6, v2
	v_mul_lo_u32 v3, v2, s4
	v_mul_hi_u32 v5, s8, v2
	s_cmp_lg_u32 s26, s28
	v_sub_u32_e32 v1, v1, v3
	v_add_u32_e32 v3, v2, v5
	v_lshrrev_b32_e32 v3, s9, v3
	v_mul_lo_u32 v5, v1, s16
	v_mul_hi_u32 v1, s11, v3
	v_mul_lo_u32 v10, v3, s7
	v_add_u32_e32 v1, v3, v1
	v_lshrrev_b32_e32 v7, s12, v1
	v_mul_hi_u32 v1, s14, v7
	v_sub_u32_e32 v2, v2, v10
	v_mul_lo_u32 v10, v7, s10
	v_mul_lo_u32 v2, v2, s17
	v_add_u32_e32 v1, v7, v1
	v_lshrrev_b32_e32 v1, s15, v1
	v_mul_lo_u32 v11, v1, s13
	v_sub_u32_e32 v3, v3, v10
	v_mul_lo_u32 v3, v3, s18
	v_add3_u32 v2, v5, v4, v2
	v_sub_u32_e32 v7, v7, v11
	v_mul_lo_u32 v7, v7, s19
	v_add3_u32 v4, v3, v2, v7
	s_cbranch_scc1 .LBB63_485
; %bb.486:
	s_and_b32 s6, s27, 3
	s_cmp_eq_u32 s6, 0
	s_cbranch_scc0 .LBB63_490
	s_branch .LBB63_492
.LBB63_487:
                                        ; implicit-def: $vgpr4
	s_branch .LBB63_493
.LBB63_488:
	v_mov_b32_e32 v4, 0
	s_branch .LBB63_492
.LBB63_489:
	v_mov_b32_e32 v4, 0
	v_mov_b32_e32 v1, v0
	s_and_b32 s6, s27, 3
	s_cmp_eq_u32 s6, 0
	s_cbranch_scc1 .LBB63_492
.LBB63_490:
	s_lshl_b32 s2, s26, 2
	s_add_u32 s2, s34, s2
	s_addc_u32 s3, s35, 0
	s_add_u32 s2, s2, 0xc4
	s_addc_u32 s3, s3, 0
	s_mul_i32 s4, s26, 12
	s_add_u32 s4, s34, s4
	s_addc_u32 s5, s35, 0
.LBB63_491:                             ; =>This Inner Loop Header: Depth=1
	s_load_dwordx2 s[8:9], s[4:5], 0x4
	s_load_dword s7, s[4:5], 0xc
	s_add_u32 s4, s4, 12
	s_addc_u32 s5, s5, 0
	s_waitcnt lgkmcnt(0)
	v_mul_hi_u32 v2, s9, v1
	s_load_dword s9, s[2:3], 0x0
	s_add_u32 s2, s2, 4
	s_addc_u32 s3, s3, 0
	v_add_u32_e32 v2, v1, v2
	v_lshrrev_b32_e32 v2, s7, v2
	v_mul_lo_u32 v3, v2, s8
	s_add_i32 s6, s6, -1
	s_cmp_lg_u32 s6, 0
	v_sub_u32_e32 v1, v1, v3
	s_waitcnt lgkmcnt(0)
	v_mad_u64_u32 v[4:5], s[8:9], v1, s9, v[4:5]
	v_mov_b32_e32 v1, v2
	s_cbranch_scc1 .LBB63_491
.LBB63_492:
	s_cbranch_execnz .LBB63_495
.LBB63_493:
	s_load_dwordx4 s[4:7], s[34:35], 0x4
	s_load_dword s2, s[34:35], 0xc4
	s_cmp_lt_u32 s33, 2
	s_waitcnt lgkmcnt(0)
	v_mul_hi_u32 v1, s5, v0
	v_add_u32_e32 v1, v0, v1
	v_lshrrev_b32_e32 v1, s6, v1
	v_mul_lo_u32 v2, v1, s4
	v_sub_u32_e32 v0, v0, v2
	v_mul_lo_u32 v4, v0, s2
	s_cbranch_scc1 .LBB63_495
; %bb.494:
	s_load_dwordx4 s[4:7], s[34:35], 0x10
	s_load_dword s2, s[34:35], 0xc8
	s_waitcnt lgkmcnt(0)
	v_mul_hi_u32 v0, s5, v1
	v_add_u32_e32 v0, v1, v0
	v_lshrrev_b32_e32 v0, s6, v0
	v_mul_lo_u32 v0, v0, s4
	v_sub_u32_e32 v0, v1, v0
	v_mad_u64_u32 v[4:5], s[2:3], v0, s2, v[4:5]
.LBB63_495:
	s_and_b64 vcc, exec, s[0:1]
	v_add_u32_e32 v0, 0x100, v8
	s_cbranch_vccnz .LBB63_501
; %bb.496:
	s_cmp_lg_u32 s33, 0
	s_mov_b32 s26, 0
	s_cbranch_scc0 .LBB63_502
; %bb.497:
	s_min_u32 s27, s82, 15
	s_add_i32 s27, s27, 1
	s_cmp_eq_u32 s82, 2
	s_cbranch_scc1 .LBB63_503
; %bb.498:
	s_and_b32 s26, s27, 28
	s_add_u32 s2, s34, 0xc4
	s_addc_u32 s3, s35, 0
	s_mov_b32 s28, 0
	v_mov_b32_e32 v2, 0
	s_mov_b64 s[24:25], s[34:35]
	v_mov_b32_e32 v1, v0
.LBB63_499:                             ; =>This Inner Loop Header: Depth=1
	s_load_dwordx8 s[4:11], s[24:25], 0x4
	s_load_dwordx4 s[12:15], s[24:25], 0x24
	s_load_dwordx4 s[16:19], s[2:3], 0x0
	s_add_u32 s24, s24, 48
	s_addc_u32 s25, s25, 0
	s_waitcnt lgkmcnt(0)
	v_mul_hi_u32 v3, s5, v1
	s_add_i32 s28, s28, 4
	s_add_u32 s2, s2, 16
	s_addc_u32 s3, s3, 0
	v_add_u32_e32 v3, v1, v3
	v_lshrrev_b32_e32 v3, s6, v3
	v_mul_lo_u32 v5, v3, s4
	v_mul_hi_u32 v7, s8, v3
	s_cmp_lg_u32 s26, s28
	v_sub_u32_e32 v1, v1, v5
	v_add_u32_e32 v5, v3, v7
	v_lshrrev_b32_e32 v5, s9, v5
	v_mul_lo_u32 v7, v1, s16
	v_mul_hi_u32 v1, s11, v5
	v_mul_lo_u32 v10, v5, s7
	v_add_u32_e32 v1, v5, v1
	v_lshrrev_b32_e32 v8, s12, v1
	v_mul_hi_u32 v1, s14, v8
	v_sub_u32_e32 v3, v3, v10
	v_mul_lo_u32 v10, v8, s10
	v_mul_lo_u32 v3, v3, s17
	v_add_u32_e32 v1, v8, v1
	v_lshrrev_b32_e32 v1, s15, v1
	v_mul_lo_u32 v11, v1, s13
	v_sub_u32_e32 v5, v5, v10
	v_mul_lo_u32 v5, v5, s18
	v_add3_u32 v2, v7, v2, v3
	v_sub_u32_e32 v8, v8, v11
	v_mul_lo_u32 v8, v8, s19
	v_add3_u32 v2, v5, v2, v8
	s_cbranch_scc1 .LBB63_499
; %bb.500:
	s_and_b32 s6, s27, 3
	s_cmp_eq_u32 s6, 0
	s_cbranch_scc0 .LBB63_504
	s_branch .LBB63_506
.LBB63_501:
                                        ; implicit-def: $vgpr2
	s_branch .LBB63_507
.LBB63_502:
	v_mov_b32_e32 v2, 0
	s_branch .LBB63_506
.LBB63_503:
	v_mov_b32_e32 v2, 0
	v_mov_b32_e32 v1, v0
	s_and_b32 s6, s27, 3
	s_cmp_eq_u32 s6, 0
	s_cbranch_scc1 .LBB63_506
.LBB63_504:
	s_lshl_b32 s2, s26, 2
	s_add_u32 s2, s34, s2
	s_addc_u32 s3, s35, 0
	s_add_u32 s2, s2, 0xc4
	s_addc_u32 s3, s3, 0
	s_mul_i32 s4, s26, 12
	s_add_u32 s4, s34, s4
	s_addc_u32 s5, s35, 0
.LBB63_505:                             ; =>This Inner Loop Header: Depth=1
	s_load_dwordx2 s[8:9], s[4:5], 0x4
	s_load_dword s7, s[4:5], 0xc
	s_add_u32 s4, s4, 12
	s_addc_u32 s5, s5, 0
	s_waitcnt lgkmcnt(0)
	v_mul_hi_u32 v3, s9, v1
	s_load_dword s9, s[2:3], 0x0
	s_add_u32 s2, s2, 4
	s_addc_u32 s3, s3, 0
	v_add_u32_e32 v3, v1, v3
	v_lshrrev_b32_e32 v5, s7, v3
	v_mul_lo_u32 v3, v5, s8
	s_add_i32 s6, s6, -1
	s_cmp_lg_u32 s6, 0
	v_sub_u32_e32 v1, v1, v3
	s_waitcnt lgkmcnt(0)
	v_mad_u64_u32 v[2:3], s[8:9], v1, s9, v[2:3]
	v_mov_b32_e32 v1, v5
	s_cbranch_scc1 .LBB63_505
.LBB63_506:
	s_cbranch_execnz .LBB63_509
.LBB63_507:
	s_load_dwordx4 s[4:7], s[34:35], 0x4
	s_load_dword s2, s[34:35], 0xc4
	s_cmp_lt_u32 s33, 2
	s_waitcnt lgkmcnt(0)
	v_mul_hi_u32 v1, s5, v0
	v_add_u32_e32 v1, v0, v1
	v_lshrrev_b32_e32 v1, s6, v1
	v_mul_lo_u32 v2, v1, s4
	v_sub_u32_e32 v0, v0, v2
	v_mul_lo_u32 v2, v0, s2
	s_cbranch_scc1 .LBB63_509
; %bb.508:
	s_load_dwordx4 s[4:7], s[34:35], 0x10
	s_load_dword s2, s[34:35], 0xc8
	s_waitcnt lgkmcnt(0)
	v_mul_hi_u32 v0, s5, v1
	v_add_u32_e32 v0, v1, v0
	v_lshrrev_b32_e32 v0, s6, v0
	v_mul_lo_u32 v0, v0, s4
	v_sub_u32_e32 v0, v1, v0
	v_mad_u64_u32 v[2:3], s[2:3], v0, s2, v[2:3]
.LBB63_509:
	s_and_b64 vcc, exec, s[0:1]
	s_cbranch_vccnz .LBB63_515
; %bb.510:
	s_cmp_lg_u32 s33, 0
	s_mov_b32 s24, 0
	s_cbranch_scc0 .LBB63_516
; %bb.511:
	s_min_u32 s25, s82, 15
	s_add_i32 s25, s25, 1
	s_cmp_eq_u32 s82, 2
	s_cbranch_scc1 .LBB63_517
; %bb.512:
	s_and_b32 s24, s25, 28
	s_add_u32 s16, s34, 0xc4
	s_addc_u32 s17, s35, 0
	s_mov_b32 s26, 0
	v_mov_b32_e32 v0, 0
	s_mov_b64 s[18:19], s[34:35]
	v_mov_b32_e32 v1, v9
.LBB63_513:                             ; =>This Inner Loop Header: Depth=1
	s_load_dwordx8 s[0:7], s[18:19], 0x4
	s_load_dwordx4 s[8:11], s[18:19], 0x24
	s_load_dwordx4 s[12:15], s[16:17], 0x0
	s_add_u32 s18, s18, 48
	s_addc_u32 s19, s19, 0
	s_waitcnt lgkmcnt(0)
	v_mul_hi_u32 v3, s1, v1
	s_add_i32 s26, s26, 4
	s_add_u32 s16, s16, 16
	s_addc_u32 s17, s17, 0
	v_add_u32_e32 v3, v1, v3
	v_lshrrev_b32_e32 v3, s2, v3
	v_mul_lo_u32 v5, v3, s0
	v_mul_hi_u32 v7, s4, v3
	s_cmp_lg_u32 s24, s26
	v_sub_u32_e32 v1, v1, v5
	v_add_u32_e32 v5, v3, v7
	v_lshrrev_b32_e32 v5, s5, v5
	v_mul_lo_u32 v7, v1, s12
	v_mul_hi_u32 v1, s7, v5
	v_mul_lo_u32 v10, v5, s3
	v_add_u32_e32 v1, v5, v1
	v_lshrrev_b32_e32 v8, s8, v1
	v_mul_hi_u32 v1, s10, v8
	v_sub_u32_e32 v3, v3, v10
	v_mul_lo_u32 v10, v8, s6
	v_mul_lo_u32 v3, v3, s13
	v_add_u32_e32 v1, v8, v1
	v_lshrrev_b32_e32 v1, s11, v1
	v_mul_lo_u32 v11, v1, s9
	v_sub_u32_e32 v5, v5, v10
	v_mul_lo_u32 v5, v5, s14
	v_add3_u32 v0, v7, v0, v3
	v_sub_u32_e32 v8, v8, v11
	v_mul_lo_u32 v8, v8, s15
	v_add3_u32 v0, v5, v0, v8
	s_cbranch_scc1 .LBB63_513
; %bb.514:
	s_and_b32 s4, s25, 3
	s_cmp_eq_u32 s4, 0
	s_cbranch_scc0 .LBB63_518
	s_branch .LBB63_520
.LBB63_515:
                                        ; implicit-def: $vgpr0
	s_branch .LBB63_521
.LBB63_516:
	v_mov_b32_e32 v0, 0
	s_branch .LBB63_520
.LBB63_517:
	v_mov_b32_e32 v0, 0
	v_mov_b32_e32 v1, v9
	s_and_b32 s4, s25, 3
	s_cmp_eq_u32 s4, 0
	s_cbranch_scc1 .LBB63_520
.LBB63_518:
	s_lshl_b32 s0, s24, 2
	s_add_u32 s0, s34, s0
	s_addc_u32 s1, s35, 0
	s_add_u32 s0, s0, 0xc4
	s_addc_u32 s1, s1, 0
	s_mul_i32 s2, s24, 12
	s_add_u32 s2, s34, s2
	s_addc_u32 s3, s35, 0
.LBB63_519:                             ; =>This Inner Loop Header: Depth=1
	s_load_dwordx2 s[6:7], s[2:3], 0x4
	s_load_dword s5, s[2:3], 0xc
	s_add_u32 s2, s2, 12
	s_addc_u32 s3, s3, 0
	s_waitcnt lgkmcnt(0)
	v_mul_hi_u32 v3, s7, v1
	s_load_dword s7, s[0:1], 0x0
	s_add_u32 s0, s0, 4
	s_addc_u32 s1, s1, 0
	v_add_u32_e32 v3, v1, v3
	v_lshrrev_b32_e32 v3, s5, v3
	v_mul_lo_u32 v5, v3, s6
	s_add_i32 s4, s4, -1
	s_cmp_lg_u32 s4, 0
	v_sub_u32_e32 v1, v1, v5
	s_waitcnt lgkmcnt(0)
	v_mad_u64_u32 v[0:1], s[6:7], v1, s7, v[0:1]
	v_mov_b32_e32 v1, v3
	s_cbranch_scc1 .LBB63_519
.LBB63_520:
	s_cbranch_execnz .LBB63_523
.LBB63_521:
	s_load_dwordx4 s[0:3], s[34:35], 0x4
	s_waitcnt lgkmcnt(0)
	s_load_dword s3, s[34:35], 0xc4
	s_cmp_lt_u32 s33, 2
	v_mul_hi_u32 v0, s1, v9
	v_add_u32_e32 v0, v9, v0
	v_lshrrev_b32_e32 v1, s2, v0
	v_mul_lo_u32 v0, v1, s0
	v_sub_u32_e32 v0, v9, v0
	s_waitcnt lgkmcnt(0)
	v_mul_lo_u32 v0, v0, s3
	s_cbranch_scc1 .LBB63_523
; %bb.522:
	s_load_dwordx4 s[0:3], s[34:35], 0x10
	s_waitcnt lgkmcnt(0)
	s_load_dword s3, s[34:35], 0xc8
	v_mul_hi_u32 v3, s1, v1
	v_add_u32_e32 v3, v1, v3
	v_lshrrev_b32_e32 v3, s2, v3
	v_mul_lo_u32 v3, v3, s0
	v_sub_u32_e32 v1, v1, v3
	s_waitcnt lgkmcnt(0)
	v_mad_u64_u32 v[0:1], s[0:1], v1, s3, v[0:1]
.LBB63_523:
	s_load_dwordx4 s[0:3], s[34:35], 0x108
	s_load_dword s6, s[34:35], 0x120
	s_load_dwordx2 s[4:5], s[34:35], 0x118
	s_waitcnt lgkmcnt(0)
	v_mov_b32_e32 v1, s1
	s_and_b32 s16, s6, 0xff
	v_add_co_u32_e32 v5, vcc, s0, v6
	s_cmp_lt_i32 s16, 11
	v_addc_co_u32_e32 v6, vcc, 0, v1, vcc
	s_cbranch_scc1 .LBB63_551
; %bb.524:
	s_and_b32 s14, 0xffff, s16
	s_mov_b64 s[8:9], -1
	s_mov_b64 s[10:11], 0
	s_cmp_gt_i32 s14, 25
	s_mov_b64 s[12:13], 0
	s_mov_b64 s[6:7], 0
	s_cbranch_scc0 .LBB63_561
; %bb.525:
	s_cmp_gt_i32 s14, 28
	s_cbranch_scc0 .LBB63_540
; %bb.526:
	s_cmp_gt_i32 s14, 43
	;; [unrolled: 3-line block ×3, first 2 shown]
	s_cbranch_scc0 .LBB63_530
; %bb.528:
	s_mov_b64 s[6:7], -1
	s_mov_b64 s[8:9], 0
	s_cmp_eq_u32 s14, 46
	s_cbranch_scc0 .LBB63_530
; %bb.529:
	v_cvt_f32_f64_e32 v3, s[4:5]
	v_cvt_f32_f64_e32 v1, s[2:3]
	v_mov_b32_e32 v9, 0x7fc00000
	s_mov_b64 s[6:7], 0
	v_bfe_u32 v8, v3, 16, 1
	v_add_u32_e32 v8, v3, v8
	v_bfe_u32 v7, v1, 16, 1
	v_add_u32_e32 v8, 0x7fff, v8
	v_add_u32_e32 v7, v1, v7
	v_and_b32_e32 v8, 0xffff0000, v8
	v_cmp_o_f32_e32 vcc, v3, v3
	v_add_u32_e32 v7, 0x7fff, v7
	v_cndmask_b32_e32 v3, v9, v8, vcc
	v_cmp_o_f32_e32 vcc, v1, v1
	v_mov_b32_e32 v1, 0x7fc0
	v_cndmask_b32_sdwa v1, v1, v7, vcc dst_sel:DWORD dst_unused:UNUSED_PAD src0_sel:DWORD src1_sel:WORD_1
	v_or_b32_e32 v1, v3, v1
	global_store_dword v[5:6], v1, off
	s_mov_b64 s[12:13], -1
.LBB63_530:
	s_and_b64 vcc, exec, s[8:9]
	s_cbranch_vccz .LBB63_535
; %bb.531:
	s_cmp_eq_u32 s14, 44
	s_mov_b64 s[6:7], -1
	s_cbranch_scc0 .LBB63_535
; %bb.532:
	v_cvt_f32_f64_e32 v1, s[2:3]
	v_mov_b32_e32 v3, 0xff
	v_readfirstlane_b32 s6, v1
	s_bfe_u32 s7, s6, 0x80017
	s_cmpk_eq_i32 s7, 0xff
	s_cbranch_scc1 .LBB63_534
; %bb.533:
	s_bitcmp1_b32 s6, 22
	s_cselect_b64 s[8:9], -1, 0
	s_and_b32 s6, s6, 0x3fffff
	s_or_b32 s6, s7, s6
	s_cmp_lg_u32 s6, 0
	s_cselect_b64 s[6:7], -1, 0
	s_and_b64 s[6:7], s[8:9], s[6:7]
	v_lshrrev_b32_e32 v1, 23, v1
	v_cndmask_b32_e64 v3, 0, 1, s[6:7]
	v_add_u32_e32 v3, v1, v3
.LBB63_534:
	s_mov_b64 s[6:7], 0
	s_mov_b64 s[12:13], -1
	global_store_byte v[5:6], v3, off
.LBB63_535:
	s_mov_b64 s[8:9], 0
.LBB63_536:
	s_and_b64 vcc, exec, s[8:9]
	s_cbranch_vccz .LBB63_539
; %bb.537:
	s_cmp_eq_u32 s14, 29
	s_mov_b64 s[6:7], -1
	s_cbranch_scc0 .LBB63_539
; %bb.538:
	v_trunc_f64_e32 v[7:8], s[2:3]
	s_movk_i32 s6, 0xffe0
	s_mov_b64 s[12:13], -1
	v_ldexp_f64 v[9:10], v[7:8], s6
	s_mov_b32 s6, 0
	s_mov_b32 s7, 0xc1f00000
	v_floor_f64_e32 v[9:10], v[9:10]
	v_fma_f64 v[7:8], v[9:10], s[6:7], v[7:8]
	v_cvt_u32_f64_e32 v9, v[9:10]
	s_mov_b64 s[6:7], 0
	v_cvt_u32_f64_e32 v8, v[7:8]
	global_store_dwordx2 v[5:6], v[8:9], off
.LBB63_539:
	s_mov_b64 s[8:9], 0
.LBB63_540:
	s_and_b64 vcc, exec, s[8:9]
	s_cbranch_vccz .LBB63_560
; %bb.541:
	s_cmp_lt_i32 s14, 27
	s_mov_b64 s[8:9], -1
	s_cbranch_scc1 .LBB63_547
; %bb.542:
	s_cmp_gt_i32 s14, 27
	s_cbranch_scc0 .LBB63_544
; %bb.543:
	v_cvt_u32_f64_e32 v1, s[2:3]
	s_mov_b64 s[8:9], 0
	global_store_dword v[5:6], v1, off
.LBB63_544:
	s_andn2_b64 vcc, exec, s[8:9]
	s_cbranch_vccnz .LBB63_546
; %bb.545:
	v_cvt_u32_f64_e32 v1, s[2:3]
	global_store_short v[5:6], v1, off
.LBB63_546:
	s_mov_b64 s[8:9], 0
.LBB63_547:
	s_andn2_b64 vcc, exec, s[8:9]
	s_cbranch_vccnz .LBB63_559
; %bb.548:
	v_cvt_f32_f64_e32 v1, s[2:3]
	v_mov_b32_e32 v3, 0x80
	v_readfirstlane_b32 s15, v1
	s_and_b32 s8, s15, 0x7fffffff
	s_cmp_gt_u32 s8, 0x437fffff
	s_cbranch_scc1 .LBB63_558
; %bb.549:
	s_cmp_gt_u32 s8, 0x3bffffff
	s_cbranch_scc0 .LBB63_553
; %bb.550:
	s_bfe_u32 s8, s15, 0x10014
	s_add_i32 s8, s15, s8
	s_add_i32 s8, s8, 0x487ffff
	s_lshr_b32 s17, s8, 20
	s_mov_b64 s[12:13], 0
	s_mov_b64 s[8:9], -1
	s_branch .LBB63_554
.LBB63_551:
	s_mov_b64 s[12:13], 0
	s_mov_b64 s[8:9], s[20:21]
	s_cbranch_execnz .LBB63_611
.LBB63_552:
	s_andn2_b64 vcc, exec, s[12:13]
	s_cbranch_vccz .LBB63_649
	s_branch .LBB63_947
.LBB63_553:
	s_mov_b64 s[12:13], -1
	s_mov_b64 s[8:9], 0
                                        ; implicit-def: $sgpr17
.LBB63_554:
	s_andn2_b64 vcc, exec, s[12:13]
	v_mov_b32_e32 v1, s17
	s_cbranch_vccnz .LBB63_556
; %bb.555:
	v_mov_b32_e32 v1, 0x46000000
	v_add_f32_e64 v1, |s15|, v1
	v_and_b32_e32 v1, 0xff, v1
	v_cmp_ne_u32_e64 s[8:9], 0, v1
.LBB63_556:
	s_andn2_b64 vcc, exec, s[8:9]
	v_mov_b32_e32 v3, 0
	s_cbranch_vccnz .LBB63_558
; %bb.557:
	s_lshr_b32 s8, s15, 24
	s_and_b32 s8, s8, 0x80
	v_or_b32_e32 v3, s8, v1
.LBB63_558:
	global_store_byte v[5:6], v3, off
.LBB63_559:
	s_mov_b64 s[12:13], -1
.LBB63_560:
	s_mov_b64 s[8:9], 0
.LBB63_561:
	s_and_b64 vcc, exec, s[8:9]
	s_cbranch_vccz .LBB63_607
; %bb.562:
	s_cmp_gt_i32 s14, 22
	s_mov_b64 s[8:9], -1
	s_cbranch_scc0 .LBB63_600
; %bb.563:
	s_cmp_lt_i32 s14, 24
	s_cbranch_scc1 .LBB63_587
; %bb.564:
	s_cmp_gt_i32 s14, 24
	s_cbranch_scc0 .LBB63_574
; %bb.565:
	v_cvt_f32_f64_e32 v1, s[2:3]
	v_mov_b32_e32 v3, 0x80
	v_readfirstlane_b32 s12, v1
	s_and_b32 s8, s12, 0x7fffffff
	s_cmp_gt_u32 s8, 0x477fffff
	s_cbranch_scc1 .LBB63_573
; %bb.566:
	s_cmp_gt_u32 s8, 0x37ffffff
	s_cbranch_scc0 .LBB63_568
; %bb.567:
	s_bfe_u32 s8, s12, 0x10015
	s_add_i32 s8, s12, s8
	s_add_i32 s8, s8, 0x88fffff
	s_lshr_b32 s13, s8, 21
	s_mov_b64 s[8:9], -1
	s_branch .LBB63_569
.LBB63_568:
	s_mov_b64 s[10:11], -1
	s_mov_b64 s[8:9], 0
                                        ; implicit-def: $sgpr13
.LBB63_569:
	s_andn2_b64 vcc, exec, s[10:11]
	v_mov_b32_e32 v1, s13
	s_cbranch_vccnz .LBB63_571
; %bb.570:
	v_mov_b32_e32 v1, 0x42800000
	v_add_f32_e64 v1, |s12|, v1
	v_and_b32_e32 v1, 0xff, v1
	v_cmp_ne_u32_e64 s[8:9], 0, v1
.LBB63_571:
	s_andn2_b64 vcc, exec, s[8:9]
	v_mov_b32_e32 v3, 0
	s_cbranch_vccnz .LBB63_573
; %bb.572:
	s_lshr_b32 s8, s12, 24
	s_and_b32 s8, s8, 0x80
	v_or_b32_e32 v3, s8, v1
.LBB63_573:
	s_mov_b64 s[8:9], 0
	global_store_byte v[5:6], v3, off
.LBB63_574:
	s_and_b64 vcc, exec, s[8:9]
	s_cbranch_vccz .LBB63_586
; %bb.575:
	v_cvt_f32_f64_e32 v1, s[2:3]
	v_readfirstlane_b32 s10, v1
	s_and_b32 s11, s10, 0x7fffffff
	s_cmp_lt_u32 s11, 0x43f00000
	s_cbranch_scc0 .LBB63_578
; %bb.576:
	s_cmp_gt_u32 s11, 0x3c7fffff
	s_cbranch_scc0 .LBB63_579
; %bb.577:
	s_bfe_u32 s8, s10, 0x10014
	s_add_i32 s8, s10, s8
	s_add_i32 s8, s8, 0x407ffff
	s_lshr_b32 s9, s8, 20
	s_and_b32 s8, s8, 0xff00000
	s_cmp_lg_u32 s8, 0x7f00000
	s_cselect_b32 s12, s9, 0x7e
	s_mov_b64 s[8:9], 0
	s_branch .LBB63_580
.LBB63_578:
	s_mov_b64 s[8:9], -1
                                        ; implicit-def: $vgpr3
	s_branch .LBB63_583
.LBB63_579:
	s_mov_b64 s[8:9], -1
                                        ; implicit-def: $sgpr12
.LBB63_580:
	s_andn2_b64 vcc, exec, s[8:9]
	v_mov_b32_e32 v3, s12
	s_cbranch_vccnz .LBB63_582
; %bb.581:
	s_mov_b32 s8, 0x46800000
	v_add_f32_e64 v3, |v1|, s8
.LBB63_582:
	s_mov_b64 s[8:9], 0
.LBB63_583:
	s_andn2_b64 vcc, exec, s[8:9]
	s_cbranch_vccnz .LBB63_585
; %bb.584:
	s_cmp_gt_u32 s11, 0x7f800000
	s_movk_i32 s8, 0x7f
	s_cselect_b32 s8, s8, 0x7e
	v_mov_b32_e32 v3, s8
.LBB63_585:
	s_lshr_b32 s8, s10, 24
	s_and_b32 s8, s8, 0x80
	v_or_b32_e32 v1, s8, v3
	global_store_byte v[5:6], v1, off
.LBB63_586:
	s_mov_b64 s[8:9], 0
.LBB63_587:
	s_andn2_b64 vcc, exec, s[8:9]
	s_cbranch_vccnz .LBB63_599
; %bb.588:
	v_cvt_f32_f64_e32 v1, s[2:3]
	v_readfirstlane_b32 s10, v1
	s_and_b32 s11, s10, 0x7fffffff
	s_cmp_lt_u32 s11, 0x47800000
	s_cbranch_scc0 .LBB63_591
; %bb.589:
	s_cmp_gt_u32 s11, 0x387fffff
	s_cbranch_scc0 .LBB63_592
; %bb.590:
	s_bfe_u32 s8, s10, 0x10015
	s_add_i32 s8, s10, s8
	s_add_i32 s8, s8, 0x80fffff
	s_lshr_b32 s12, s8, 21
	s_mov_b64 s[8:9], 0
	s_branch .LBB63_593
.LBB63_591:
	s_mov_b64 s[8:9], -1
                                        ; implicit-def: $vgpr3
	s_branch .LBB63_596
.LBB63_592:
	s_mov_b64 s[8:9], -1
                                        ; implicit-def: $sgpr12
.LBB63_593:
	s_andn2_b64 vcc, exec, s[8:9]
	v_mov_b32_e32 v3, s12
	s_cbranch_vccnz .LBB63_595
; %bb.594:
	s_mov_b32 s8, 0x43000000
	v_add_f32_e64 v3, |v1|, s8
.LBB63_595:
	s_mov_b64 s[8:9], 0
.LBB63_596:
	s_andn2_b64 vcc, exec, s[8:9]
	s_cbranch_vccnz .LBB63_598
; %bb.597:
	s_cmp_gt_u32 s11, 0x7f800000
	s_movk_i32 s8, 0x7f
	s_cselect_b32 s8, s8, 0x7c
	v_mov_b32_e32 v3, s8
.LBB63_598:
	s_lshr_b32 s8, s10, 24
	s_and_b32 s8, s8, 0x80
	v_or_b32_e32 v1, s8, v3
	global_store_byte v[5:6], v1, off
.LBB63_599:
	s_mov_b64 s[8:9], 0
	s_mov_b64 s[12:13], -1
.LBB63_600:
	s_andn2_b64 vcc, exec, s[8:9]
	s_mov_b64 s[10:11], 0
	s_cbranch_vccnz .LBB63_607
; %bb.601:
	s_cmp_gt_i32 s14, 14
	s_mov_b64 s[8:9], -1
	s_cbranch_scc0 .LBB63_605
; %bb.602:
	s_cmp_eq_u32 s14, 15
	s_mov_b64 s[6:7], -1
	s_cbranch_scc0 .LBB63_604
; %bb.603:
	v_cvt_f32_f64_e32 v1, s[2:3]
	v_mov_b32_e32 v3, 0x7fc0
	s_mov_b64 s[6:7], 0
	s_mov_b64 s[12:13], -1
	v_bfe_u32 v7, v1, 16, 1
	v_cmp_o_f32_e32 vcc, v1, v1
	v_add_u32_e32 v1, v1, v7
	v_add_u32_e32 v1, 0x7fff, v1
	v_cndmask_b32_sdwa v1, v3, v1, vcc dst_sel:DWORD dst_unused:UNUSED_PAD src0_sel:DWORD src1_sel:WORD_1
	global_store_short v[5:6], v1, off
.LBB63_604:
	s_mov_b64 s[8:9], 0
.LBB63_605:
	s_and_b64 vcc, exec, s[8:9]
	s_cbranch_vccz .LBB63_607
; %bb.606:
	s_cmp_lg_u32 s14, 11
	s_mov_b64 s[10:11], -1
	s_cselect_b64 s[6:7], -1, 0
.LBB63_607:
	s_and_b64 vcc, exec, s[6:7]
	s_mov_b64 s[8:9], s[20:21]
	s_cbranch_vccnz .LBB63_679
; %bb.608:
	s_andn2_b64 vcc, exec, s[10:11]
	s_cbranch_vccnz .LBB63_610
.LBB63_609:
	v_cmp_neq_f64_e64 s[6:7], s[2:3], 0
	v_cmp_neq_f64_e64 s[10:11], s[4:5], 0
	s_mov_b64 s[12:13], -1
	s_or_b64 s[6:7], s[6:7], s[10:11]
	v_cndmask_b32_e64 v1, 0, 1, s[6:7]
	global_store_byte v[5:6], v1, off
.LBB63_610:
	s_branch .LBB63_552
.LBB63_611:
	s_and_b32 s10, 0xffff, s16
	s_cmp_lt_i32 s10, 5
	s_mov_b64 s[6:7], -1
	s_cbranch_scc1 .LBB63_632
; %bb.612:
	s_cmp_lt_i32 s10, 8
	s_cbranch_scc1 .LBB63_622
; %bb.613:
	s_cmp_lt_i32 s10, 9
	s_cbranch_scc1 .LBB63_619
; %bb.614:
	s_cmp_gt_i32 s10, 9
	s_cbranch_scc0 .LBB63_616
; %bb.615:
	v_mov_b32_e32 v7, s2
	v_mov_b32_e32 v8, s3
	;; [unrolled: 1-line block ×4, first 2 shown]
	global_store_dwordx4 v[5:6], v[7:10], off
	s_mov_b64 s[6:7], 0
.LBB63_616:
	s_andn2_b64 vcc, exec, s[6:7]
	s_cbranch_vccnz .LBB63_618
; %bb.617:
	v_cvt_f32_f64_e32 v7, s[2:3]
	v_cvt_f32_f64_e32 v8, s[4:5]
	global_store_dwordx2 v[5:6], v[7:8], off
.LBB63_618:
	s_mov_b64 s[6:7], 0
.LBB63_619:
	s_andn2_b64 vcc, exec, s[6:7]
	s_cbranch_vccnz .LBB63_621
; %bb.620:
	s_lshr_b32 s6, s3, 8
	s_and_b32 s11, s6, 0xffe
	s_and_b32 s6, s3, 0x1ff
	s_or_b32 s6, s6, s2
	s_cmp_lg_u32 s6, 0
	s_cselect_b64 s[6:7], -1, 0
	v_cndmask_b32_e64 v1, 0, 1, s[6:7]
	v_readfirstlane_b32 s6, v1
	s_or_b32 s6, s11, s6
	s_bfe_u32 s11, s3, 0xb0014
	s_sub_i32 s12, 0x3f1, s11
	v_med3_i32 v1, s12, 0, 13
	s_or_b32 s7, s6, 0x1000
	v_readfirstlane_b32 s12, v1
	s_lshr_b32 s13, s7, s12
	s_lshl_b32 s12, s13, s12
	s_cmp_lg_u32 s12, s7
	s_cselect_b32 s7, 1, 0
	s_addk_i32 s11, 0xfc10
	s_lshl_b32 s12, s11, 12
	s_or_b32 s7, s13, s7
	s_or_b32 s12, s6, s12
	s_cmp_lt_i32 s11, 1
	s_cselect_b32 s7, s7, s12
	s_and_b32 s12, s7, 7
	s_cmp_gt_i32 s12, 5
	s_cselect_b32 s13, 1, 0
	s_cmp_eq_u32 s12, 3
	s_cselect_b32 s12, 1, 0
	s_or_b32 s12, s12, s13
	s_lshr_b32 s7, s7, 2
	s_add_i32 s7, s7, s12
	s_cmp_lt_i32 s11, 31
	s_cselect_b32 s7, s7, 0x7c00
	s_cmp_lg_u32 s6, 0
	s_movk_i32 s12, 0x7e00
	s_cselect_b32 s6, s12, 0x7c00
	s_cmpk_eq_i32 s11, 0x40f
	s_cselect_b32 s6, s6, s7
	s_lshr_b32 s7, s3, 16
	s_and_b32 s7, s7, 0x8000
	s_or_b32 s11, s7, s6
	s_lshr_b32 s6, s5, 8
	s_and_b32 s13, s6, 0xffe
	s_and_b32 s6, s5, 0x1ff
	s_or_b32 s6, s6, s4
	s_cmp_lg_u32 s6, 0
	s_cselect_b64 s[6:7], -1, 0
	v_cndmask_b32_e64 v1, 0, 1, s[6:7]
	v_readfirstlane_b32 s6, v1
	s_or_b32 s6, s13, s6
	s_bfe_u32 s13, s5, 0xb0014
	s_sub_i32 s14, 0x3f1, s13
	v_med3_i32 v1, s14, 0, 13
	s_or_b32 s7, s6, 0x1000
	v_readfirstlane_b32 s14, v1
	s_lshr_b32 s15, s7, s14
	s_lshl_b32 s14, s15, s14
	s_cmp_lg_u32 s14, s7
	s_cselect_b32 s7, 1, 0
	s_addk_i32 s13, 0xfc10
	s_lshl_b32 s14, s13, 12
	s_or_b32 s7, s15, s7
	s_or_b32 s14, s6, s14
	s_cmp_lt_i32 s13, 1
	s_cselect_b32 s7, s7, s14
	s_and_b32 s14, s7, 7
	s_cmp_gt_i32 s14, 5
	s_cselect_b32 s15, 1, 0
	s_cmp_eq_u32 s14, 3
	s_cselect_b32 s14, 1, 0
	s_or_b32 s14, s14, s15
	s_lshr_b32 s7, s7, 2
	s_add_i32 s7, s7, s14
	s_cmp_lt_i32 s13, 31
	s_cselect_b32 s7, s7, 0x7c00
	s_cmp_lg_u32 s6, 0
	s_cselect_b32 s6, s12, 0x7c00
	s_cmpk_eq_i32 s13, 0x40f
	s_cselect_b32 s6, s6, s7
	s_lshr_b32 s7, s5, 16
	s_and_b32 s7, s7, 0x8000
	s_or_b32 s6, s7, s6
	s_lshl_b32 s6, s6, 16
	s_and_b32 s7, s11, 0xffff
	s_or_b32 s6, s6, s7
	v_mov_b32_e32 v1, s6
	global_store_dword v[5:6], v1, off
.LBB63_621:
	s_mov_b64 s[6:7], 0
.LBB63_622:
	s_andn2_b64 vcc, exec, s[6:7]
	s_cbranch_vccnz .LBB63_631
; %bb.623:
	s_cmp_lt_i32 s10, 6
	s_mov_b64 s[6:7], -1
	s_cbranch_scc1 .LBB63_629
; %bb.624:
	s_cmp_gt_i32 s10, 6
	s_cbranch_scc0 .LBB63_626
; %bb.625:
	v_mov_b32_e32 v8, s3
	v_mov_b32_e32 v7, s2
	global_store_dwordx2 v[5:6], v[7:8], off
	s_mov_b64 s[6:7], 0
.LBB63_626:
	s_andn2_b64 vcc, exec, s[6:7]
	s_cbranch_vccnz .LBB63_628
; %bb.627:
	v_cvt_f32_f64_e32 v1, s[2:3]
	global_store_dword v[5:6], v1, off
.LBB63_628:
	s_mov_b64 s[6:7], 0
.LBB63_629:
	s_andn2_b64 vcc, exec, s[6:7]
	s_cbranch_vccnz .LBB63_631
; %bb.630:
	s_lshr_b32 s6, s3, 8
	s_and_b32 s11, s6, 0xffe
	s_and_b32 s6, s3, 0x1ff
	s_or_b32 s6, s6, s2
	s_cmp_lg_u32 s6, 0
	s_cselect_b64 s[6:7], -1, 0
	v_cndmask_b32_e64 v1, 0, 1, s[6:7]
	v_readfirstlane_b32 s6, v1
	s_or_b32 s6, s11, s6
	s_bfe_u32 s11, s3, 0xb0014
	s_sub_i32 s12, 0x3f1, s11
	v_med3_i32 v1, s12, 0, 13
	s_or_b32 s7, s6, 0x1000
	v_readfirstlane_b32 s12, v1
	s_lshr_b32 s13, s7, s12
	s_lshl_b32 s12, s13, s12
	s_cmp_lg_u32 s12, s7
	s_cselect_b32 s7, 1, 0
	s_addk_i32 s11, 0xfc10
	s_lshl_b32 s12, s11, 12
	s_or_b32 s7, s13, s7
	s_or_b32 s12, s6, s12
	s_cmp_lt_i32 s11, 1
	s_cselect_b32 s7, s7, s12
	s_and_b32 s12, s7, 7
	s_cmp_gt_i32 s12, 5
	s_cselect_b32 s13, 1, 0
	s_cmp_eq_u32 s12, 3
	s_cselect_b32 s12, 1, 0
	s_or_b32 s12, s12, s13
	s_lshr_b32 s7, s7, 2
	s_add_i32 s7, s7, s12
	s_cmp_lt_i32 s11, 31
	s_cselect_b32 s7, s7, 0x7c00
	s_cmp_lg_u32 s6, 0
	s_movk_i32 s6, 0x7e00
	s_cselect_b32 s6, s6, 0x7c00
	s_cmpk_eq_i32 s11, 0x40f
	s_cselect_b32 s6, s6, s7
	s_lshr_b32 s7, s3, 16
	s_and_b32 s7, s7, 0x8000
	s_or_b32 s6, s7, s6
	v_mov_b32_e32 v1, s6
	global_store_short v[5:6], v1, off
.LBB63_631:
	s_mov_b64 s[6:7], 0
.LBB63_632:
	s_andn2_b64 vcc, exec, s[6:7]
	s_cbranch_vccnz .LBB63_648
; %bb.633:
	s_cmp_lt_i32 s10, 2
	s_mov_b64 s[6:7], -1
	s_cbranch_scc1 .LBB63_643
; %bb.634:
	s_cmp_lt_i32 s10, 3
	s_cbranch_scc1 .LBB63_640
; %bb.635:
	s_cmp_gt_i32 s10, 3
	s_cbranch_scc0 .LBB63_637
; %bb.636:
	v_trunc_f64_e32 v[7:8], s[2:3]
	s_movk_i32 s6, 0xffe0
	v_ldexp_f64 v[9:10], v[7:8], s6
	s_mov_b32 s6, 0
	s_mov_b32 s7, 0xc1f00000
	v_floor_f64_e32 v[9:10], v[9:10]
	v_fma_f64 v[7:8], v[9:10], s[6:7], v[7:8]
	v_cvt_i32_f64_e32 v9, v[9:10]
	s_mov_b64 s[6:7], 0
	v_cvt_u32_f64_e32 v8, v[7:8]
	global_store_dwordx2 v[5:6], v[8:9], off
.LBB63_637:
	s_andn2_b64 vcc, exec, s[6:7]
	s_cbranch_vccnz .LBB63_639
; %bb.638:
	v_cvt_i32_f64_e32 v1, s[2:3]
	global_store_dword v[5:6], v1, off
.LBB63_639:
	s_mov_b64 s[6:7], 0
.LBB63_640:
	s_andn2_b64 vcc, exec, s[6:7]
	s_cbranch_vccnz .LBB63_642
; %bb.641:
	v_cvt_i32_f64_e32 v1, s[2:3]
	global_store_short v[5:6], v1, off
.LBB63_642:
	s_mov_b64 s[6:7], 0
.LBB63_643:
	s_andn2_b64 vcc, exec, s[6:7]
	s_cbranch_vccnz .LBB63_648
; %bb.644:
	s_cmp_gt_i32 s10, 0
	s_mov_b64 s[6:7], -1
	s_cbranch_scc0 .LBB63_646
; %bb.645:
	v_cvt_i32_f64_e32 v1, s[2:3]
	s_mov_b64 s[6:7], 0
	global_store_byte v[5:6], v1, off
.LBB63_646:
	s_andn2_b64 vcc, exec, s[6:7]
	s_cbranch_vccnz .LBB63_648
; %bb.647:
	v_trunc_f64_e32 v[7:8], s[2:3]
	s_movk_i32 s6, 0xffe0
	v_ldexp_f64 v[9:10], v[7:8], s6
	s_mov_b32 s6, 0
	s_mov_b32 s7, 0xc1f00000
	v_floor_f64_e32 v[9:10], v[9:10]
	v_fma_f64 v[7:8], v[9:10], s[6:7], v[7:8]
	v_cvt_u32_f64_e32 v1, v[7:8]
	global_store_byte v[5:6], v1, off
.LBB63_648:
.LBB63_649:
	v_mov_b32_e32 v1, s1
	s_and_b32 s17, 0xffff, s16
	v_add_co_u32_e32 v3, vcc, s0, v4
	s_cmp_lt_i32 s17, 11
	v_addc_co_u32_e32 v4, vcc, 0, v1, vcc
	s_cbranch_scc1 .LBB63_677
; %bb.650:
	s_mov_b64 s[14:15], -1
	s_mov_b64 s[10:11], 0
	s_cmp_gt_i32 s17, 25
	s_mov_b64 s[12:13], 0
	s_mov_b64 s[6:7], 0
	s_cbranch_scc0 .LBB63_688
; %bb.651:
	s_cmp_gt_i32 s17, 28
	s_cbranch_scc0 .LBB63_666
; %bb.652:
	s_cmp_gt_i32 s17, 43
	;; [unrolled: 3-line block ×3, first 2 shown]
	s_cbranch_scc0 .LBB63_656
; %bb.654:
	s_mov_b64 s[6:7], -1
	s_mov_b64 s[14:15], 0
	s_cmp_eq_u32 s17, 46
	s_cbranch_scc0 .LBB63_656
; %bb.655:
	v_cvt_f32_f64_e32 v5, s[4:5]
	v_cvt_f32_f64_e32 v1, s[2:3]
	v_mov_b32_e32 v8, 0x7fc00000
	s_mov_b64 s[6:7], 0
	v_bfe_u32 v7, v5, 16, 1
	v_add_u32_e32 v7, v5, v7
	v_bfe_u32 v6, v1, 16, 1
	v_add_u32_e32 v7, 0x7fff, v7
	v_add_u32_e32 v6, v1, v6
	v_and_b32_e32 v7, 0xffff0000, v7
	v_cmp_o_f32_e32 vcc, v5, v5
	v_add_u32_e32 v6, 0x7fff, v6
	v_cndmask_b32_e32 v5, v8, v7, vcc
	v_cmp_o_f32_e32 vcc, v1, v1
	v_mov_b32_e32 v1, 0x7fc0
	v_cndmask_b32_sdwa v1, v1, v6, vcc dst_sel:DWORD dst_unused:UNUSED_PAD src0_sel:DWORD src1_sel:WORD_1
	v_or_b32_e32 v1, v5, v1
	global_store_dword v[3:4], v1, off
	s_mov_b64 s[12:13], -1
.LBB63_656:
	s_and_b64 vcc, exec, s[14:15]
	s_cbranch_vccz .LBB63_661
; %bb.657:
	s_cmp_eq_u32 s17, 44
	s_mov_b64 s[6:7], -1
	s_cbranch_scc0 .LBB63_661
; %bb.658:
	v_cvt_f32_f64_e32 v1, s[2:3]
	v_mov_b32_e32 v5, 0xff
	v_readfirstlane_b32 s6, v1
	s_bfe_u32 s7, s6, 0x80017
	s_cmpk_eq_i32 s7, 0xff
	s_cbranch_scc1 .LBB63_660
; %bb.659:
	s_bitcmp1_b32 s6, 22
	s_cselect_b64 s[12:13], -1, 0
	s_and_b32 s6, s6, 0x3fffff
	s_or_b32 s6, s7, s6
	s_cmp_lg_u32 s6, 0
	s_cselect_b64 s[6:7], -1, 0
	s_and_b64 s[6:7], s[12:13], s[6:7]
	v_lshrrev_b32_e32 v1, 23, v1
	v_cndmask_b32_e64 v5, 0, 1, s[6:7]
	v_add_u32_e32 v5, v1, v5
.LBB63_660:
	s_mov_b64 s[6:7], 0
	s_mov_b64 s[12:13], -1
	global_store_byte v[3:4], v5, off
.LBB63_661:
	s_mov_b64 s[14:15], 0
.LBB63_662:
	s_and_b64 vcc, exec, s[14:15]
	s_cbranch_vccz .LBB63_665
; %bb.663:
	s_cmp_eq_u32 s17, 29
	s_mov_b64 s[6:7], -1
	s_cbranch_scc0 .LBB63_665
; %bb.664:
	v_trunc_f64_e32 v[5:6], s[2:3]
	s_movk_i32 s6, 0xffe0
	s_mov_b64 s[12:13], -1
	v_ldexp_f64 v[7:8], v[5:6], s6
	s_mov_b32 s6, 0
	s_mov_b32 s7, 0xc1f00000
	v_floor_f64_e32 v[7:8], v[7:8]
	v_fma_f64 v[5:6], v[7:8], s[6:7], v[5:6]
	v_cvt_u32_f64_e32 v7, v[7:8]
	s_mov_b64 s[6:7], 0
	v_cvt_u32_f64_e32 v6, v[5:6]
	global_store_dwordx2 v[3:4], v[6:7], off
.LBB63_665:
	s_mov_b64 s[14:15], 0
.LBB63_666:
	s_and_b64 vcc, exec, s[14:15]
	s_cbranch_vccz .LBB63_687
; %bb.667:
	s_cmp_lt_i32 s17, 27
	s_mov_b64 s[12:13], -1
	s_cbranch_scc1 .LBB63_673
; %bb.668:
	s_cmp_gt_i32 s17, 27
	s_cbranch_scc0 .LBB63_670
; %bb.669:
	v_cvt_u32_f64_e32 v1, s[2:3]
	s_mov_b64 s[12:13], 0
	global_store_dword v[3:4], v1, off
.LBB63_670:
	s_andn2_b64 vcc, exec, s[12:13]
	s_cbranch_vccnz .LBB63_672
; %bb.671:
	v_cvt_u32_f64_e32 v1, s[2:3]
	global_store_short v[3:4], v1, off
.LBB63_672:
	s_mov_b64 s[12:13], 0
.LBB63_673:
	s_andn2_b64 vcc, exec, s[12:13]
	s_cbranch_vccnz .LBB63_686
; %bb.674:
	v_cvt_f32_f64_e32 v1, s[2:3]
	v_mov_b32_e32 v5, 0x80
	v_readfirstlane_b32 s18, v1
	s_and_b32 s12, s18, 0x7fffffff
	s_cmp_gt_u32 s12, 0x437fffff
	s_cbranch_scc1 .LBB63_685
; %bb.675:
	s_cmp_gt_u32 s12, 0x3bffffff
	s_cbranch_scc0 .LBB63_680
; %bb.676:
	s_bfe_u32 s12, s18, 0x10014
	s_add_i32 s12, s18, s12
	s_add_i32 s12, s12, 0x487ffff
	s_lshr_b32 s19, s12, 20
	s_mov_b64 s[14:15], 0
	s_mov_b64 s[12:13], -1
	s_branch .LBB63_681
.LBB63_677:
	s_mov_b64 s[12:13], 0
	s_cbranch_execnz .LBB63_738
.LBB63_678:
	s_andn2_b64 vcc, exec, s[12:13]
	s_cbranch_vccz .LBB63_776
	s_branch .LBB63_947
.LBB63_679:
	s_or_b64 s[8:9], s[20:21], exec
	s_trap 2
	s_cbranch_execz .LBB63_609
	s_branch .LBB63_610
.LBB63_680:
	s_mov_b64 s[14:15], -1
	s_mov_b64 s[12:13], 0
                                        ; implicit-def: $sgpr19
.LBB63_681:
	s_andn2_b64 vcc, exec, s[14:15]
	v_mov_b32_e32 v1, s19
	s_cbranch_vccnz .LBB63_683
; %bb.682:
	v_mov_b32_e32 v1, 0x46000000
	v_add_f32_e64 v1, |s18|, v1
	v_and_b32_e32 v1, 0xff, v1
	v_cmp_ne_u32_e64 s[12:13], 0, v1
.LBB63_683:
	s_andn2_b64 vcc, exec, s[12:13]
	v_mov_b32_e32 v5, 0
	s_cbranch_vccnz .LBB63_685
; %bb.684:
	s_lshr_b32 s12, s18, 24
	s_and_b32 s12, s12, 0x80
	v_or_b32_e32 v5, s12, v1
.LBB63_685:
	global_store_byte v[3:4], v5, off
.LBB63_686:
	s_mov_b64 s[12:13], -1
.LBB63_687:
	s_mov_b64 s[14:15], 0
.LBB63_688:
	s_and_b64 vcc, exec, s[14:15]
	s_cbranch_vccz .LBB63_734
; %bb.689:
	s_cmp_gt_i32 s17, 22
	s_mov_b64 s[10:11], -1
	s_cbranch_scc0 .LBB63_727
; %bb.690:
	s_cmp_lt_i32 s17, 24
	s_cbranch_scc1 .LBB63_714
; %bb.691:
	s_cmp_gt_i32 s17, 24
	s_cbranch_scc0 .LBB63_701
; %bb.692:
	v_cvt_f32_f64_e32 v1, s[2:3]
	v_mov_b32_e32 v5, 0x80
	v_readfirstlane_b32 s14, v1
	s_and_b32 s10, s14, 0x7fffffff
	s_cmp_gt_u32 s10, 0x477fffff
	s_cbranch_scc1 .LBB63_700
; %bb.693:
	s_cmp_gt_u32 s10, 0x37ffffff
	s_cbranch_scc0 .LBB63_695
; %bb.694:
	s_bfe_u32 s10, s14, 0x10015
	s_add_i32 s10, s14, s10
	s_add_i32 s10, s10, 0x88fffff
	s_lshr_b32 s15, s10, 21
	s_mov_b64 s[12:13], 0
	s_mov_b64 s[10:11], -1
	s_branch .LBB63_696
.LBB63_695:
	s_mov_b64 s[12:13], -1
	s_mov_b64 s[10:11], 0
                                        ; implicit-def: $sgpr15
.LBB63_696:
	s_andn2_b64 vcc, exec, s[12:13]
	v_mov_b32_e32 v1, s15
	s_cbranch_vccnz .LBB63_698
; %bb.697:
	v_mov_b32_e32 v1, 0x42800000
	v_add_f32_e64 v1, |s14|, v1
	v_and_b32_e32 v1, 0xff, v1
	v_cmp_ne_u32_e64 s[10:11], 0, v1
.LBB63_698:
	s_andn2_b64 vcc, exec, s[10:11]
	v_mov_b32_e32 v5, 0
	s_cbranch_vccnz .LBB63_700
; %bb.699:
	s_lshr_b32 s10, s14, 24
	s_and_b32 s10, s10, 0x80
	v_or_b32_e32 v5, s10, v1
.LBB63_700:
	s_mov_b64 s[10:11], 0
	global_store_byte v[3:4], v5, off
.LBB63_701:
	s_and_b64 vcc, exec, s[10:11]
	s_cbranch_vccz .LBB63_713
; %bb.702:
	v_cvt_f32_f64_e32 v1, s[2:3]
	v_readfirstlane_b32 s12, v1
	s_and_b32 s13, s12, 0x7fffffff
	s_cmp_lt_u32 s13, 0x43f00000
	s_cbranch_scc0 .LBB63_705
; %bb.703:
	s_cmp_gt_u32 s13, 0x3c7fffff
	s_cbranch_scc0 .LBB63_706
; %bb.704:
	s_bfe_u32 s10, s12, 0x10014
	s_add_i32 s10, s12, s10
	s_add_i32 s10, s10, 0x407ffff
	s_lshr_b32 s11, s10, 20
	s_and_b32 s10, s10, 0xff00000
	s_cmp_lg_u32 s10, 0x7f00000
	s_cselect_b32 s14, s11, 0x7e
	s_mov_b64 s[10:11], 0
	s_branch .LBB63_707
.LBB63_705:
	s_mov_b64 s[10:11], -1
                                        ; implicit-def: $vgpr5
	s_branch .LBB63_710
.LBB63_706:
	s_mov_b64 s[10:11], -1
                                        ; implicit-def: $sgpr14
.LBB63_707:
	s_andn2_b64 vcc, exec, s[10:11]
	v_mov_b32_e32 v5, s14
	s_cbranch_vccnz .LBB63_709
; %bb.708:
	s_mov_b32 s10, 0x46800000
	v_add_f32_e64 v5, |v1|, s10
.LBB63_709:
	s_mov_b64 s[10:11], 0
.LBB63_710:
	s_andn2_b64 vcc, exec, s[10:11]
	s_cbranch_vccnz .LBB63_712
; %bb.711:
	s_cmp_gt_u32 s13, 0x7f800000
	s_movk_i32 s10, 0x7f
	s_cselect_b32 s10, s10, 0x7e
	v_mov_b32_e32 v5, s10
.LBB63_712:
	s_lshr_b32 s10, s12, 24
	s_and_b32 s10, s10, 0x80
	v_or_b32_e32 v1, s10, v5
	global_store_byte v[3:4], v1, off
.LBB63_713:
	s_mov_b64 s[10:11], 0
.LBB63_714:
	s_andn2_b64 vcc, exec, s[10:11]
	s_cbranch_vccnz .LBB63_726
; %bb.715:
	v_cvt_f32_f64_e32 v1, s[2:3]
	v_readfirstlane_b32 s12, v1
	s_and_b32 s13, s12, 0x7fffffff
	s_cmp_lt_u32 s13, 0x47800000
	s_cbranch_scc0 .LBB63_718
; %bb.716:
	s_cmp_gt_u32 s13, 0x387fffff
	s_cbranch_scc0 .LBB63_719
; %bb.717:
	s_bfe_u32 s10, s12, 0x10015
	s_add_i32 s10, s12, s10
	s_add_i32 s10, s10, 0x80fffff
	s_lshr_b32 s14, s10, 21
	s_mov_b64 s[10:11], 0
	s_branch .LBB63_720
.LBB63_718:
	s_mov_b64 s[10:11], -1
                                        ; implicit-def: $vgpr5
	s_branch .LBB63_723
.LBB63_719:
	s_mov_b64 s[10:11], -1
                                        ; implicit-def: $sgpr14
.LBB63_720:
	s_andn2_b64 vcc, exec, s[10:11]
	v_mov_b32_e32 v5, s14
	s_cbranch_vccnz .LBB63_722
; %bb.721:
	s_mov_b32 s10, 0x43000000
	v_add_f32_e64 v5, |v1|, s10
.LBB63_722:
	s_mov_b64 s[10:11], 0
.LBB63_723:
	s_andn2_b64 vcc, exec, s[10:11]
	s_cbranch_vccnz .LBB63_725
; %bb.724:
	s_cmp_gt_u32 s13, 0x7f800000
	s_movk_i32 s10, 0x7f
	s_cselect_b32 s10, s10, 0x7c
	v_mov_b32_e32 v5, s10
.LBB63_725:
	s_lshr_b32 s10, s12, 24
	s_and_b32 s10, s10, 0x80
	v_or_b32_e32 v1, s10, v5
	global_store_byte v[3:4], v1, off
.LBB63_726:
	s_mov_b64 s[10:11], 0
	s_mov_b64 s[12:13], -1
.LBB63_727:
	s_andn2_b64 vcc, exec, s[10:11]
	s_mov_b64 s[10:11], 0
	s_cbranch_vccnz .LBB63_734
; %bb.728:
	s_cmp_gt_i32 s17, 14
	s_mov_b64 s[14:15], -1
	s_cbranch_scc0 .LBB63_732
; %bb.729:
	s_cmp_eq_u32 s17, 15
	s_mov_b64 s[6:7], -1
	s_cbranch_scc0 .LBB63_731
; %bb.730:
	v_cvt_f32_f64_e32 v1, s[2:3]
	v_mov_b32_e32 v5, 0x7fc0
	s_mov_b64 s[6:7], 0
	s_mov_b64 s[12:13], -1
	v_bfe_u32 v6, v1, 16, 1
	v_cmp_o_f32_e32 vcc, v1, v1
	v_add_u32_e32 v1, v1, v6
	v_add_u32_e32 v1, 0x7fff, v1
	v_cndmask_b32_sdwa v1, v5, v1, vcc dst_sel:DWORD dst_unused:UNUSED_PAD src0_sel:DWORD src1_sel:WORD_1
	global_store_short v[3:4], v1, off
.LBB63_731:
	s_mov_b64 s[14:15], 0
.LBB63_732:
	s_and_b64 vcc, exec, s[14:15]
	s_cbranch_vccz .LBB63_734
; %bb.733:
	s_cmp_lg_u32 s17, 11
	s_mov_b64 s[10:11], -1
	s_cselect_b64 s[6:7], -1, 0
.LBB63_734:
	s_and_b64 vcc, exec, s[6:7]
	s_cbranch_vccnz .LBB63_836
; %bb.735:
	s_andn2_b64 vcc, exec, s[10:11]
	s_cbranch_vccnz .LBB63_737
.LBB63_736:
	v_cmp_neq_f64_e64 s[6:7], s[2:3], 0
	v_cmp_neq_f64_e64 s[10:11], s[4:5], 0
	s_mov_b64 s[12:13], -1
	s_or_b64 s[6:7], s[6:7], s[10:11]
	v_cndmask_b32_e64 v1, 0, 1, s[6:7]
	global_store_byte v[3:4], v1, off
.LBB63_737:
	s_branch .LBB63_678
.LBB63_738:
	s_cmp_lt_i32 s17, 5
	s_mov_b64 s[6:7], -1
	s_cbranch_scc1 .LBB63_759
; %bb.739:
	s_cmp_lt_i32 s17, 8
	s_cbranch_scc1 .LBB63_749
; %bb.740:
	s_cmp_lt_i32 s17, 9
	s_cbranch_scc1 .LBB63_746
; %bb.741:
	s_cmp_gt_i32 s17, 9
	s_cbranch_scc0 .LBB63_743
; %bb.742:
	v_mov_b32_e32 v5, s2
	v_mov_b32_e32 v6, s3
	;; [unrolled: 1-line block ×4, first 2 shown]
	global_store_dwordx4 v[3:4], v[5:8], off
	s_mov_b64 s[6:7], 0
.LBB63_743:
	s_andn2_b64 vcc, exec, s[6:7]
	s_cbranch_vccnz .LBB63_745
; %bb.744:
	v_cvt_f32_f64_e32 v5, s[2:3]
	v_cvt_f32_f64_e32 v6, s[4:5]
	global_store_dwordx2 v[3:4], v[5:6], off
.LBB63_745:
	s_mov_b64 s[6:7], 0
.LBB63_746:
	s_andn2_b64 vcc, exec, s[6:7]
	s_cbranch_vccnz .LBB63_748
; %bb.747:
	s_lshr_b32 s6, s3, 8
	s_and_b32 s10, s6, 0xffe
	s_and_b32 s6, s3, 0x1ff
	s_or_b32 s6, s6, s2
	s_cmp_lg_u32 s6, 0
	s_cselect_b64 s[6:7], -1, 0
	v_cndmask_b32_e64 v1, 0, 1, s[6:7]
	v_readfirstlane_b32 s6, v1
	s_or_b32 s6, s10, s6
	s_bfe_u32 s10, s3, 0xb0014
	s_sub_i32 s11, 0x3f1, s10
	v_med3_i32 v1, s11, 0, 13
	s_or_b32 s7, s6, 0x1000
	v_readfirstlane_b32 s11, v1
	s_lshr_b32 s12, s7, s11
	s_lshl_b32 s11, s12, s11
	s_cmp_lg_u32 s11, s7
	s_cselect_b32 s7, 1, 0
	s_addk_i32 s10, 0xfc10
	s_lshl_b32 s11, s10, 12
	s_or_b32 s7, s12, s7
	s_or_b32 s11, s6, s11
	s_cmp_lt_i32 s10, 1
	s_cselect_b32 s7, s7, s11
	s_and_b32 s11, s7, 7
	s_cmp_gt_i32 s11, 5
	s_cselect_b32 s12, 1, 0
	s_cmp_eq_u32 s11, 3
	s_cselect_b32 s11, 1, 0
	s_or_b32 s11, s11, s12
	s_lshr_b32 s7, s7, 2
	s_add_i32 s7, s7, s11
	s_cmp_lt_i32 s10, 31
	s_cselect_b32 s7, s7, 0x7c00
	s_cmp_lg_u32 s6, 0
	s_movk_i32 s11, 0x7e00
	s_cselect_b32 s6, s11, 0x7c00
	s_cmpk_eq_i32 s10, 0x40f
	s_cselect_b32 s6, s6, s7
	s_lshr_b32 s7, s3, 16
	s_and_b32 s7, s7, 0x8000
	s_or_b32 s10, s7, s6
	s_lshr_b32 s6, s5, 8
	s_and_b32 s12, s6, 0xffe
	s_and_b32 s6, s5, 0x1ff
	s_or_b32 s6, s6, s4
	s_cmp_lg_u32 s6, 0
	s_cselect_b64 s[6:7], -1, 0
	v_cndmask_b32_e64 v1, 0, 1, s[6:7]
	v_readfirstlane_b32 s6, v1
	s_or_b32 s6, s12, s6
	s_bfe_u32 s12, s5, 0xb0014
	s_sub_i32 s13, 0x3f1, s12
	v_med3_i32 v1, s13, 0, 13
	s_or_b32 s7, s6, 0x1000
	v_readfirstlane_b32 s13, v1
	s_lshr_b32 s14, s7, s13
	s_lshl_b32 s13, s14, s13
	s_cmp_lg_u32 s13, s7
	s_cselect_b32 s7, 1, 0
	s_addk_i32 s12, 0xfc10
	s_lshl_b32 s13, s12, 12
	s_or_b32 s7, s14, s7
	s_or_b32 s13, s6, s13
	s_cmp_lt_i32 s12, 1
	s_cselect_b32 s7, s7, s13
	s_and_b32 s13, s7, 7
	s_cmp_gt_i32 s13, 5
	s_cselect_b32 s14, 1, 0
	s_cmp_eq_u32 s13, 3
	s_cselect_b32 s13, 1, 0
	s_or_b32 s13, s13, s14
	s_lshr_b32 s7, s7, 2
	s_add_i32 s7, s7, s13
	s_cmp_lt_i32 s12, 31
	s_cselect_b32 s7, s7, 0x7c00
	s_cmp_lg_u32 s6, 0
	s_cselect_b32 s6, s11, 0x7c00
	s_cmpk_eq_i32 s12, 0x40f
	s_cselect_b32 s6, s6, s7
	s_lshr_b32 s7, s5, 16
	s_and_b32 s7, s7, 0x8000
	s_or_b32 s6, s7, s6
	s_lshl_b32 s6, s6, 16
	s_and_b32 s7, s10, 0xffff
	s_or_b32 s6, s6, s7
	v_mov_b32_e32 v1, s6
	global_store_dword v[3:4], v1, off
.LBB63_748:
	s_mov_b64 s[6:7], 0
.LBB63_749:
	s_andn2_b64 vcc, exec, s[6:7]
	s_cbranch_vccnz .LBB63_758
; %bb.750:
	s_cmp_lt_i32 s17, 6
	s_mov_b64 s[6:7], -1
	s_cbranch_scc1 .LBB63_756
; %bb.751:
	s_cmp_gt_i32 s17, 6
	s_cbranch_scc0 .LBB63_753
; %bb.752:
	v_mov_b32_e32 v6, s3
	v_mov_b32_e32 v5, s2
	global_store_dwordx2 v[3:4], v[5:6], off
	s_mov_b64 s[6:7], 0
.LBB63_753:
	s_andn2_b64 vcc, exec, s[6:7]
	s_cbranch_vccnz .LBB63_755
; %bb.754:
	v_cvt_f32_f64_e32 v1, s[2:3]
	global_store_dword v[3:4], v1, off
.LBB63_755:
	s_mov_b64 s[6:7], 0
.LBB63_756:
	s_andn2_b64 vcc, exec, s[6:7]
	s_cbranch_vccnz .LBB63_758
; %bb.757:
	s_lshr_b32 s6, s3, 8
	s_and_b32 s10, s6, 0xffe
	s_and_b32 s6, s3, 0x1ff
	s_or_b32 s6, s6, s2
	s_cmp_lg_u32 s6, 0
	s_cselect_b64 s[6:7], -1, 0
	v_cndmask_b32_e64 v1, 0, 1, s[6:7]
	v_readfirstlane_b32 s6, v1
	s_or_b32 s6, s10, s6
	s_bfe_u32 s10, s3, 0xb0014
	s_sub_i32 s11, 0x3f1, s10
	v_med3_i32 v1, s11, 0, 13
	s_or_b32 s7, s6, 0x1000
	v_readfirstlane_b32 s11, v1
	s_lshr_b32 s12, s7, s11
	s_lshl_b32 s11, s12, s11
	s_cmp_lg_u32 s11, s7
	s_cselect_b32 s7, 1, 0
	s_addk_i32 s10, 0xfc10
	s_lshl_b32 s11, s10, 12
	s_or_b32 s7, s12, s7
	s_or_b32 s11, s6, s11
	s_cmp_lt_i32 s10, 1
	s_cselect_b32 s7, s7, s11
	s_and_b32 s11, s7, 7
	s_cmp_gt_i32 s11, 5
	s_cselect_b32 s12, 1, 0
	s_cmp_eq_u32 s11, 3
	s_cselect_b32 s11, 1, 0
	s_or_b32 s11, s11, s12
	s_lshr_b32 s7, s7, 2
	s_add_i32 s7, s7, s11
	s_cmp_lt_i32 s10, 31
	s_cselect_b32 s7, s7, 0x7c00
	s_cmp_lg_u32 s6, 0
	s_movk_i32 s6, 0x7e00
	s_cselect_b32 s6, s6, 0x7c00
	s_cmpk_eq_i32 s10, 0x40f
	s_cselect_b32 s6, s6, s7
	s_lshr_b32 s7, s3, 16
	s_and_b32 s7, s7, 0x8000
	s_or_b32 s6, s7, s6
	v_mov_b32_e32 v1, s6
	global_store_short v[3:4], v1, off
.LBB63_758:
	s_mov_b64 s[6:7], 0
.LBB63_759:
	s_andn2_b64 vcc, exec, s[6:7]
	s_cbranch_vccnz .LBB63_775
; %bb.760:
	s_cmp_lt_i32 s17, 2
	s_mov_b64 s[6:7], -1
	s_cbranch_scc1 .LBB63_770
; %bb.761:
	s_cmp_lt_i32 s17, 3
	s_cbranch_scc1 .LBB63_767
; %bb.762:
	s_cmp_gt_i32 s17, 3
	s_cbranch_scc0 .LBB63_764
; %bb.763:
	v_trunc_f64_e32 v[5:6], s[2:3]
	s_movk_i32 s6, 0xffe0
	v_ldexp_f64 v[7:8], v[5:6], s6
	s_mov_b32 s6, 0
	s_mov_b32 s7, 0xc1f00000
	v_floor_f64_e32 v[7:8], v[7:8]
	v_fma_f64 v[5:6], v[7:8], s[6:7], v[5:6]
	v_cvt_i32_f64_e32 v7, v[7:8]
	s_mov_b64 s[6:7], 0
	v_cvt_u32_f64_e32 v6, v[5:6]
	global_store_dwordx2 v[3:4], v[6:7], off
.LBB63_764:
	s_andn2_b64 vcc, exec, s[6:7]
	s_cbranch_vccnz .LBB63_766
; %bb.765:
	v_cvt_i32_f64_e32 v1, s[2:3]
	global_store_dword v[3:4], v1, off
.LBB63_766:
	s_mov_b64 s[6:7], 0
.LBB63_767:
	s_andn2_b64 vcc, exec, s[6:7]
	s_cbranch_vccnz .LBB63_769
; %bb.768:
	v_cvt_i32_f64_e32 v1, s[2:3]
	global_store_short v[3:4], v1, off
.LBB63_769:
	s_mov_b64 s[6:7], 0
.LBB63_770:
	s_andn2_b64 vcc, exec, s[6:7]
	s_cbranch_vccnz .LBB63_775
; %bb.771:
	s_cmp_gt_i32 s17, 0
	s_mov_b64 s[6:7], -1
	s_cbranch_scc0 .LBB63_773
; %bb.772:
	v_cvt_i32_f64_e32 v1, s[2:3]
	s_mov_b64 s[6:7], 0
	global_store_byte v[3:4], v1, off
.LBB63_773:
	s_andn2_b64 vcc, exec, s[6:7]
	s_cbranch_vccnz .LBB63_775
; %bb.774:
	v_trunc_f64_e32 v[5:6], s[2:3]
	s_movk_i32 s6, 0xffe0
	v_ldexp_f64 v[7:8], v[5:6], s6
	s_mov_b32 s6, 0
	s_mov_b32 s7, 0xc1f00000
	v_floor_f64_e32 v[7:8], v[7:8]
	v_fma_f64 v[5:6], v[7:8], s[6:7], v[5:6]
	v_cvt_u32_f64_e32 v1, v[5:6]
	global_store_byte v[3:4], v1, off
.LBB63_775:
.LBB63_776:
	v_mov_b32_e32 v3, s1
	v_add_co_u32_e32 v1, vcc, s0, v2
	s_cmp_lt_i32 s17, 11
	v_addc_co_u32_e32 v2, vcc, 0, v3, vcc
	s_cbranch_scc1 .LBB63_804
; %bb.777:
	s_mov_b64 s[14:15], -1
	s_mov_b64 s[10:11], 0
	s_cmp_gt_i32 s17, 25
	s_mov_b64 s[12:13], 0
	s_mov_b64 s[6:7], 0
	s_cbranch_scc0 .LBB63_845
; %bb.778:
	s_cmp_gt_i32 s17, 28
	s_cbranch_scc0 .LBB63_793
; %bb.779:
	s_cmp_gt_i32 s17, 43
	;; [unrolled: 3-line block ×3, first 2 shown]
	s_cbranch_scc0 .LBB63_783
; %bb.781:
	s_mov_b64 s[6:7], -1
	s_mov_b64 s[14:15], 0
	s_cmp_eq_u32 s17, 46
	s_cbranch_scc0 .LBB63_783
; %bb.782:
	v_cvt_f32_f64_e32 v4, s[4:5]
	v_cvt_f32_f64_e32 v3, s[2:3]
	v_mov_b32_e32 v7, 0x7fc00000
	s_mov_b64 s[6:7], 0
	v_bfe_u32 v6, v4, 16, 1
	v_add_u32_e32 v6, v4, v6
	v_bfe_u32 v5, v3, 16, 1
	v_add_u32_e32 v6, 0x7fff, v6
	v_add_u32_e32 v5, v3, v5
	v_and_b32_e32 v6, 0xffff0000, v6
	v_cmp_o_f32_e32 vcc, v4, v4
	v_add_u32_e32 v5, 0x7fff, v5
	v_cndmask_b32_e32 v4, v7, v6, vcc
	v_cmp_o_f32_e32 vcc, v3, v3
	v_mov_b32_e32 v3, 0x7fc0
	v_cndmask_b32_sdwa v3, v3, v5, vcc dst_sel:DWORD dst_unused:UNUSED_PAD src0_sel:DWORD src1_sel:WORD_1
	v_or_b32_e32 v3, v4, v3
	global_store_dword v[1:2], v3, off
	s_mov_b64 s[12:13], -1
.LBB63_783:
	s_and_b64 vcc, exec, s[14:15]
	s_cbranch_vccz .LBB63_788
; %bb.784:
	s_cmp_eq_u32 s17, 44
	s_mov_b64 s[6:7], -1
	s_cbranch_scc0 .LBB63_788
; %bb.785:
	v_cvt_f32_f64_e32 v3, s[2:3]
	v_mov_b32_e32 v4, 0xff
	v_readfirstlane_b32 s6, v3
	s_bfe_u32 s7, s6, 0x80017
	s_cmpk_eq_i32 s7, 0xff
	s_cbranch_scc1 .LBB63_787
; %bb.786:
	s_bitcmp1_b32 s6, 22
	s_cselect_b64 s[12:13], -1, 0
	s_and_b32 s6, s6, 0x3fffff
	s_or_b32 s6, s7, s6
	s_cmp_lg_u32 s6, 0
	s_cselect_b64 s[6:7], -1, 0
	s_and_b64 s[6:7], s[12:13], s[6:7]
	v_lshrrev_b32_e32 v3, 23, v3
	v_cndmask_b32_e64 v4, 0, 1, s[6:7]
	v_add_u32_e32 v4, v3, v4
.LBB63_787:
	s_mov_b64 s[6:7], 0
	s_mov_b64 s[12:13], -1
	global_store_byte v[1:2], v4, off
.LBB63_788:
	s_mov_b64 s[14:15], 0
.LBB63_789:
	s_and_b64 vcc, exec, s[14:15]
	s_cbranch_vccz .LBB63_792
; %bb.790:
	s_cmp_eq_u32 s17, 29
	s_mov_b64 s[6:7], -1
	s_cbranch_scc0 .LBB63_792
; %bb.791:
	v_trunc_f64_e32 v[3:4], s[2:3]
	s_movk_i32 s6, 0xffe0
	s_mov_b64 s[12:13], -1
	v_ldexp_f64 v[5:6], v[3:4], s6
	s_mov_b32 s6, 0
	s_mov_b32 s7, 0xc1f00000
	v_floor_f64_e32 v[5:6], v[5:6]
	v_fma_f64 v[3:4], v[5:6], s[6:7], v[3:4]
	v_cvt_u32_f64_e32 v5, v[5:6]
	s_mov_b64 s[6:7], 0
	v_cvt_u32_f64_e32 v4, v[3:4]
	global_store_dwordx2 v[1:2], v[4:5], off
.LBB63_792:
	s_mov_b64 s[14:15], 0
.LBB63_793:
	s_and_b64 vcc, exec, s[14:15]
	s_cbranch_vccz .LBB63_844
; %bb.794:
	s_cmp_lt_i32 s17, 27
	s_mov_b64 s[12:13], -1
	s_cbranch_scc1 .LBB63_800
; %bb.795:
	s_cmp_gt_i32 s17, 27
	s_cbranch_scc0 .LBB63_797
; %bb.796:
	v_cvt_u32_f64_e32 v3, s[2:3]
	s_mov_b64 s[12:13], 0
	global_store_dword v[1:2], v3, off
.LBB63_797:
	s_andn2_b64 vcc, exec, s[12:13]
	s_cbranch_vccnz .LBB63_799
; %bb.798:
	v_cvt_u32_f64_e32 v3, s[2:3]
	global_store_short v[1:2], v3, off
.LBB63_799:
	s_mov_b64 s[12:13], 0
.LBB63_800:
	s_andn2_b64 vcc, exec, s[12:13]
	s_cbranch_vccnz .LBB63_843
; %bb.801:
	v_cvt_f32_f64_e32 v3, s[2:3]
	v_mov_b32_e32 v4, 0x80
	v_readfirstlane_b32 s18, v3
	s_and_b32 s12, s18, 0x7fffffff
	s_cmp_gt_u32 s12, 0x437fffff
	s_cbranch_scc1 .LBB63_842
; %bb.802:
	s_cmp_gt_u32 s12, 0x3bffffff
	s_cbranch_scc0 .LBB63_837
; %bb.803:
	s_bfe_u32 s12, s18, 0x10014
	s_add_i32 s12, s18, s12
	s_add_i32 s12, s12, 0x487ffff
	s_lshr_b32 s19, s12, 20
	s_mov_b64 s[14:15], 0
	s_mov_b64 s[12:13], -1
	s_branch .LBB63_838
.LBB63_804:
	s_mov_b64 s[12:13], 0
	s_cbranch_execnz .LBB63_909
.LBB63_805:
	s_andn2_b64 vcc, exec, s[12:13]
	s_cbranch_vccnz .LBB63_947
.LBB63_806:
	v_mov_b32_e32 v1, s1
	v_add_co_u32_e32 v0, vcc, s0, v0
	s_cmp_lt_i32 s17, 11
	v_addc_co_u32_e32 v1, vcc, 0, v1, vcc
	s_cbranch_scc1 .LBB63_835
; %bb.807:
	s_mov_b64 s[10:11], -1
	s_mov_b64 s[6:7], 0
	s_cmp_gt_i32 s17, 25
	s_mov_b64 s[0:1], 0
	s_cbranch_scc0 .LBB63_859
; %bb.808:
	s_cmp_gt_i32 s17, 28
	s_cbranch_scc0 .LBB63_824
; %bb.809:
	s_cmp_gt_i32 s17, 43
	;; [unrolled: 3-line block ×3, first 2 shown]
	s_cbranch_scc0 .LBB63_814
; %bb.811:
	s_cmp_eq_u32 s17, 46
	s_mov_b64 s[0:1], -1
	s_cbranch_scc0 .LBB63_813
; %bb.812:
	v_cvt_f32_f64_e32 v3, s[4:5]
	v_cvt_f32_f64_e32 v2, s[2:3]
	v_mov_b32_e32 v6, 0x7fc00000
	s_mov_b64 s[0:1], 0
	v_bfe_u32 v5, v3, 16, 1
	v_add_u32_e32 v5, v3, v5
	v_bfe_u32 v4, v2, 16, 1
	v_add_u32_e32 v5, 0x7fff, v5
	v_add_u32_e32 v4, v2, v4
	v_and_b32_e32 v5, 0xffff0000, v5
	v_cmp_o_f32_e32 vcc, v3, v3
	v_add_u32_e32 v4, 0x7fff, v4
	v_cndmask_b32_e32 v3, v6, v5, vcc
	v_cmp_o_f32_e32 vcc, v2, v2
	v_mov_b32_e32 v2, 0x7fc0
	v_cndmask_b32_sdwa v2, v2, v4, vcc dst_sel:DWORD dst_unused:UNUSED_PAD src0_sel:DWORD src1_sel:WORD_1
	v_or_b32_e32 v2, v3, v2
	global_store_dword v[0:1], v2, off
.LBB63_813:
	s_mov_b64 s[10:11], 0
.LBB63_814:
	s_and_b64 vcc, exec, s[10:11]
	s_cbranch_vccz .LBB63_819
; %bb.815:
	s_cmp_eq_u32 s17, 44
	s_mov_b64 s[0:1], -1
	s_cbranch_scc0 .LBB63_819
; %bb.816:
	v_cvt_f32_f64_e32 v2, s[2:3]
	v_mov_b32_e32 v3, 0xff
	v_readfirstlane_b32 s0, v2
	s_bfe_u32 s1, s0, 0x80017
	s_cmpk_eq_i32 s1, 0xff
	s_cbranch_scc1 .LBB63_818
; %bb.817:
	s_bitcmp1_b32 s0, 22
	s_cselect_b64 s[10:11], -1, 0
	s_and_b32 s0, s0, 0x3fffff
	s_or_b32 s0, s1, s0
	s_cmp_lg_u32 s0, 0
	s_cselect_b64 s[0:1], -1, 0
	s_and_b64 s[0:1], s[10:11], s[0:1]
	v_lshrrev_b32_e32 v2, 23, v2
	v_cndmask_b32_e64 v3, 0, 1, s[0:1]
	v_add_u32_e32 v3, v2, v3
.LBB63_818:
	s_mov_b64 s[0:1], 0
	global_store_byte v[0:1], v3, off
.LBB63_819:
	s_mov_b64 s[10:11], 0
.LBB63_820:
	s_and_b64 vcc, exec, s[10:11]
	s_cbranch_vccz .LBB63_823
; %bb.821:
	s_cmp_eq_u32 s17, 29
	s_mov_b64 s[0:1], -1
	s_cbranch_scc0 .LBB63_823
; %bb.822:
	v_trunc_f64_e32 v[2:3], s[2:3]
	s_movk_i32 s0, 0xffe0
	v_ldexp_f64 v[4:5], v[2:3], s0
	s_mov_b32 s0, 0
	s_mov_b32 s1, 0xc1f00000
	v_floor_f64_e32 v[4:5], v[4:5]
	v_fma_f64 v[2:3], v[4:5], s[0:1], v[2:3]
	v_cvt_u32_f64_e32 v4, v[4:5]
	s_mov_b64 s[0:1], 0
	v_cvt_u32_f64_e32 v3, v[2:3]
	global_store_dwordx2 v[0:1], v[3:4], off
.LBB63_823:
	s_mov_b64 s[10:11], 0
.LBB63_824:
	s_and_b64 vcc, exec, s[10:11]
	s_cbranch_vccz .LBB63_858
; %bb.825:
	s_cmp_lt_i32 s17, 27
	s_mov_b64 s[10:11], -1
	s_cbranch_scc1 .LBB63_831
; %bb.826:
	v_cvt_u32_f64_e32 v2, s[2:3]
	s_cmp_gt_i32 s17, 27
	s_cbranch_scc0 .LBB63_828
; %bb.827:
	global_store_dword v[0:1], v2, off
	s_mov_b64 s[10:11], 0
.LBB63_828:
	s_andn2_b64 vcc, exec, s[10:11]
	s_cbranch_vccnz .LBB63_830
; %bb.829:
	global_store_short v[0:1], v2, off
.LBB63_830:
	s_mov_b64 s[10:11], 0
.LBB63_831:
	s_andn2_b64 vcc, exec, s[10:11]
	s_cbranch_vccnz .LBB63_858
; %bb.832:
	v_cvt_f32_f64_e32 v2, s[2:3]
	v_mov_b32_e32 v3, 0x80
	v_readfirstlane_b32 s14, v2
	s_and_b32 s10, s14, 0x7fffffff
	s_cmp_gt_u32 s10, 0x437fffff
	s_cbranch_scc1 .LBB63_857
; %bb.833:
	s_cmp_gt_u32 s10, 0x3bffffff
	s_cbranch_scc0 .LBB63_852
; %bb.834:
	s_bfe_u32 s10, s14, 0x10014
	s_add_i32 s10, s14, s10
	s_add_i32 s10, s10, 0x487ffff
	s_lshr_b32 s15, s10, 20
	s_mov_b64 s[12:13], 0
	s_mov_b64 s[10:11], -1
	s_branch .LBB63_853
.LBB63_835:
	s_mov_b64 s[6:7], 0
	s_mov_b64 s[0:1], -1
	s_branch .LBB63_948
.LBB63_836:
	s_trap 2
	s_or_b64 s[8:9], s[8:9], exec
	s_cbranch_execz .LBB63_736
	s_branch .LBB63_737
.LBB63_837:
	s_mov_b64 s[14:15], -1
	s_mov_b64 s[12:13], 0
                                        ; implicit-def: $sgpr19
.LBB63_838:
	s_andn2_b64 vcc, exec, s[14:15]
	v_mov_b32_e32 v3, s19
	s_cbranch_vccnz .LBB63_840
; %bb.839:
	v_mov_b32_e32 v3, 0x46000000
	v_add_f32_e64 v3, |s18|, v3
	v_and_b32_e32 v3, 0xff, v3
	v_cmp_ne_u32_e64 s[12:13], 0, v3
.LBB63_840:
	s_andn2_b64 vcc, exec, s[12:13]
	v_mov_b32_e32 v4, 0
	s_cbranch_vccnz .LBB63_842
; %bb.841:
	s_lshr_b32 s12, s18, 24
	s_and_b32 s12, s12, 0x80
	v_or_b32_e32 v4, s12, v3
.LBB63_842:
	global_store_byte v[1:2], v4, off
.LBB63_843:
	s_mov_b64 s[12:13], -1
.LBB63_844:
	s_mov_b64 s[14:15], 0
.LBB63_845:
	s_and_b64 vcc, exec, s[14:15]
	s_cbranch_vccz .LBB63_905
; %bb.846:
	s_cmp_gt_i32 s17, 22
	s_mov_b64 s[10:11], -1
	s_cbranch_scc0 .LBB63_898
; %bb.847:
	s_cmp_lt_i32 s17, 24
	s_cbranch_scc1 .LBB63_885
; %bb.848:
	s_cmp_gt_i32 s17, 24
	s_cbranch_scc0 .LBB63_872
; %bb.849:
	v_cvt_f32_f64_e32 v3, s[2:3]
	v_mov_b32_e32 v4, 0x80
	v_readfirstlane_b32 s14, v3
	s_and_b32 s10, s14, 0x7fffffff
	s_cmp_gt_u32 s10, 0x477fffff
	s_cbranch_scc1 .LBB63_871
; %bb.850:
	s_cmp_gt_u32 s10, 0x37ffffff
	s_cbranch_scc0 .LBB63_866
; %bb.851:
	s_bfe_u32 s10, s14, 0x10015
	s_add_i32 s10, s14, s10
	s_add_i32 s10, s10, 0x88fffff
	s_lshr_b32 s15, s10, 21
	s_mov_b64 s[12:13], 0
	s_mov_b64 s[10:11], -1
	s_branch .LBB63_867
.LBB63_852:
	s_mov_b64 s[12:13], -1
	s_mov_b64 s[10:11], 0
                                        ; implicit-def: $sgpr15
.LBB63_853:
	s_andn2_b64 vcc, exec, s[12:13]
	v_mov_b32_e32 v2, s15
	s_cbranch_vccnz .LBB63_855
; %bb.854:
	v_mov_b32_e32 v2, 0x46000000
	v_add_f32_e64 v2, |s14|, v2
	v_and_b32_e32 v2, 0xff, v2
	v_cmp_ne_u32_e64 s[10:11], 0, v2
.LBB63_855:
	s_andn2_b64 vcc, exec, s[10:11]
	v_mov_b32_e32 v3, 0
	s_cbranch_vccnz .LBB63_857
; %bb.856:
	s_lshr_b32 s10, s14, 24
	s_and_b32 s10, s10, 0x80
	v_or_b32_e32 v3, s10, v2
.LBB63_857:
	global_store_byte v[0:1], v3, off
.LBB63_858:
	s_mov_b64 s[10:11], 0
.LBB63_859:
	s_and_b64 vcc, exec, s[10:11]
	s_cbranch_vccz .LBB63_1032
; %bb.860:
	s_cmp_gt_i32 s17, 22
	s_mov_b64 s[6:7], -1
	s_cbranch_scc0 .LBB63_1025
; %bb.861:
	s_cmp_lt_i32 s17, 24
	s_cbranch_scc1 .LBB63_1012
; %bb.862:
	s_cmp_gt_i32 s17, 24
	s_cbranch_scc0 .LBB63_999
; %bb.863:
	v_cvt_f32_f64_e32 v2, s[2:3]
	v_mov_b32_e32 v3, 0x80
	v_readfirstlane_b32 s12, v2
	s_and_b32 s6, s12, 0x7fffffff
	s_cmp_gt_u32 s6, 0x477fffff
	s_cbranch_scc1 .LBB63_998
; %bb.864:
	s_cmp_gt_u32 s6, 0x37ffffff
	s_cbranch_scc0 .LBB63_993
; %bb.865:
	s_bfe_u32 s6, s12, 0x10015
	s_add_i32 s6, s12, s6
	s_add_i32 s6, s6, 0x88fffff
	s_lshr_b32 s13, s6, 21
	s_mov_b64 s[10:11], 0
	s_mov_b64 s[6:7], -1
	s_branch .LBB63_994
.LBB63_866:
	s_mov_b64 s[12:13], -1
	s_mov_b64 s[10:11], 0
                                        ; implicit-def: $sgpr15
.LBB63_867:
	s_andn2_b64 vcc, exec, s[12:13]
	v_mov_b32_e32 v3, s15
	s_cbranch_vccnz .LBB63_869
; %bb.868:
	v_mov_b32_e32 v3, 0x42800000
	v_add_f32_e64 v3, |s14|, v3
	v_and_b32_e32 v3, 0xff, v3
	v_cmp_ne_u32_e64 s[10:11], 0, v3
.LBB63_869:
	s_andn2_b64 vcc, exec, s[10:11]
	v_mov_b32_e32 v4, 0
	s_cbranch_vccnz .LBB63_871
; %bb.870:
	s_lshr_b32 s10, s14, 24
	s_and_b32 s10, s10, 0x80
	v_or_b32_e32 v4, s10, v3
.LBB63_871:
	s_mov_b64 s[10:11], 0
	global_store_byte v[1:2], v4, off
.LBB63_872:
	s_and_b64 vcc, exec, s[10:11]
	s_cbranch_vccz .LBB63_884
; %bb.873:
	v_cvt_f32_f64_e32 v3, s[2:3]
	v_readfirstlane_b32 s12, v3
	s_and_b32 s13, s12, 0x7fffffff
	s_cmp_lt_u32 s13, 0x43f00000
	s_cbranch_scc0 .LBB63_876
; %bb.874:
	s_cmp_gt_u32 s13, 0x3c7fffff
	s_cbranch_scc0 .LBB63_877
; %bb.875:
	s_bfe_u32 s10, s12, 0x10014
	s_add_i32 s10, s12, s10
	s_add_i32 s10, s10, 0x407ffff
	s_lshr_b32 s11, s10, 20
	s_and_b32 s10, s10, 0xff00000
	s_cmp_lg_u32 s10, 0x7f00000
	s_cselect_b32 s14, s11, 0x7e
	s_mov_b64 s[10:11], 0
	s_branch .LBB63_878
.LBB63_876:
	s_mov_b64 s[10:11], -1
                                        ; implicit-def: $vgpr4
	s_branch .LBB63_881
.LBB63_877:
	s_mov_b64 s[10:11], -1
                                        ; implicit-def: $sgpr14
.LBB63_878:
	s_andn2_b64 vcc, exec, s[10:11]
	v_mov_b32_e32 v4, s14
	s_cbranch_vccnz .LBB63_880
; %bb.879:
	s_mov_b32 s10, 0x46800000
	v_add_f32_e64 v4, |v3|, s10
.LBB63_880:
	s_mov_b64 s[10:11], 0
.LBB63_881:
	s_andn2_b64 vcc, exec, s[10:11]
	s_cbranch_vccnz .LBB63_883
; %bb.882:
	s_cmp_gt_u32 s13, 0x7f800000
	s_movk_i32 s10, 0x7f
	s_cselect_b32 s10, s10, 0x7e
	v_mov_b32_e32 v4, s10
.LBB63_883:
	s_lshr_b32 s10, s12, 24
	s_and_b32 s10, s10, 0x80
	v_or_b32_e32 v3, s10, v4
	global_store_byte v[1:2], v3, off
.LBB63_884:
	s_mov_b64 s[10:11], 0
.LBB63_885:
	s_andn2_b64 vcc, exec, s[10:11]
	s_cbranch_vccnz .LBB63_897
; %bb.886:
	v_cvt_f32_f64_e32 v3, s[2:3]
	v_readfirstlane_b32 s12, v3
	s_and_b32 s13, s12, 0x7fffffff
	s_cmp_lt_u32 s13, 0x47800000
	s_cbranch_scc0 .LBB63_889
; %bb.887:
	s_cmp_gt_u32 s13, 0x387fffff
	s_cbranch_scc0 .LBB63_890
; %bb.888:
	s_bfe_u32 s10, s12, 0x10015
	s_add_i32 s10, s12, s10
	s_add_i32 s10, s10, 0x80fffff
	s_lshr_b32 s14, s10, 21
	s_mov_b64 s[10:11], 0
	s_branch .LBB63_891
.LBB63_889:
	s_mov_b64 s[10:11], -1
                                        ; implicit-def: $vgpr4
	s_branch .LBB63_894
.LBB63_890:
	s_mov_b64 s[10:11], -1
                                        ; implicit-def: $sgpr14
.LBB63_891:
	s_andn2_b64 vcc, exec, s[10:11]
	v_mov_b32_e32 v4, s14
	s_cbranch_vccnz .LBB63_893
; %bb.892:
	s_mov_b32 s10, 0x43000000
	v_add_f32_e64 v4, |v3|, s10
.LBB63_893:
	s_mov_b64 s[10:11], 0
.LBB63_894:
	s_andn2_b64 vcc, exec, s[10:11]
	s_cbranch_vccnz .LBB63_896
; %bb.895:
	s_cmp_gt_u32 s13, 0x7f800000
	s_movk_i32 s10, 0x7f
	s_cselect_b32 s10, s10, 0x7c
	v_mov_b32_e32 v4, s10
.LBB63_896:
	s_lshr_b32 s10, s12, 24
	s_and_b32 s10, s10, 0x80
	v_or_b32_e32 v3, s10, v4
	global_store_byte v[1:2], v3, off
.LBB63_897:
	s_mov_b64 s[10:11], 0
	s_mov_b64 s[12:13], -1
.LBB63_898:
	s_andn2_b64 vcc, exec, s[10:11]
	s_mov_b64 s[10:11], 0
	s_cbranch_vccnz .LBB63_905
; %bb.899:
	s_cmp_gt_i32 s17, 14
	s_mov_b64 s[14:15], -1
	s_cbranch_scc0 .LBB63_903
; %bb.900:
	s_cmp_eq_u32 s17, 15
	s_mov_b64 s[6:7], -1
	s_cbranch_scc0 .LBB63_902
; %bb.901:
	v_cvt_f32_f64_e32 v3, s[2:3]
	v_mov_b32_e32 v4, 0x7fc0
	s_mov_b64 s[6:7], 0
	s_mov_b64 s[12:13], -1
	v_bfe_u32 v5, v3, 16, 1
	v_cmp_o_f32_e32 vcc, v3, v3
	v_add_u32_e32 v3, v3, v5
	v_add_u32_e32 v3, 0x7fff, v3
	v_cndmask_b32_sdwa v3, v4, v3, vcc dst_sel:DWORD dst_unused:UNUSED_PAD src0_sel:DWORD src1_sel:WORD_1
	global_store_short v[1:2], v3, off
.LBB63_902:
	s_mov_b64 s[14:15], 0
.LBB63_903:
	s_and_b64 vcc, exec, s[14:15]
	s_cbranch_vccz .LBB63_905
; %bb.904:
	s_cmp_lg_u32 s17, 11
	s_mov_b64 s[10:11], -1
	s_cselect_b64 s[6:7], -1, 0
.LBB63_905:
	s_and_b64 vcc, exec, s[6:7]
	s_cbranch_vccnz .LBB63_992
; %bb.906:
	s_andn2_b64 vcc, exec, s[10:11]
	s_cbranch_vccnz .LBB63_908
.LBB63_907:
	v_cmp_neq_f64_e64 s[6:7], s[2:3], 0
	v_cmp_neq_f64_e64 s[10:11], s[4:5], 0
	s_mov_b64 s[12:13], -1
	s_or_b64 s[6:7], s[6:7], s[10:11]
	v_cndmask_b32_e64 v3, 0, 1, s[6:7]
	global_store_byte v[1:2], v3, off
.LBB63_908:
	s_branch .LBB63_805
.LBB63_909:
	s_cmp_lt_i32 s17, 5
	s_mov_b64 s[6:7], -1
	s_cbranch_scc1 .LBB63_930
; %bb.910:
	s_cmp_lt_i32 s17, 8
	s_cbranch_scc1 .LBB63_920
; %bb.911:
	s_cmp_lt_i32 s17, 9
	s_cbranch_scc1 .LBB63_917
; %bb.912:
	s_cmp_gt_i32 s17, 9
	s_cbranch_scc0 .LBB63_914
; %bb.913:
	v_mov_b32_e32 v3, s2
	v_mov_b32_e32 v4, s3
	;; [unrolled: 1-line block ×4, first 2 shown]
	global_store_dwordx4 v[1:2], v[3:6], off
	s_mov_b64 s[6:7], 0
.LBB63_914:
	s_andn2_b64 vcc, exec, s[6:7]
	s_cbranch_vccnz .LBB63_916
; %bb.915:
	v_cvt_f32_f64_e32 v3, s[2:3]
	v_cvt_f32_f64_e32 v4, s[4:5]
	global_store_dwordx2 v[1:2], v[3:4], off
.LBB63_916:
	s_mov_b64 s[6:7], 0
.LBB63_917:
	s_andn2_b64 vcc, exec, s[6:7]
	s_cbranch_vccnz .LBB63_919
; %bb.918:
	s_lshr_b32 s6, s3, 8
	s_and_b32 s10, s6, 0xffe
	s_and_b32 s6, s3, 0x1ff
	s_or_b32 s6, s6, s2
	s_cmp_lg_u32 s6, 0
	s_cselect_b64 s[6:7], -1, 0
	v_cndmask_b32_e64 v3, 0, 1, s[6:7]
	v_readfirstlane_b32 s6, v3
	s_or_b32 s6, s10, s6
	s_bfe_u32 s10, s3, 0xb0014
	s_sub_i32 s11, 0x3f1, s10
	v_med3_i32 v3, s11, 0, 13
	s_or_b32 s7, s6, 0x1000
	v_readfirstlane_b32 s11, v3
	s_lshr_b32 s12, s7, s11
	s_lshl_b32 s11, s12, s11
	s_cmp_lg_u32 s11, s7
	s_cselect_b32 s7, 1, 0
	s_addk_i32 s10, 0xfc10
	s_lshl_b32 s11, s10, 12
	s_or_b32 s7, s12, s7
	s_or_b32 s11, s6, s11
	s_cmp_lt_i32 s10, 1
	s_cselect_b32 s7, s7, s11
	s_and_b32 s11, s7, 7
	s_cmp_gt_i32 s11, 5
	s_cselect_b32 s12, 1, 0
	s_cmp_eq_u32 s11, 3
	s_cselect_b32 s11, 1, 0
	s_or_b32 s11, s11, s12
	s_lshr_b32 s7, s7, 2
	s_add_i32 s7, s7, s11
	s_cmp_lt_i32 s10, 31
	s_cselect_b32 s7, s7, 0x7c00
	s_cmp_lg_u32 s6, 0
	s_movk_i32 s11, 0x7e00
	s_cselect_b32 s6, s11, 0x7c00
	s_cmpk_eq_i32 s10, 0x40f
	s_cselect_b32 s6, s6, s7
	s_lshr_b32 s7, s3, 16
	s_and_b32 s7, s7, 0x8000
	s_or_b32 s10, s7, s6
	s_lshr_b32 s6, s5, 8
	s_and_b32 s12, s6, 0xffe
	s_and_b32 s6, s5, 0x1ff
	s_or_b32 s6, s6, s4
	s_cmp_lg_u32 s6, 0
	s_cselect_b64 s[6:7], -1, 0
	v_cndmask_b32_e64 v3, 0, 1, s[6:7]
	v_readfirstlane_b32 s6, v3
	s_or_b32 s6, s12, s6
	s_bfe_u32 s12, s5, 0xb0014
	s_sub_i32 s13, 0x3f1, s12
	v_med3_i32 v3, s13, 0, 13
	s_or_b32 s7, s6, 0x1000
	v_readfirstlane_b32 s13, v3
	s_lshr_b32 s14, s7, s13
	s_lshl_b32 s13, s14, s13
	s_cmp_lg_u32 s13, s7
	s_cselect_b32 s7, 1, 0
	s_addk_i32 s12, 0xfc10
	s_lshl_b32 s13, s12, 12
	s_or_b32 s7, s14, s7
	s_or_b32 s13, s6, s13
	s_cmp_lt_i32 s12, 1
	s_cselect_b32 s7, s7, s13
	s_and_b32 s13, s7, 7
	s_cmp_gt_i32 s13, 5
	s_cselect_b32 s14, 1, 0
	s_cmp_eq_u32 s13, 3
	s_cselect_b32 s13, 1, 0
	s_or_b32 s13, s13, s14
	s_lshr_b32 s7, s7, 2
	s_add_i32 s7, s7, s13
	s_cmp_lt_i32 s12, 31
	s_cselect_b32 s7, s7, 0x7c00
	s_cmp_lg_u32 s6, 0
	s_cselect_b32 s6, s11, 0x7c00
	s_cmpk_eq_i32 s12, 0x40f
	s_cselect_b32 s6, s6, s7
	s_lshr_b32 s7, s5, 16
	s_and_b32 s7, s7, 0x8000
	s_or_b32 s6, s7, s6
	s_lshl_b32 s6, s6, 16
	s_and_b32 s7, s10, 0xffff
	s_or_b32 s6, s6, s7
	v_mov_b32_e32 v3, s6
	global_store_dword v[1:2], v3, off
.LBB63_919:
	s_mov_b64 s[6:7], 0
.LBB63_920:
	s_andn2_b64 vcc, exec, s[6:7]
	s_cbranch_vccnz .LBB63_929
; %bb.921:
	s_cmp_lt_i32 s17, 6
	s_mov_b64 s[6:7], -1
	s_cbranch_scc1 .LBB63_927
; %bb.922:
	s_cmp_gt_i32 s17, 6
	s_cbranch_scc0 .LBB63_924
; %bb.923:
	v_mov_b32_e32 v4, s3
	v_mov_b32_e32 v3, s2
	global_store_dwordx2 v[1:2], v[3:4], off
	s_mov_b64 s[6:7], 0
.LBB63_924:
	s_andn2_b64 vcc, exec, s[6:7]
	s_cbranch_vccnz .LBB63_926
; %bb.925:
	v_cvt_f32_f64_e32 v3, s[2:3]
	global_store_dword v[1:2], v3, off
.LBB63_926:
	s_mov_b64 s[6:7], 0
.LBB63_927:
	s_andn2_b64 vcc, exec, s[6:7]
	s_cbranch_vccnz .LBB63_929
; %bb.928:
	s_lshr_b32 s6, s3, 8
	s_and_b32 s10, s6, 0xffe
	s_and_b32 s6, s3, 0x1ff
	s_or_b32 s6, s6, s2
	s_cmp_lg_u32 s6, 0
	s_cselect_b64 s[6:7], -1, 0
	v_cndmask_b32_e64 v3, 0, 1, s[6:7]
	v_readfirstlane_b32 s6, v3
	s_or_b32 s6, s10, s6
	s_bfe_u32 s10, s3, 0xb0014
	s_sub_i32 s11, 0x3f1, s10
	v_med3_i32 v3, s11, 0, 13
	s_or_b32 s7, s6, 0x1000
	v_readfirstlane_b32 s11, v3
	s_lshr_b32 s12, s7, s11
	s_lshl_b32 s11, s12, s11
	s_cmp_lg_u32 s11, s7
	s_cselect_b32 s7, 1, 0
	s_addk_i32 s10, 0xfc10
	s_lshl_b32 s11, s10, 12
	s_or_b32 s7, s12, s7
	s_or_b32 s11, s6, s11
	s_cmp_lt_i32 s10, 1
	s_cselect_b32 s7, s7, s11
	s_and_b32 s11, s7, 7
	s_cmp_gt_i32 s11, 5
	s_cselect_b32 s12, 1, 0
	s_cmp_eq_u32 s11, 3
	s_cselect_b32 s11, 1, 0
	s_or_b32 s11, s11, s12
	s_lshr_b32 s7, s7, 2
	s_add_i32 s7, s7, s11
	s_cmp_lt_i32 s10, 31
	s_cselect_b32 s7, s7, 0x7c00
	s_cmp_lg_u32 s6, 0
	s_movk_i32 s6, 0x7e00
	s_cselect_b32 s6, s6, 0x7c00
	s_cmpk_eq_i32 s10, 0x40f
	s_cselect_b32 s6, s6, s7
	s_lshr_b32 s7, s3, 16
	s_and_b32 s7, s7, 0x8000
	s_or_b32 s6, s7, s6
	v_mov_b32_e32 v3, s6
	global_store_short v[1:2], v3, off
.LBB63_929:
	s_mov_b64 s[6:7], 0
.LBB63_930:
	s_andn2_b64 vcc, exec, s[6:7]
	s_cbranch_vccnz .LBB63_946
; %bb.931:
	s_cmp_lt_i32 s17, 2
	s_mov_b64 s[6:7], -1
	s_cbranch_scc1 .LBB63_941
; %bb.932:
	s_cmp_lt_i32 s17, 3
	s_cbranch_scc1 .LBB63_938
; %bb.933:
	s_cmp_gt_i32 s17, 3
	s_cbranch_scc0 .LBB63_935
; %bb.934:
	v_trunc_f64_e32 v[3:4], s[2:3]
	s_movk_i32 s6, 0xffe0
	v_ldexp_f64 v[5:6], v[3:4], s6
	s_mov_b32 s6, 0
	s_mov_b32 s7, 0xc1f00000
	v_floor_f64_e32 v[5:6], v[5:6]
	v_fma_f64 v[3:4], v[5:6], s[6:7], v[3:4]
	v_cvt_i32_f64_e32 v5, v[5:6]
	s_mov_b64 s[6:7], 0
	v_cvt_u32_f64_e32 v4, v[3:4]
	global_store_dwordx2 v[1:2], v[4:5], off
.LBB63_935:
	s_andn2_b64 vcc, exec, s[6:7]
	s_cbranch_vccnz .LBB63_937
; %bb.936:
	v_cvt_i32_f64_e32 v3, s[2:3]
	global_store_dword v[1:2], v3, off
.LBB63_937:
	s_mov_b64 s[6:7], 0
.LBB63_938:
	s_andn2_b64 vcc, exec, s[6:7]
	s_cbranch_vccnz .LBB63_940
; %bb.939:
	v_cvt_i32_f64_e32 v3, s[2:3]
	global_store_short v[1:2], v3, off
.LBB63_940:
	s_mov_b64 s[6:7], 0
.LBB63_941:
	s_andn2_b64 vcc, exec, s[6:7]
	s_cbranch_vccnz .LBB63_946
; %bb.942:
	s_cmp_gt_i32 s17, 0
	s_mov_b64 s[6:7], -1
	s_cbranch_scc0 .LBB63_944
; %bb.943:
	v_cvt_i32_f64_e32 v3, s[2:3]
	s_mov_b64 s[6:7], 0
	global_store_byte v[1:2], v3, off
.LBB63_944:
	s_andn2_b64 vcc, exec, s[6:7]
	s_cbranch_vccnz .LBB63_946
; %bb.945:
	v_trunc_f64_e32 v[3:4], s[2:3]
	s_movk_i32 s6, 0xffe0
	v_ldexp_f64 v[5:6], v[3:4], s6
	s_mov_b32 s6, 0
	s_mov_b32 s7, 0xc1f00000
	v_floor_f64_e32 v[5:6], v[5:6]
	v_fma_f64 v[3:4], v[5:6], s[6:7], v[3:4]
	v_cvt_u32_f64_e32 v3, v[3:4]
	global_store_byte v[1:2], v3, off
.LBB63_946:
	s_branch .LBB63_806
.LBB63_947:
	s_mov_b64 s[0:1], 0
	s_mov_b64 s[6:7], 0
                                        ; implicit-def: $sgpr16
                                        ; implicit-def: $vgpr0_vgpr1
.LBB63_948:
	s_andn2_b64 s[10:11], s[20:21], exec
	s_and_b64 s[8:9], s[8:9], exec
	s_and_b64 s[0:1], s[0:1], exec
	s_and_b64 s[6:7], s[6:7], exec
	s_or_b64 s[20:21], s[10:11], s[8:9]
.LBB63_949:
	s_or_b64 exec, exec, s[22:23]
	s_and_saveexec_b64 s[8:9], s[20:21]
	s_cbranch_execz .LBB63_952
; %bb.950:
	; divergent unreachable
	s_or_b64 exec, exec, s[8:9]
	s_and_saveexec_b64 s[8:9], s[6:7]
	s_xor_b64 s[6:7], exec, s[8:9]
	s_cbranch_execnz .LBB63_953
.LBB63_951:
	s_or_b64 exec, exec, s[6:7]
	s_and_saveexec_b64 s[6:7], s[0:1]
	s_cbranch_execnz .LBB63_954
	s_branch .LBB63_991
.LBB63_952:
	s_or_b64 exec, exec, s[8:9]
	s_and_saveexec_b64 s[8:9], s[6:7]
	s_xor_b64 s[6:7], exec, s[8:9]
	s_cbranch_execz .LBB63_951
.LBB63_953:
	v_cmp_neq_f64_e64 s[8:9], s[2:3], 0
	v_cmp_neq_f64_e64 s[10:11], s[4:5], 0
	s_or_b64 s[8:9], s[8:9], s[10:11]
	v_cndmask_b32_e64 v2, 0, 1, s[8:9]
	global_store_byte v[0:1], v2, off
	s_or_b64 exec, exec, s[6:7]
	s_and_saveexec_b64 s[6:7], s[0:1]
	s_cbranch_execz .LBB63_991
.LBB63_954:
	s_sext_i32_i16 s6, s16
	s_cmp_lt_i32 s6, 5
	s_mov_b64 s[0:1], -1
	s_cbranch_scc1 .LBB63_975
; %bb.955:
	s_cmp_lt_i32 s6, 8
	s_cbranch_scc1 .LBB63_965
; %bb.956:
	s_cmp_lt_i32 s6, 9
	s_cbranch_scc1 .LBB63_962
; %bb.957:
	s_cmp_gt_i32 s6, 9
	s_cbranch_scc0 .LBB63_959
; %bb.958:
	v_mov_b32_e32 v2, s2
	v_mov_b32_e32 v3, s3
	;; [unrolled: 1-line block ×4, first 2 shown]
	global_store_dwordx4 v[0:1], v[2:5], off
	s_mov_b64 s[0:1], 0
.LBB63_959:
	s_andn2_b64 vcc, exec, s[0:1]
	s_cbranch_vccnz .LBB63_961
; %bb.960:
	v_cvt_f32_f64_e32 v2, s[2:3]
	v_cvt_f32_f64_e32 v3, s[4:5]
	global_store_dwordx2 v[0:1], v[2:3], off
.LBB63_961:
	s_mov_b64 s[0:1], 0
.LBB63_962:
	s_andn2_b64 vcc, exec, s[0:1]
	s_cbranch_vccnz .LBB63_964
; %bb.963:
	s_lshr_b32 s0, s3, 8
	s_and_b32 s6, s0, 0xffe
	s_and_b32 s0, s3, 0x1ff
	s_or_b32 s0, s0, s2
	s_cmp_lg_u32 s0, 0
	s_cselect_b64 s[0:1], -1, 0
	v_cndmask_b32_e64 v2, 0, 1, s[0:1]
	v_readfirstlane_b32 s0, v2
	s_or_b32 s0, s6, s0
	s_bfe_u32 s6, s3, 0xb0014
	s_sub_i32 s7, 0x3f1, s6
	v_med3_i32 v2, s7, 0, 13
	s_or_b32 s1, s0, 0x1000
	v_readfirstlane_b32 s7, v2
	s_lshr_b32 s8, s1, s7
	s_lshl_b32 s7, s8, s7
	s_cmp_lg_u32 s7, s1
	s_cselect_b32 s1, 1, 0
	s_addk_i32 s6, 0xfc10
	s_lshl_b32 s7, s6, 12
	s_or_b32 s1, s8, s1
	s_or_b32 s7, s0, s7
	s_cmp_lt_i32 s6, 1
	s_cselect_b32 s1, s1, s7
	s_and_b32 s7, s1, 7
	s_cmp_gt_i32 s7, 5
	s_cselect_b32 s8, 1, 0
	s_cmp_eq_u32 s7, 3
	s_cselect_b32 s7, 1, 0
	s_or_b32 s7, s7, s8
	s_lshr_b32 s1, s1, 2
	s_add_i32 s1, s1, s7
	s_cmp_lt_i32 s6, 31
	s_cselect_b32 s1, s1, 0x7c00
	s_cmp_lg_u32 s0, 0
	s_movk_i32 s7, 0x7e00
	s_cselect_b32 s0, s7, 0x7c00
	s_cmpk_eq_i32 s6, 0x40f
	s_cselect_b32 s0, s0, s1
	s_lshr_b32 s1, s3, 16
	s_and_b32 s1, s1, 0x8000
	s_or_b32 s6, s1, s0
	s_lshr_b32 s0, s5, 8
	s_and_b32 s8, s0, 0xffe
	s_and_b32 s0, s5, 0x1ff
	s_or_b32 s0, s0, s4
	s_cmp_lg_u32 s0, 0
	s_cselect_b64 s[0:1], -1, 0
	v_cndmask_b32_e64 v2, 0, 1, s[0:1]
	v_readfirstlane_b32 s0, v2
	s_bfe_u32 s4, s5, 0xb0014
	s_or_b32 s0, s8, s0
	s_sub_i32 s8, 0x3f1, s4
	v_med3_i32 v2, s8, 0, 13
	s_or_b32 s1, s0, 0x1000
	v_readfirstlane_b32 s8, v2
	s_lshr_b32 s9, s1, s8
	s_lshl_b32 s8, s9, s8
	s_cmp_lg_u32 s8, s1
	s_cselect_b32 s1, 1, 0
	s_addk_i32 s4, 0xfc10
	s_lshl_b32 s8, s4, 12
	s_or_b32 s1, s9, s1
	s_or_b32 s8, s0, s8
	s_cmp_lt_i32 s4, 1
	s_cselect_b32 s1, s1, s8
	s_and_b32 s8, s1, 7
	s_cmp_gt_i32 s8, 5
	s_cselect_b32 s9, 1, 0
	s_cmp_eq_u32 s8, 3
	s_cselect_b32 s8, 1, 0
	s_or_b32 s8, s8, s9
	s_lshr_b32 s1, s1, 2
	s_add_i32 s1, s1, s8
	s_cmp_lt_i32 s4, 31
	s_cselect_b32 s1, s1, 0x7c00
	s_cmp_lg_u32 s0, 0
	s_cselect_b32 s0, s7, 0x7c00
	s_cmpk_eq_i32 s4, 0x40f
	s_cselect_b32 s0, s0, s1
	s_lshr_b32 s1, s5, 16
	s_and_b32 s1, s1, 0x8000
	s_or_b32 s0, s1, s0
	s_lshl_b32 s0, s0, 16
	s_and_b32 s1, s6, 0xffff
	s_or_b32 s0, s0, s1
	v_mov_b32_e32 v2, s0
	global_store_dword v[0:1], v2, off
.LBB63_964:
	s_mov_b64 s[0:1], 0
.LBB63_965:
	s_andn2_b64 vcc, exec, s[0:1]
	s_cbranch_vccnz .LBB63_974
; %bb.966:
	s_sext_i32_i16 s4, s16
	s_cmp_lt_i32 s4, 6
	s_mov_b64 s[0:1], -1
	s_cbranch_scc1 .LBB63_972
; %bb.967:
	s_cmp_gt_i32 s4, 6
	s_cbranch_scc0 .LBB63_969
; %bb.968:
	v_mov_b32_e32 v2, s2
	v_mov_b32_e32 v3, s3
	global_store_dwordx2 v[0:1], v[2:3], off
	s_mov_b64 s[0:1], 0
.LBB63_969:
	s_andn2_b64 vcc, exec, s[0:1]
	s_cbranch_vccnz .LBB63_971
; %bb.970:
	v_cvt_f32_f64_e32 v2, s[2:3]
	global_store_dword v[0:1], v2, off
.LBB63_971:
	s_mov_b64 s[0:1], 0
.LBB63_972:
	s_andn2_b64 vcc, exec, s[0:1]
	s_cbranch_vccnz .LBB63_974
; %bb.973:
	s_lshr_b32 s0, s3, 8
	s_and_b32 s4, s0, 0xffe
	s_and_b32 s0, s3, 0x1ff
	s_or_b32 s0, s0, s2
	s_cmp_lg_u32 s0, 0
	s_cselect_b64 s[0:1], -1, 0
	v_cndmask_b32_e64 v2, 0, 1, s[0:1]
	v_readfirstlane_b32 s0, v2
	s_or_b32 s0, s4, s0
	s_bfe_u32 s4, s3, 0xb0014
	s_sub_i32 s5, 0x3f1, s4
	v_med3_i32 v2, s5, 0, 13
	s_or_b32 s1, s0, 0x1000
	v_readfirstlane_b32 s5, v2
	s_lshr_b32 s6, s1, s5
	s_lshl_b32 s5, s6, s5
	s_cmp_lg_u32 s5, s1
	s_cselect_b32 s1, 1, 0
	s_addk_i32 s4, 0xfc10
	s_lshl_b32 s5, s4, 12
	s_or_b32 s1, s6, s1
	s_or_b32 s5, s0, s5
	s_cmp_lt_i32 s4, 1
	s_cselect_b32 s1, s1, s5
	s_and_b32 s5, s1, 7
	s_cmp_gt_i32 s5, 5
	s_cselect_b32 s6, 1, 0
	s_cmp_eq_u32 s5, 3
	s_cselect_b32 s5, 1, 0
	s_or_b32 s5, s5, s6
	s_lshr_b32 s1, s1, 2
	s_add_i32 s1, s1, s5
	s_cmp_lt_i32 s4, 31
	s_cselect_b32 s1, s1, 0x7c00
	s_cmp_lg_u32 s0, 0
	s_movk_i32 s0, 0x7e00
	s_cselect_b32 s0, s0, 0x7c00
	s_cmpk_eq_i32 s4, 0x40f
	s_cselect_b32 s0, s0, s1
	s_lshr_b32 s1, s3, 16
	s_and_b32 s1, s1, 0x8000
	s_or_b32 s0, s1, s0
	v_mov_b32_e32 v2, s0
	global_store_short v[0:1], v2, off
.LBB63_974:
	s_mov_b64 s[0:1], 0
.LBB63_975:
	s_andn2_b64 vcc, exec, s[0:1]
	s_cbranch_vccnz .LBB63_991
; %bb.976:
	s_sext_i32_i16 s4, s16
	s_cmp_lt_i32 s4, 2
	s_mov_b64 s[0:1], -1
	s_cbranch_scc1 .LBB63_986
; %bb.977:
	s_cmp_lt_i32 s4, 3
	s_cbranch_scc1 .LBB63_983
; %bb.978:
	s_cmp_gt_i32 s4, 3
	s_cbranch_scc0 .LBB63_980
; %bb.979:
	v_trunc_f64_e32 v[2:3], s[2:3]
	s_movk_i32 s0, 0xffe0
	v_ldexp_f64 v[4:5], v[2:3], s0
	s_mov_b32 s0, 0
	s_mov_b32 s1, 0xc1f00000
	v_floor_f64_e32 v[4:5], v[4:5]
	v_fma_f64 v[2:3], v[4:5], s[0:1], v[2:3]
	v_cvt_i32_f64_e32 v4, v[4:5]
	s_mov_b64 s[0:1], 0
	v_cvt_u32_f64_e32 v3, v[2:3]
	global_store_dwordx2 v[0:1], v[3:4], off
.LBB63_980:
	s_andn2_b64 vcc, exec, s[0:1]
	s_cbranch_vccnz .LBB63_982
; %bb.981:
	v_cvt_i32_f64_e32 v2, s[2:3]
	global_store_dword v[0:1], v2, off
.LBB63_982:
	s_mov_b64 s[0:1], 0
.LBB63_983:
	s_andn2_b64 vcc, exec, s[0:1]
	s_cbranch_vccnz .LBB63_985
; %bb.984:
	v_cvt_i32_f64_e32 v2, s[2:3]
	global_store_short v[0:1], v2, off
.LBB63_985:
	s_mov_b64 s[0:1], 0
.LBB63_986:
	s_andn2_b64 vcc, exec, s[0:1]
	s_cbranch_vccnz .LBB63_991
; %bb.987:
	s_sext_i32_i16 s0, s16
	s_cmp_gt_i32 s0, 0
	s_mov_b64 s[0:1], -1
	s_cbranch_scc0 .LBB63_989
; %bb.988:
	v_cvt_i32_f64_e32 v2, s[2:3]
	s_mov_b64 s[0:1], 0
	global_store_byte v[0:1], v2, off
.LBB63_989:
	s_andn2_b64 vcc, exec, s[0:1]
	s_cbranch_vccnz .LBB63_991
; %bb.990:
	v_trunc_f64_e32 v[2:3], s[2:3]
	s_movk_i32 s0, 0xffe0
	v_ldexp_f64 v[4:5], v[2:3], s0
	s_mov_b32 s0, 0
	s_mov_b32 s1, 0xc1f00000
	v_floor_f64_e32 v[4:5], v[4:5]
	v_fma_f64 v[2:3], v[4:5], s[0:1], v[2:3]
	v_cvt_u32_f64_e32 v2, v[2:3]
	global_store_byte v[0:1], v2, off
	s_endpgm
.LBB63_991:
	s_endpgm
.LBB63_992:
	s_trap 2
	s_or_b64 s[8:9], s[8:9], exec
	s_cbranch_execz .LBB63_907
	s_branch .LBB63_908
.LBB63_993:
	s_mov_b64 s[10:11], -1
	s_mov_b64 s[6:7], 0
                                        ; implicit-def: $sgpr13
.LBB63_994:
	s_andn2_b64 vcc, exec, s[10:11]
	v_mov_b32_e32 v2, s13
	s_cbranch_vccnz .LBB63_996
; %bb.995:
	v_mov_b32_e32 v2, 0x42800000
	v_add_f32_e64 v2, |s12|, v2
	v_and_b32_e32 v2, 0xff, v2
	v_cmp_ne_u32_e64 s[6:7], 0, v2
.LBB63_996:
	s_andn2_b64 vcc, exec, s[6:7]
	v_mov_b32_e32 v3, 0
	s_cbranch_vccnz .LBB63_998
; %bb.997:
	s_lshr_b32 s6, s12, 24
	s_and_b32 s6, s6, 0x80
	v_or_b32_e32 v3, s6, v2
.LBB63_998:
	s_mov_b64 s[6:7], 0
	global_store_byte v[0:1], v3, off
.LBB63_999:
	s_and_b64 vcc, exec, s[6:7]
	s_cbranch_vccz .LBB63_1011
; %bb.1000:
	v_cvt_f32_f64_e32 v2, s[2:3]
	v_readfirstlane_b32 s10, v2
	s_and_b32 s11, s10, 0x7fffffff
	s_cmp_lt_u32 s11, 0x43f00000
	s_cbranch_scc0 .LBB63_1003
; %bb.1001:
	s_cmp_gt_u32 s11, 0x3c7fffff
	s_cbranch_scc0 .LBB63_1004
; %bb.1002:
	s_bfe_u32 s6, s10, 0x10014
	s_add_i32 s6, s10, s6
	s_add_i32 s6, s6, 0x407ffff
	s_lshr_b32 s7, s6, 20
	s_and_b32 s6, s6, 0xff00000
	s_cmp_lg_u32 s6, 0x7f00000
	s_cselect_b32 s12, s7, 0x7e
	s_mov_b64 s[6:7], 0
	s_branch .LBB63_1005
.LBB63_1003:
	s_mov_b64 s[6:7], -1
                                        ; implicit-def: $vgpr3
	s_branch .LBB63_1008
.LBB63_1004:
	s_mov_b64 s[6:7], -1
                                        ; implicit-def: $sgpr12
.LBB63_1005:
	s_andn2_b64 vcc, exec, s[6:7]
	v_mov_b32_e32 v3, s12
	s_cbranch_vccnz .LBB63_1007
; %bb.1006:
	s_mov_b32 s6, 0x46800000
	v_add_f32_e64 v3, |v2|, s6
.LBB63_1007:
	s_mov_b64 s[6:7], 0
.LBB63_1008:
	s_andn2_b64 vcc, exec, s[6:7]
	s_cbranch_vccnz .LBB63_1010
; %bb.1009:
	s_cmp_gt_u32 s11, 0x7f800000
	s_movk_i32 s6, 0x7f
	s_cselect_b32 s6, s6, 0x7e
	v_mov_b32_e32 v3, s6
.LBB63_1010:
	s_lshr_b32 s6, s10, 24
	s_and_b32 s6, s6, 0x80
	v_or_b32_e32 v2, s6, v3
	global_store_byte v[0:1], v2, off
.LBB63_1011:
	s_mov_b64 s[6:7], 0
.LBB63_1012:
	s_andn2_b64 vcc, exec, s[6:7]
	s_cbranch_vccnz .LBB63_1024
; %bb.1013:
	v_cvt_f32_f64_e32 v2, s[2:3]
	v_readfirstlane_b32 s10, v2
	s_and_b32 s11, s10, 0x7fffffff
	s_cmp_lt_u32 s11, 0x47800000
	s_cbranch_scc0 .LBB63_1016
; %bb.1014:
	s_cmp_gt_u32 s11, 0x387fffff
	s_cbranch_scc0 .LBB63_1017
; %bb.1015:
	s_bfe_u32 s6, s10, 0x10015
	s_add_i32 s6, s10, s6
	s_add_i32 s6, s6, 0x80fffff
	s_lshr_b32 s12, s6, 21
	s_mov_b64 s[6:7], 0
	s_branch .LBB63_1018
.LBB63_1016:
	s_mov_b64 s[6:7], -1
                                        ; implicit-def: $vgpr3
	s_branch .LBB63_1021
.LBB63_1017:
	s_mov_b64 s[6:7], -1
                                        ; implicit-def: $sgpr12
.LBB63_1018:
	s_andn2_b64 vcc, exec, s[6:7]
	v_mov_b32_e32 v3, s12
	s_cbranch_vccnz .LBB63_1020
; %bb.1019:
	s_mov_b32 s6, 0x43000000
	v_add_f32_e64 v3, |v2|, s6
.LBB63_1020:
	s_mov_b64 s[6:7], 0
.LBB63_1021:
	s_andn2_b64 vcc, exec, s[6:7]
	s_cbranch_vccnz .LBB63_1023
; %bb.1022:
	s_cmp_gt_u32 s11, 0x7f800000
	s_movk_i32 s6, 0x7f
	s_cselect_b32 s6, s6, 0x7c
	v_mov_b32_e32 v3, s6
.LBB63_1023:
	s_lshr_b32 s6, s10, 24
	s_and_b32 s6, s6, 0x80
	v_or_b32_e32 v2, s6, v3
	global_store_byte v[0:1], v2, off
.LBB63_1024:
	s_mov_b64 s[6:7], 0
.LBB63_1025:
	s_andn2_b64 vcc, exec, s[6:7]
	s_mov_b64 s[6:7], 0
	s_cbranch_vccnz .LBB63_1032
; %bb.1026:
	s_cmp_gt_i32 s17, 14
	s_mov_b64 s[10:11], -1
	s_cbranch_scc0 .LBB63_1030
; %bb.1027:
	s_cmp_eq_u32 s17, 15
	s_mov_b64 s[0:1], -1
	s_cbranch_scc0 .LBB63_1029
; %bb.1028:
	v_cvt_f32_f64_e32 v2, s[2:3]
	v_mov_b32_e32 v3, 0x7fc0
	s_mov_b64 s[0:1], 0
	v_bfe_u32 v4, v2, 16, 1
	v_cmp_o_f32_e32 vcc, v2, v2
	v_add_u32_e32 v2, v2, v4
	v_add_u32_e32 v2, 0x7fff, v2
	v_cndmask_b32_sdwa v2, v3, v2, vcc dst_sel:DWORD dst_unused:UNUSED_PAD src0_sel:DWORD src1_sel:WORD_1
	global_store_short v[0:1], v2, off
.LBB63_1029:
	s_mov_b64 s[10:11], 0
.LBB63_1030:
	s_and_b64 vcc, exec, s[10:11]
	s_cbranch_vccz .LBB63_1032
; %bb.1031:
	s_cmp_lg_u32 s17, 11
	s_mov_b64 s[6:7], -1
	s_cselect_b64 s[0:1], -1, 0
.LBB63_1032:
	s_and_b64 vcc, exec, s[0:1]
	s_cbranch_vccnz .LBB63_1034
.LBB63_1033:
	s_mov_b64 s[0:1], 0
	s_branch .LBB63_948
.LBB63_1034:
	s_mov_b64 s[6:7], 0
	s_or_b64 s[8:9], s[8:9], exec
	s_trap 2
	s_branch .LBB63_1033
	.section	.rodata,"a",@progbits
	.p2align	6, 0x0
	.amdhsa_kernel _ZN2at6native32elementwise_kernel_manual_unrollILi128ELi4EZNS0_15gpu_kernel_implINS0_11FillFunctorIN3c107complexIdEEEEEEvRNS_18TensorIteratorBaseERKT_EUlibE0_EEviT1_
		.amdhsa_group_segment_fixed_size 0
		.amdhsa_private_segment_fixed_size 0
		.amdhsa_kernarg_size 320
		.amdhsa_user_sgpr_count 6
		.amdhsa_user_sgpr_private_segment_buffer 1
		.amdhsa_user_sgpr_dispatch_ptr 0
		.amdhsa_user_sgpr_queue_ptr 0
		.amdhsa_user_sgpr_kernarg_segment_ptr 1
		.amdhsa_user_sgpr_dispatch_id 0
		.amdhsa_user_sgpr_flat_scratch_init 0
		.amdhsa_user_sgpr_private_segment_size 0
		.amdhsa_uses_dynamic_stack 0
		.amdhsa_system_sgpr_private_segment_wavefront_offset 0
		.amdhsa_system_sgpr_workgroup_id_x 1
		.amdhsa_system_sgpr_workgroup_id_y 0
		.amdhsa_system_sgpr_workgroup_id_z 0
		.amdhsa_system_sgpr_workgroup_info 0
		.amdhsa_system_vgpr_workitem_id 0
		.amdhsa_next_free_vgpr 25
		.amdhsa_next_free_sgpr 96
		.amdhsa_reserve_vcc 1
		.amdhsa_reserve_flat_scratch 0
		.amdhsa_float_round_mode_32 0
		.amdhsa_float_round_mode_16_64 0
		.amdhsa_float_denorm_mode_32 3
		.amdhsa_float_denorm_mode_16_64 3
		.amdhsa_dx10_clamp 1
		.amdhsa_ieee_mode 1
		.amdhsa_fp16_overflow 0
		.amdhsa_exception_fp_ieee_invalid_op 0
		.amdhsa_exception_fp_denorm_src 0
		.amdhsa_exception_fp_ieee_div_zero 0
		.amdhsa_exception_fp_ieee_overflow 0
		.amdhsa_exception_fp_ieee_underflow 0
		.amdhsa_exception_fp_ieee_inexact 0
		.amdhsa_exception_int_div_zero 0
	.end_amdhsa_kernel
	.section	.text._ZN2at6native32elementwise_kernel_manual_unrollILi128ELi4EZNS0_15gpu_kernel_implINS0_11FillFunctorIN3c107complexIdEEEEEEvRNS_18TensorIteratorBaseERKT_EUlibE0_EEviT1_,"axG",@progbits,_ZN2at6native32elementwise_kernel_manual_unrollILi128ELi4EZNS0_15gpu_kernel_implINS0_11FillFunctorIN3c107complexIdEEEEEEvRNS_18TensorIteratorBaseERKT_EUlibE0_EEviT1_,comdat
.Lfunc_end63:
	.size	_ZN2at6native32elementwise_kernel_manual_unrollILi128ELi4EZNS0_15gpu_kernel_implINS0_11FillFunctorIN3c107complexIdEEEEEEvRNS_18TensorIteratorBaseERKT_EUlibE0_EEviT1_, .Lfunc_end63-_ZN2at6native32elementwise_kernel_manual_unrollILi128ELi4EZNS0_15gpu_kernel_implINS0_11FillFunctorIN3c107complexIdEEEEEEvRNS_18TensorIteratorBaseERKT_EUlibE0_EEviT1_
                                        ; -- End function
	.set _ZN2at6native32elementwise_kernel_manual_unrollILi128ELi4EZNS0_15gpu_kernel_implINS0_11FillFunctorIN3c107complexIdEEEEEEvRNS_18TensorIteratorBaseERKT_EUlibE0_EEviT1_.num_vgpr, 25
	.set _ZN2at6native32elementwise_kernel_manual_unrollILi128ELi4EZNS0_15gpu_kernel_implINS0_11FillFunctorIN3c107complexIdEEEEEEvRNS_18TensorIteratorBaseERKT_EUlibE0_EEviT1_.num_agpr, 0
	.set _ZN2at6native32elementwise_kernel_manual_unrollILi128ELi4EZNS0_15gpu_kernel_implINS0_11FillFunctorIN3c107complexIdEEEEEEvRNS_18TensorIteratorBaseERKT_EUlibE0_EEviT1_.numbered_sgpr, 96
	.set _ZN2at6native32elementwise_kernel_manual_unrollILi128ELi4EZNS0_15gpu_kernel_implINS0_11FillFunctorIN3c107complexIdEEEEEEvRNS_18TensorIteratorBaseERKT_EUlibE0_EEviT1_.num_named_barrier, 0
	.set _ZN2at6native32elementwise_kernel_manual_unrollILi128ELi4EZNS0_15gpu_kernel_implINS0_11FillFunctorIN3c107complexIdEEEEEEvRNS_18TensorIteratorBaseERKT_EUlibE0_EEviT1_.private_seg_size, 0
	.set _ZN2at6native32elementwise_kernel_manual_unrollILi128ELi4EZNS0_15gpu_kernel_implINS0_11FillFunctorIN3c107complexIdEEEEEEvRNS_18TensorIteratorBaseERKT_EUlibE0_EEviT1_.uses_vcc, 1
	.set _ZN2at6native32elementwise_kernel_manual_unrollILi128ELi4EZNS0_15gpu_kernel_implINS0_11FillFunctorIN3c107complexIdEEEEEEvRNS_18TensorIteratorBaseERKT_EUlibE0_EEviT1_.uses_flat_scratch, 0
	.set _ZN2at6native32elementwise_kernel_manual_unrollILi128ELi4EZNS0_15gpu_kernel_implINS0_11FillFunctorIN3c107complexIdEEEEEEvRNS_18TensorIteratorBaseERKT_EUlibE0_EEviT1_.has_dyn_sized_stack, 0
	.set _ZN2at6native32elementwise_kernel_manual_unrollILi128ELi4EZNS0_15gpu_kernel_implINS0_11FillFunctorIN3c107complexIdEEEEEEvRNS_18TensorIteratorBaseERKT_EUlibE0_EEviT1_.has_recursion, 0
	.set _ZN2at6native32elementwise_kernel_manual_unrollILi128ELi4EZNS0_15gpu_kernel_implINS0_11FillFunctorIN3c107complexIdEEEEEEvRNS_18TensorIteratorBaseERKT_EUlibE0_EEviT1_.has_indirect_call, 0
	.section	.AMDGPU.csdata,"",@progbits
; Kernel info:
; codeLenInByte = 21044
; TotalNumSgprs: 100
; NumVgprs: 25
; ScratchSize: 0
; MemoryBound: 0
; FloatMode: 240
; IeeeMode: 1
; LDSByteSize: 0 bytes/workgroup (compile time only)
; SGPRBlocks: 12
; VGPRBlocks: 6
; NumSGPRsForWavesPerEU: 100
; NumVGPRsForWavesPerEU: 25
; Occupancy: 8
; WaveLimiterHint : 1
; COMPUTE_PGM_RSRC2:SCRATCH_EN: 0
; COMPUTE_PGM_RSRC2:USER_SGPR: 6
; COMPUTE_PGM_RSRC2:TRAP_HANDLER: 0
; COMPUTE_PGM_RSRC2:TGID_X_EN: 1
; COMPUTE_PGM_RSRC2:TGID_Y_EN: 0
; COMPUTE_PGM_RSRC2:TGID_Z_EN: 0
; COMPUTE_PGM_RSRC2:TIDIG_COMP_CNT: 0
	.section	.text._ZN2at6native29vectorized_elementwise_kernelILi16ENS0_11FillFunctorIN3c107complexIfEEEESt5arrayIPcLm1EEEEviT0_T1_,"axG",@progbits,_ZN2at6native29vectorized_elementwise_kernelILi16ENS0_11FillFunctorIN3c107complexIfEEEESt5arrayIPcLm1EEEEviT0_T1_,comdat
	.protected	_ZN2at6native29vectorized_elementwise_kernelILi16ENS0_11FillFunctorIN3c107complexIfEEEESt5arrayIPcLm1EEEEviT0_T1_ ; -- Begin function _ZN2at6native29vectorized_elementwise_kernelILi16ENS0_11FillFunctorIN3c107complexIfEEEESt5arrayIPcLm1EEEEviT0_T1_
	.globl	_ZN2at6native29vectorized_elementwise_kernelILi16ENS0_11FillFunctorIN3c107complexIfEEEESt5arrayIPcLm1EEEEviT0_T1_
	.p2align	8
	.type	_ZN2at6native29vectorized_elementwise_kernelILi16ENS0_11FillFunctorIN3c107complexIfEEEESt5arrayIPcLm1EEEEviT0_T1_,@function
_ZN2at6native29vectorized_elementwise_kernelILi16ENS0_11FillFunctorIN3c107complexIfEEEESt5arrayIPcLm1EEEEviT0_T1_: ; @_ZN2at6native29vectorized_elementwise_kernelILi16ENS0_11FillFunctorIN3c107complexIfEEEESt5arrayIPcLm1EEEEviT0_T1_
; %bb.0:
	s_load_dword s7, s[4:5], 0x0
	s_load_dwordx4 s[0:3], s[4:5], 0x8
	s_lshl_b32 s4, s6, 10
	s_waitcnt lgkmcnt(0)
	s_sub_i32 s8, s7, s4
	s_cmpk_gt_i32 s8, 0x3ff
	s_mov_b64 s[6:7], -1
	s_cbranch_scc0 .LBB64_2
; %bb.1:
	s_ashr_i32 s5, s4, 31
	s_lshl_b64 s[6:7], s[4:5], 3
	s_mov_b32 s12, s0
	s_add_u32 s6, s2, s6
	s_mov_b32 s13, s1
	s_mov_b32 s14, s0
	;; [unrolled: 1-line block ×3, first 2 shown]
	v_mov_b32_e32 v1, s12
	s_addc_u32 s7, s3, s7
	v_lshlrev_b32_e32 v5, 5, v0
	v_mov_b32_e32 v2, s13
	v_mov_b32_e32 v3, s14
	;; [unrolled: 1-line block ×3, first 2 shown]
	global_store_dwordx4 v5, v[1:4], s[6:7]
	global_store_dwordx4 v5, v[1:4], s[6:7] offset:16
	s_mov_b64 s[6:7], 0
.LBB64_2:
	s_andn2_b64 vcc, exec, s[6:7]
	s_cbranch_vccnz .LBB64_8
; %bb.3:
	v_cmp_gt_i32_e32 vcc, s8, v0
	v_or_b32_e32 v2, 0x100, v0
	v_mov_b32_e32 v1, v0
	s_and_saveexec_b64 s[6:7], vcc
	s_cbranch_execnz .LBB64_9
; %bb.4:
	s_or_b64 exec, exec, s[6:7]
	v_cmp_gt_i32_e32 vcc, s8, v1
	s_and_saveexec_b64 s[6:7], vcc
	s_cbranch_execnz .LBB64_10
.LBB64_5:
	s_or_b64 exec, exec, s[6:7]
	v_cmp_gt_i32_e32 vcc, s8, v1
	s_and_saveexec_b64 s[6:7], vcc
	s_cbranch_execnz .LBB64_11
.LBB64_6:
	s_or_b64 exec, exec, s[6:7]
	v_cmp_gt_i32_e32 vcc, s8, v1
	s_and_saveexec_b64 s[6:7], vcc
	s_cbranch_execz .LBB64_8
.LBB64_7:
	v_or_b32_e32 v0, 0x300, v0
	v_mov_b32_e32 v2, s1
	v_cmp_gt_i32_e32 vcc, s8, v0
	v_mov_b32_e32 v0, s0
	v_cndmask_b32_e32 v3, 0, v2, vcc
	v_cndmask_b32_e32 v2, 0, v0, vcc
	v_add_u32_e32 v0, s4, v1
	v_mov_b32_e32 v1, 0
	v_lshlrev_b64 v[0:1], 3, v[0:1]
	v_mov_b32_e32 v4, s3
	v_add_co_u32_e32 v0, vcc, s2, v0
	v_addc_co_u32_e32 v1, vcc, v4, v1, vcc
	global_store_dwordx2 v[0:1], v[2:3], off
.LBB64_8:
	s_endpgm
.LBB64_9:
	v_or_b32_e32 v3, s4, v0
	v_mov_b32_e32 v4, 0
	v_lshlrev_b64 v[3:4], 3, v[3:4]
	v_mov_b32_e32 v1, s3
	v_add_co_u32_e32 v3, vcc, s2, v3
	v_addc_co_u32_e32 v4, vcc, v1, v4, vcc
	v_mov_b32_e32 v5, s0
	v_mov_b32_e32 v6, s1
	;; [unrolled: 1-line block ×3, first 2 shown]
	global_store_dwordx2 v[3:4], v[5:6], off
	s_or_b64 exec, exec, s[6:7]
	v_cmp_gt_i32_e32 vcc, s8, v1
	s_and_saveexec_b64 s[6:7], vcc
	s_cbranch_execz .LBB64_5
.LBB64_10:
	v_add_u32_e32 v4, s4, v1
	v_mov_b32_e32 v5, 0
	v_lshlrev_b64 v[4:5], 3, v[4:5]
	v_mov_b32_e32 v3, s1
	v_cmp_gt_i32_e32 vcc, s8, v2
	v_mov_b32_e32 v2, s0
	v_cndmask_b32_e32 v3, 0, v3, vcc
	v_cndmask_b32_e32 v2, 0, v2, vcc
	v_add_u32_e32 v6, 0x100, v1
	v_mov_b32_e32 v1, s3
	v_add_co_u32_e32 v4, vcc, s2, v4
	v_addc_co_u32_e32 v5, vcc, v1, v5, vcc
	v_mov_b32_e32 v1, v6
	global_store_dwordx2 v[4:5], v[2:3], off
	s_or_b64 exec, exec, s[6:7]
	v_cmp_gt_i32_e32 vcc, s8, v1
	s_and_saveexec_b64 s[6:7], vcc
	s_cbranch_execz .LBB64_6
.LBB64_11:
	v_add_u32_e32 v4, s4, v1
	v_mov_b32_e32 v5, 0
	v_or_b32_e32 v2, 0x200, v0
	v_lshlrev_b64 v[4:5], 3, v[4:5]
	v_mov_b32_e32 v3, s1
	v_cmp_gt_i32_e32 vcc, s8, v2
	v_mov_b32_e32 v2, s0
	v_cndmask_b32_e32 v3, 0, v3, vcc
	v_cndmask_b32_e32 v2, 0, v2, vcc
	v_add_u32_e32 v6, 0x100, v1
	v_mov_b32_e32 v1, s3
	v_add_co_u32_e32 v4, vcc, s2, v4
	v_addc_co_u32_e32 v5, vcc, v1, v5, vcc
	v_mov_b32_e32 v1, v6
	global_store_dwordx2 v[4:5], v[2:3], off
	s_or_b64 exec, exec, s[6:7]
	v_cmp_gt_i32_e32 vcc, s8, v1
	s_and_saveexec_b64 s[6:7], vcc
	s_cbranch_execnz .LBB64_7
	s_branch .LBB64_8
	.section	.rodata,"a",@progbits
	.p2align	6, 0x0
	.amdhsa_kernel _ZN2at6native29vectorized_elementwise_kernelILi16ENS0_11FillFunctorIN3c107complexIfEEEESt5arrayIPcLm1EEEEviT0_T1_
		.amdhsa_group_segment_fixed_size 0
		.amdhsa_private_segment_fixed_size 0
		.amdhsa_kernarg_size 24
		.amdhsa_user_sgpr_count 6
		.amdhsa_user_sgpr_private_segment_buffer 1
		.amdhsa_user_sgpr_dispatch_ptr 0
		.amdhsa_user_sgpr_queue_ptr 0
		.amdhsa_user_sgpr_kernarg_segment_ptr 1
		.amdhsa_user_sgpr_dispatch_id 0
		.amdhsa_user_sgpr_flat_scratch_init 0
		.amdhsa_user_sgpr_private_segment_size 0
		.amdhsa_uses_dynamic_stack 0
		.amdhsa_system_sgpr_private_segment_wavefront_offset 0
		.amdhsa_system_sgpr_workgroup_id_x 1
		.amdhsa_system_sgpr_workgroup_id_y 0
		.amdhsa_system_sgpr_workgroup_id_z 0
		.amdhsa_system_sgpr_workgroup_info 0
		.amdhsa_system_vgpr_workitem_id 0
		.amdhsa_next_free_vgpr 7
		.amdhsa_next_free_sgpr 16
		.amdhsa_reserve_vcc 1
		.amdhsa_reserve_flat_scratch 0
		.amdhsa_float_round_mode_32 0
		.amdhsa_float_round_mode_16_64 0
		.amdhsa_float_denorm_mode_32 3
		.amdhsa_float_denorm_mode_16_64 3
		.amdhsa_dx10_clamp 1
		.amdhsa_ieee_mode 1
		.amdhsa_fp16_overflow 0
		.amdhsa_exception_fp_ieee_invalid_op 0
		.amdhsa_exception_fp_denorm_src 0
		.amdhsa_exception_fp_ieee_div_zero 0
		.amdhsa_exception_fp_ieee_overflow 0
		.amdhsa_exception_fp_ieee_underflow 0
		.amdhsa_exception_fp_ieee_inexact 0
		.amdhsa_exception_int_div_zero 0
	.end_amdhsa_kernel
	.section	.text._ZN2at6native29vectorized_elementwise_kernelILi16ENS0_11FillFunctorIN3c107complexIfEEEESt5arrayIPcLm1EEEEviT0_T1_,"axG",@progbits,_ZN2at6native29vectorized_elementwise_kernelILi16ENS0_11FillFunctorIN3c107complexIfEEEESt5arrayIPcLm1EEEEviT0_T1_,comdat
.Lfunc_end64:
	.size	_ZN2at6native29vectorized_elementwise_kernelILi16ENS0_11FillFunctorIN3c107complexIfEEEESt5arrayIPcLm1EEEEviT0_T1_, .Lfunc_end64-_ZN2at6native29vectorized_elementwise_kernelILi16ENS0_11FillFunctorIN3c107complexIfEEEESt5arrayIPcLm1EEEEviT0_T1_
                                        ; -- End function
	.set _ZN2at6native29vectorized_elementwise_kernelILi16ENS0_11FillFunctorIN3c107complexIfEEEESt5arrayIPcLm1EEEEviT0_T1_.num_vgpr, 7
	.set _ZN2at6native29vectorized_elementwise_kernelILi16ENS0_11FillFunctorIN3c107complexIfEEEESt5arrayIPcLm1EEEEviT0_T1_.num_agpr, 0
	.set _ZN2at6native29vectorized_elementwise_kernelILi16ENS0_11FillFunctorIN3c107complexIfEEEESt5arrayIPcLm1EEEEviT0_T1_.numbered_sgpr, 16
	.set _ZN2at6native29vectorized_elementwise_kernelILi16ENS0_11FillFunctorIN3c107complexIfEEEESt5arrayIPcLm1EEEEviT0_T1_.num_named_barrier, 0
	.set _ZN2at6native29vectorized_elementwise_kernelILi16ENS0_11FillFunctorIN3c107complexIfEEEESt5arrayIPcLm1EEEEviT0_T1_.private_seg_size, 0
	.set _ZN2at6native29vectorized_elementwise_kernelILi16ENS0_11FillFunctorIN3c107complexIfEEEESt5arrayIPcLm1EEEEviT0_T1_.uses_vcc, 1
	.set _ZN2at6native29vectorized_elementwise_kernelILi16ENS0_11FillFunctorIN3c107complexIfEEEESt5arrayIPcLm1EEEEviT0_T1_.uses_flat_scratch, 0
	.set _ZN2at6native29vectorized_elementwise_kernelILi16ENS0_11FillFunctorIN3c107complexIfEEEESt5arrayIPcLm1EEEEviT0_T1_.has_dyn_sized_stack, 0
	.set _ZN2at6native29vectorized_elementwise_kernelILi16ENS0_11FillFunctorIN3c107complexIfEEEESt5arrayIPcLm1EEEEviT0_T1_.has_recursion, 0
	.set _ZN2at6native29vectorized_elementwise_kernelILi16ENS0_11FillFunctorIN3c107complexIfEEEESt5arrayIPcLm1EEEEviT0_T1_.has_indirect_call, 0
	.section	.AMDGPU.csdata,"",@progbits
; Kernel info:
; codeLenInByte = 504
; TotalNumSgprs: 20
; NumVgprs: 7
; ScratchSize: 0
; MemoryBound: 0
; FloatMode: 240
; IeeeMode: 1
; LDSByteSize: 0 bytes/workgroup (compile time only)
; SGPRBlocks: 2
; VGPRBlocks: 1
; NumSGPRsForWavesPerEU: 20
; NumVGPRsForWavesPerEU: 7
; Occupancy: 10
; WaveLimiterHint : 0
; COMPUTE_PGM_RSRC2:SCRATCH_EN: 0
; COMPUTE_PGM_RSRC2:USER_SGPR: 6
; COMPUTE_PGM_RSRC2:TRAP_HANDLER: 0
; COMPUTE_PGM_RSRC2:TGID_X_EN: 1
; COMPUTE_PGM_RSRC2:TGID_Y_EN: 0
; COMPUTE_PGM_RSRC2:TGID_Z_EN: 0
; COMPUTE_PGM_RSRC2:TIDIG_COMP_CNT: 0
	.section	.text._ZN2at6native29vectorized_elementwise_kernelILi8ENS0_11FillFunctorIN3c107complexIfEEEESt5arrayIPcLm1EEEEviT0_T1_,"axG",@progbits,_ZN2at6native29vectorized_elementwise_kernelILi8ENS0_11FillFunctorIN3c107complexIfEEEESt5arrayIPcLm1EEEEviT0_T1_,comdat
	.protected	_ZN2at6native29vectorized_elementwise_kernelILi8ENS0_11FillFunctorIN3c107complexIfEEEESt5arrayIPcLm1EEEEviT0_T1_ ; -- Begin function _ZN2at6native29vectorized_elementwise_kernelILi8ENS0_11FillFunctorIN3c107complexIfEEEESt5arrayIPcLm1EEEEviT0_T1_
	.globl	_ZN2at6native29vectorized_elementwise_kernelILi8ENS0_11FillFunctorIN3c107complexIfEEEESt5arrayIPcLm1EEEEviT0_T1_
	.p2align	8
	.type	_ZN2at6native29vectorized_elementwise_kernelILi8ENS0_11FillFunctorIN3c107complexIfEEEESt5arrayIPcLm1EEEEviT0_T1_,@function
_ZN2at6native29vectorized_elementwise_kernelILi8ENS0_11FillFunctorIN3c107complexIfEEEESt5arrayIPcLm1EEEEviT0_T1_: ; @_ZN2at6native29vectorized_elementwise_kernelILi8ENS0_11FillFunctorIN3c107complexIfEEEESt5arrayIPcLm1EEEEviT0_T1_
; %bb.0:
	s_load_dword s7, s[4:5], 0x0
	s_load_dwordx4 s[0:3], s[4:5], 0x8
	s_lshl_b32 s4, s6, 10
	s_waitcnt lgkmcnt(0)
	s_sub_i32 s8, s7, s4
	s_cmpk_gt_i32 s8, 0x3ff
	s_mov_b64 s[6:7], -1
	s_cbranch_scc0 .LBB65_2
; %bb.1:
	s_ashr_i32 s5, s4, 31
	s_lshl_b64 s[6:7], s[4:5], 3
	s_mov_b32 s12, s0
	s_add_u32 s6, s2, s6
	s_mov_b32 s13, s1
	s_mov_b32 s14, s0
	;; [unrolled: 1-line block ×3, first 2 shown]
	v_mov_b32_e32 v1, s12
	s_addc_u32 s7, s3, s7
	v_lshlrev_b32_e32 v5, 5, v0
	v_mov_b32_e32 v2, s13
	v_mov_b32_e32 v3, s14
	;; [unrolled: 1-line block ×3, first 2 shown]
	global_store_dwordx4 v5, v[1:4], s[6:7]
	global_store_dwordx4 v5, v[1:4], s[6:7] offset:16
	s_mov_b64 s[6:7], 0
.LBB65_2:
	s_andn2_b64 vcc, exec, s[6:7]
	s_cbranch_vccnz .LBB65_8
; %bb.3:
	v_cmp_gt_i32_e32 vcc, s8, v0
	v_or_b32_e32 v2, 0x100, v0
	v_mov_b32_e32 v1, v0
	s_and_saveexec_b64 s[6:7], vcc
	s_cbranch_execnz .LBB65_9
; %bb.4:
	s_or_b64 exec, exec, s[6:7]
	v_cmp_gt_i32_e32 vcc, s8, v1
	s_and_saveexec_b64 s[6:7], vcc
	s_cbranch_execnz .LBB65_10
.LBB65_5:
	s_or_b64 exec, exec, s[6:7]
	v_cmp_gt_i32_e32 vcc, s8, v1
	s_and_saveexec_b64 s[6:7], vcc
	s_cbranch_execnz .LBB65_11
.LBB65_6:
	s_or_b64 exec, exec, s[6:7]
	v_cmp_gt_i32_e32 vcc, s8, v1
	s_and_saveexec_b64 s[6:7], vcc
	s_cbranch_execz .LBB65_8
.LBB65_7:
	v_or_b32_e32 v0, 0x300, v0
	v_mov_b32_e32 v2, s1
	v_cmp_gt_i32_e32 vcc, s8, v0
	v_mov_b32_e32 v0, s0
	v_cndmask_b32_e32 v3, 0, v2, vcc
	v_cndmask_b32_e32 v2, 0, v0, vcc
	v_add_u32_e32 v0, s4, v1
	v_mov_b32_e32 v1, 0
	v_lshlrev_b64 v[0:1], 3, v[0:1]
	v_mov_b32_e32 v4, s3
	v_add_co_u32_e32 v0, vcc, s2, v0
	v_addc_co_u32_e32 v1, vcc, v4, v1, vcc
	global_store_dwordx2 v[0:1], v[2:3], off
.LBB65_8:
	s_endpgm
.LBB65_9:
	v_or_b32_e32 v3, s4, v0
	v_mov_b32_e32 v4, 0
	v_lshlrev_b64 v[3:4], 3, v[3:4]
	v_mov_b32_e32 v1, s3
	v_add_co_u32_e32 v3, vcc, s2, v3
	v_addc_co_u32_e32 v4, vcc, v1, v4, vcc
	v_mov_b32_e32 v5, s0
	v_mov_b32_e32 v6, s1
	;; [unrolled: 1-line block ×3, first 2 shown]
	global_store_dwordx2 v[3:4], v[5:6], off
	s_or_b64 exec, exec, s[6:7]
	v_cmp_gt_i32_e32 vcc, s8, v1
	s_and_saveexec_b64 s[6:7], vcc
	s_cbranch_execz .LBB65_5
.LBB65_10:
	v_add_u32_e32 v4, s4, v1
	v_mov_b32_e32 v5, 0
	v_lshlrev_b64 v[4:5], 3, v[4:5]
	v_mov_b32_e32 v3, s1
	v_cmp_gt_i32_e32 vcc, s8, v2
	v_mov_b32_e32 v2, s0
	v_cndmask_b32_e32 v3, 0, v3, vcc
	v_cndmask_b32_e32 v2, 0, v2, vcc
	v_add_u32_e32 v6, 0x100, v1
	v_mov_b32_e32 v1, s3
	v_add_co_u32_e32 v4, vcc, s2, v4
	v_addc_co_u32_e32 v5, vcc, v1, v5, vcc
	v_mov_b32_e32 v1, v6
	global_store_dwordx2 v[4:5], v[2:3], off
	s_or_b64 exec, exec, s[6:7]
	v_cmp_gt_i32_e32 vcc, s8, v1
	s_and_saveexec_b64 s[6:7], vcc
	s_cbranch_execz .LBB65_6
.LBB65_11:
	v_add_u32_e32 v4, s4, v1
	v_mov_b32_e32 v5, 0
	v_or_b32_e32 v2, 0x200, v0
	v_lshlrev_b64 v[4:5], 3, v[4:5]
	v_mov_b32_e32 v3, s1
	v_cmp_gt_i32_e32 vcc, s8, v2
	v_mov_b32_e32 v2, s0
	v_cndmask_b32_e32 v3, 0, v3, vcc
	v_cndmask_b32_e32 v2, 0, v2, vcc
	v_add_u32_e32 v6, 0x100, v1
	v_mov_b32_e32 v1, s3
	v_add_co_u32_e32 v4, vcc, s2, v4
	v_addc_co_u32_e32 v5, vcc, v1, v5, vcc
	v_mov_b32_e32 v1, v6
	global_store_dwordx2 v[4:5], v[2:3], off
	s_or_b64 exec, exec, s[6:7]
	v_cmp_gt_i32_e32 vcc, s8, v1
	s_and_saveexec_b64 s[6:7], vcc
	s_cbranch_execnz .LBB65_7
	s_branch .LBB65_8
	.section	.rodata,"a",@progbits
	.p2align	6, 0x0
	.amdhsa_kernel _ZN2at6native29vectorized_elementwise_kernelILi8ENS0_11FillFunctorIN3c107complexIfEEEESt5arrayIPcLm1EEEEviT0_T1_
		.amdhsa_group_segment_fixed_size 0
		.amdhsa_private_segment_fixed_size 0
		.amdhsa_kernarg_size 24
		.amdhsa_user_sgpr_count 6
		.amdhsa_user_sgpr_private_segment_buffer 1
		.amdhsa_user_sgpr_dispatch_ptr 0
		.amdhsa_user_sgpr_queue_ptr 0
		.amdhsa_user_sgpr_kernarg_segment_ptr 1
		.amdhsa_user_sgpr_dispatch_id 0
		.amdhsa_user_sgpr_flat_scratch_init 0
		.amdhsa_user_sgpr_private_segment_size 0
		.amdhsa_uses_dynamic_stack 0
		.amdhsa_system_sgpr_private_segment_wavefront_offset 0
		.amdhsa_system_sgpr_workgroup_id_x 1
		.amdhsa_system_sgpr_workgroup_id_y 0
		.amdhsa_system_sgpr_workgroup_id_z 0
		.amdhsa_system_sgpr_workgroup_info 0
		.amdhsa_system_vgpr_workitem_id 0
		.amdhsa_next_free_vgpr 7
		.amdhsa_next_free_sgpr 16
		.amdhsa_reserve_vcc 1
		.amdhsa_reserve_flat_scratch 0
		.amdhsa_float_round_mode_32 0
		.amdhsa_float_round_mode_16_64 0
		.amdhsa_float_denorm_mode_32 3
		.amdhsa_float_denorm_mode_16_64 3
		.amdhsa_dx10_clamp 1
		.amdhsa_ieee_mode 1
		.amdhsa_fp16_overflow 0
		.amdhsa_exception_fp_ieee_invalid_op 0
		.amdhsa_exception_fp_denorm_src 0
		.amdhsa_exception_fp_ieee_div_zero 0
		.amdhsa_exception_fp_ieee_overflow 0
		.amdhsa_exception_fp_ieee_underflow 0
		.amdhsa_exception_fp_ieee_inexact 0
		.amdhsa_exception_int_div_zero 0
	.end_amdhsa_kernel
	.section	.text._ZN2at6native29vectorized_elementwise_kernelILi8ENS0_11FillFunctorIN3c107complexIfEEEESt5arrayIPcLm1EEEEviT0_T1_,"axG",@progbits,_ZN2at6native29vectorized_elementwise_kernelILi8ENS0_11FillFunctorIN3c107complexIfEEEESt5arrayIPcLm1EEEEviT0_T1_,comdat
.Lfunc_end65:
	.size	_ZN2at6native29vectorized_elementwise_kernelILi8ENS0_11FillFunctorIN3c107complexIfEEEESt5arrayIPcLm1EEEEviT0_T1_, .Lfunc_end65-_ZN2at6native29vectorized_elementwise_kernelILi8ENS0_11FillFunctorIN3c107complexIfEEEESt5arrayIPcLm1EEEEviT0_T1_
                                        ; -- End function
	.set _ZN2at6native29vectorized_elementwise_kernelILi8ENS0_11FillFunctorIN3c107complexIfEEEESt5arrayIPcLm1EEEEviT0_T1_.num_vgpr, 7
	.set _ZN2at6native29vectorized_elementwise_kernelILi8ENS0_11FillFunctorIN3c107complexIfEEEESt5arrayIPcLm1EEEEviT0_T1_.num_agpr, 0
	.set _ZN2at6native29vectorized_elementwise_kernelILi8ENS0_11FillFunctorIN3c107complexIfEEEESt5arrayIPcLm1EEEEviT0_T1_.numbered_sgpr, 16
	.set _ZN2at6native29vectorized_elementwise_kernelILi8ENS0_11FillFunctorIN3c107complexIfEEEESt5arrayIPcLm1EEEEviT0_T1_.num_named_barrier, 0
	.set _ZN2at6native29vectorized_elementwise_kernelILi8ENS0_11FillFunctorIN3c107complexIfEEEESt5arrayIPcLm1EEEEviT0_T1_.private_seg_size, 0
	.set _ZN2at6native29vectorized_elementwise_kernelILi8ENS0_11FillFunctorIN3c107complexIfEEEESt5arrayIPcLm1EEEEviT0_T1_.uses_vcc, 1
	.set _ZN2at6native29vectorized_elementwise_kernelILi8ENS0_11FillFunctorIN3c107complexIfEEEESt5arrayIPcLm1EEEEviT0_T1_.uses_flat_scratch, 0
	.set _ZN2at6native29vectorized_elementwise_kernelILi8ENS0_11FillFunctorIN3c107complexIfEEEESt5arrayIPcLm1EEEEviT0_T1_.has_dyn_sized_stack, 0
	.set _ZN2at6native29vectorized_elementwise_kernelILi8ENS0_11FillFunctorIN3c107complexIfEEEESt5arrayIPcLm1EEEEviT0_T1_.has_recursion, 0
	.set _ZN2at6native29vectorized_elementwise_kernelILi8ENS0_11FillFunctorIN3c107complexIfEEEESt5arrayIPcLm1EEEEviT0_T1_.has_indirect_call, 0
	.section	.AMDGPU.csdata,"",@progbits
; Kernel info:
; codeLenInByte = 504
; TotalNumSgprs: 20
; NumVgprs: 7
; ScratchSize: 0
; MemoryBound: 0
; FloatMode: 240
; IeeeMode: 1
; LDSByteSize: 0 bytes/workgroup (compile time only)
; SGPRBlocks: 2
; VGPRBlocks: 1
; NumSGPRsForWavesPerEU: 20
; NumVGPRsForWavesPerEU: 7
; Occupancy: 10
; WaveLimiterHint : 0
; COMPUTE_PGM_RSRC2:SCRATCH_EN: 0
; COMPUTE_PGM_RSRC2:USER_SGPR: 6
; COMPUTE_PGM_RSRC2:TRAP_HANDLER: 0
; COMPUTE_PGM_RSRC2:TGID_X_EN: 1
; COMPUTE_PGM_RSRC2:TGID_Y_EN: 0
; COMPUTE_PGM_RSRC2:TGID_Z_EN: 0
; COMPUTE_PGM_RSRC2:TIDIG_COMP_CNT: 0
	.section	.text._ZN2at6native29vectorized_elementwise_kernelILi4ENS0_11FillFunctorIN3c107complexIfEEEESt5arrayIPcLm1EEEEviT0_T1_,"axG",@progbits,_ZN2at6native29vectorized_elementwise_kernelILi4ENS0_11FillFunctorIN3c107complexIfEEEESt5arrayIPcLm1EEEEviT0_T1_,comdat
	.protected	_ZN2at6native29vectorized_elementwise_kernelILi4ENS0_11FillFunctorIN3c107complexIfEEEESt5arrayIPcLm1EEEEviT0_T1_ ; -- Begin function _ZN2at6native29vectorized_elementwise_kernelILi4ENS0_11FillFunctorIN3c107complexIfEEEESt5arrayIPcLm1EEEEviT0_T1_
	.globl	_ZN2at6native29vectorized_elementwise_kernelILi4ENS0_11FillFunctorIN3c107complexIfEEEESt5arrayIPcLm1EEEEviT0_T1_
	.p2align	8
	.type	_ZN2at6native29vectorized_elementwise_kernelILi4ENS0_11FillFunctorIN3c107complexIfEEEESt5arrayIPcLm1EEEEviT0_T1_,@function
_ZN2at6native29vectorized_elementwise_kernelILi4ENS0_11FillFunctorIN3c107complexIfEEEESt5arrayIPcLm1EEEEviT0_T1_: ; @_ZN2at6native29vectorized_elementwise_kernelILi4ENS0_11FillFunctorIN3c107complexIfEEEESt5arrayIPcLm1EEEEviT0_T1_
; %bb.0:
	s_load_dword s7, s[4:5], 0x0
	s_load_dwordx4 s[0:3], s[4:5], 0x8
	s_lshl_b32 s4, s6, 10
	s_waitcnt lgkmcnt(0)
	s_sub_i32 s8, s7, s4
	s_cmpk_gt_i32 s8, 0x3ff
	s_mov_b64 s[6:7], -1
	s_cbranch_scc0 .LBB66_2
; %bb.1:
	s_ashr_i32 s5, s4, 31
	s_lshl_b64 s[6:7], s[4:5], 3
	s_mov_b32 s12, s0
	s_add_u32 s6, s2, s6
	s_mov_b32 s13, s1
	s_mov_b32 s14, s0
	;; [unrolled: 1-line block ×3, first 2 shown]
	v_mov_b32_e32 v1, s12
	s_addc_u32 s7, s3, s7
	v_lshlrev_b32_e32 v5, 5, v0
	v_mov_b32_e32 v2, s13
	v_mov_b32_e32 v3, s14
	;; [unrolled: 1-line block ×3, first 2 shown]
	global_store_dwordx4 v5, v[1:4], s[6:7]
	global_store_dwordx4 v5, v[1:4], s[6:7] offset:16
	s_mov_b64 s[6:7], 0
.LBB66_2:
	s_andn2_b64 vcc, exec, s[6:7]
	s_cbranch_vccnz .LBB66_8
; %bb.3:
	v_cmp_gt_i32_e32 vcc, s8, v0
	v_or_b32_e32 v2, 0x100, v0
	v_mov_b32_e32 v1, v0
	s_and_saveexec_b64 s[6:7], vcc
	s_cbranch_execnz .LBB66_9
; %bb.4:
	s_or_b64 exec, exec, s[6:7]
	v_cmp_gt_i32_e32 vcc, s8, v1
	s_and_saveexec_b64 s[6:7], vcc
	s_cbranch_execnz .LBB66_10
.LBB66_5:
	s_or_b64 exec, exec, s[6:7]
	v_cmp_gt_i32_e32 vcc, s8, v1
	s_and_saveexec_b64 s[6:7], vcc
	s_cbranch_execnz .LBB66_11
.LBB66_6:
	s_or_b64 exec, exec, s[6:7]
	v_cmp_gt_i32_e32 vcc, s8, v1
	s_and_saveexec_b64 s[6:7], vcc
	s_cbranch_execz .LBB66_8
.LBB66_7:
	v_or_b32_e32 v0, 0x300, v0
	v_mov_b32_e32 v2, s1
	v_cmp_gt_i32_e32 vcc, s8, v0
	v_mov_b32_e32 v0, s0
	v_cndmask_b32_e32 v3, 0, v2, vcc
	v_cndmask_b32_e32 v2, 0, v0, vcc
	v_add_u32_e32 v0, s4, v1
	v_mov_b32_e32 v1, 0
	v_lshlrev_b64 v[0:1], 3, v[0:1]
	v_mov_b32_e32 v4, s3
	v_add_co_u32_e32 v0, vcc, s2, v0
	v_addc_co_u32_e32 v1, vcc, v4, v1, vcc
	global_store_dwordx2 v[0:1], v[2:3], off
.LBB66_8:
	s_endpgm
.LBB66_9:
	v_or_b32_e32 v3, s4, v0
	v_mov_b32_e32 v4, 0
	v_lshlrev_b64 v[3:4], 3, v[3:4]
	v_mov_b32_e32 v1, s3
	v_add_co_u32_e32 v3, vcc, s2, v3
	v_addc_co_u32_e32 v4, vcc, v1, v4, vcc
	v_mov_b32_e32 v5, s0
	v_mov_b32_e32 v6, s1
	;; [unrolled: 1-line block ×3, first 2 shown]
	global_store_dwordx2 v[3:4], v[5:6], off
	s_or_b64 exec, exec, s[6:7]
	v_cmp_gt_i32_e32 vcc, s8, v1
	s_and_saveexec_b64 s[6:7], vcc
	s_cbranch_execz .LBB66_5
.LBB66_10:
	v_add_u32_e32 v4, s4, v1
	v_mov_b32_e32 v5, 0
	v_lshlrev_b64 v[4:5], 3, v[4:5]
	v_mov_b32_e32 v3, s1
	v_cmp_gt_i32_e32 vcc, s8, v2
	v_mov_b32_e32 v2, s0
	v_cndmask_b32_e32 v3, 0, v3, vcc
	v_cndmask_b32_e32 v2, 0, v2, vcc
	v_add_u32_e32 v6, 0x100, v1
	v_mov_b32_e32 v1, s3
	v_add_co_u32_e32 v4, vcc, s2, v4
	v_addc_co_u32_e32 v5, vcc, v1, v5, vcc
	v_mov_b32_e32 v1, v6
	global_store_dwordx2 v[4:5], v[2:3], off
	s_or_b64 exec, exec, s[6:7]
	v_cmp_gt_i32_e32 vcc, s8, v1
	s_and_saveexec_b64 s[6:7], vcc
	s_cbranch_execz .LBB66_6
.LBB66_11:
	v_add_u32_e32 v4, s4, v1
	v_mov_b32_e32 v5, 0
	v_or_b32_e32 v2, 0x200, v0
	v_lshlrev_b64 v[4:5], 3, v[4:5]
	v_mov_b32_e32 v3, s1
	v_cmp_gt_i32_e32 vcc, s8, v2
	v_mov_b32_e32 v2, s0
	v_cndmask_b32_e32 v3, 0, v3, vcc
	v_cndmask_b32_e32 v2, 0, v2, vcc
	v_add_u32_e32 v6, 0x100, v1
	v_mov_b32_e32 v1, s3
	v_add_co_u32_e32 v4, vcc, s2, v4
	v_addc_co_u32_e32 v5, vcc, v1, v5, vcc
	v_mov_b32_e32 v1, v6
	global_store_dwordx2 v[4:5], v[2:3], off
	s_or_b64 exec, exec, s[6:7]
	v_cmp_gt_i32_e32 vcc, s8, v1
	s_and_saveexec_b64 s[6:7], vcc
	s_cbranch_execnz .LBB66_7
	s_branch .LBB66_8
	.section	.rodata,"a",@progbits
	.p2align	6, 0x0
	.amdhsa_kernel _ZN2at6native29vectorized_elementwise_kernelILi4ENS0_11FillFunctorIN3c107complexIfEEEESt5arrayIPcLm1EEEEviT0_T1_
		.amdhsa_group_segment_fixed_size 0
		.amdhsa_private_segment_fixed_size 0
		.amdhsa_kernarg_size 24
		.amdhsa_user_sgpr_count 6
		.amdhsa_user_sgpr_private_segment_buffer 1
		.amdhsa_user_sgpr_dispatch_ptr 0
		.amdhsa_user_sgpr_queue_ptr 0
		.amdhsa_user_sgpr_kernarg_segment_ptr 1
		.amdhsa_user_sgpr_dispatch_id 0
		.amdhsa_user_sgpr_flat_scratch_init 0
		.amdhsa_user_sgpr_private_segment_size 0
		.amdhsa_uses_dynamic_stack 0
		.amdhsa_system_sgpr_private_segment_wavefront_offset 0
		.amdhsa_system_sgpr_workgroup_id_x 1
		.amdhsa_system_sgpr_workgroup_id_y 0
		.amdhsa_system_sgpr_workgroup_id_z 0
		.amdhsa_system_sgpr_workgroup_info 0
		.amdhsa_system_vgpr_workitem_id 0
		.amdhsa_next_free_vgpr 7
		.amdhsa_next_free_sgpr 16
		.amdhsa_reserve_vcc 1
		.amdhsa_reserve_flat_scratch 0
		.amdhsa_float_round_mode_32 0
		.amdhsa_float_round_mode_16_64 0
		.amdhsa_float_denorm_mode_32 3
		.amdhsa_float_denorm_mode_16_64 3
		.amdhsa_dx10_clamp 1
		.amdhsa_ieee_mode 1
		.amdhsa_fp16_overflow 0
		.amdhsa_exception_fp_ieee_invalid_op 0
		.amdhsa_exception_fp_denorm_src 0
		.amdhsa_exception_fp_ieee_div_zero 0
		.amdhsa_exception_fp_ieee_overflow 0
		.amdhsa_exception_fp_ieee_underflow 0
		.amdhsa_exception_fp_ieee_inexact 0
		.amdhsa_exception_int_div_zero 0
	.end_amdhsa_kernel
	.section	.text._ZN2at6native29vectorized_elementwise_kernelILi4ENS0_11FillFunctorIN3c107complexIfEEEESt5arrayIPcLm1EEEEviT0_T1_,"axG",@progbits,_ZN2at6native29vectorized_elementwise_kernelILi4ENS0_11FillFunctorIN3c107complexIfEEEESt5arrayIPcLm1EEEEviT0_T1_,comdat
.Lfunc_end66:
	.size	_ZN2at6native29vectorized_elementwise_kernelILi4ENS0_11FillFunctorIN3c107complexIfEEEESt5arrayIPcLm1EEEEviT0_T1_, .Lfunc_end66-_ZN2at6native29vectorized_elementwise_kernelILi4ENS0_11FillFunctorIN3c107complexIfEEEESt5arrayIPcLm1EEEEviT0_T1_
                                        ; -- End function
	.set _ZN2at6native29vectorized_elementwise_kernelILi4ENS0_11FillFunctorIN3c107complexIfEEEESt5arrayIPcLm1EEEEviT0_T1_.num_vgpr, 7
	.set _ZN2at6native29vectorized_elementwise_kernelILi4ENS0_11FillFunctorIN3c107complexIfEEEESt5arrayIPcLm1EEEEviT0_T1_.num_agpr, 0
	.set _ZN2at6native29vectorized_elementwise_kernelILi4ENS0_11FillFunctorIN3c107complexIfEEEESt5arrayIPcLm1EEEEviT0_T1_.numbered_sgpr, 16
	.set _ZN2at6native29vectorized_elementwise_kernelILi4ENS0_11FillFunctorIN3c107complexIfEEEESt5arrayIPcLm1EEEEviT0_T1_.num_named_barrier, 0
	.set _ZN2at6native29vectorized_elementwise_kernelILi4ENS0_11FillFunctorIN3c107complexIfEEEESt5arrayIPcLm1EEEEviT0_T1_.private_seg_size, 0
	.set _ZN2at6native29vectorized_elementwise_kernelILi4ENS0_11FillFunctorIN3c107complexIfEEEESt5arrayIPcLm1EEEEviT0_T1_.uses_vcc, 1
	.set _ZN2at6native29vectorized_elementwise_kernelILi4ENS0_11FillFunctorIN3c107complexIfEEEESt5arrayIPcLm1EEEEviT0_T1_.uses_flat_scratch, 0
	.set _ZN2at6native29vectorized_elementwise_kernelILi4ENS0_11FillFunctorIN3c107complexIfEEEESt5arrayIPcLm1EEEEviT0_T1_.has_dyn_sized_stack, 0
	.set _ZN2at6native29vectorized_elementwise_kernelILi4ENS0_11FillFunctorIN3c107complexIfEEEESt5arrayIPcLm1EEEEviT0_T1_.has_recursion, 0
	.set _ZN2at6native29vectorized_elementwise_kernelILi4ENS0_11FillFunctorIN3c107complexIfEEEESt5arrayIPcLm1EEEEviT0_T1_.has_indirect_call, 0
	.section	.AMDGPU.csdata,"",@progbits
; Kernel info:
; codeLenInByte = 504
; TotalNumSgprs: 20
; NumVgprs: 7
; ScratchSize: 0
; MemoryBound: 0
; FloatMode: 240
; IeeeMode: 1
; LDSByteSize: 0 bytes/workgroup (compile time only)
; SGPRBlocks: 2
; VGPRBlocks: 1
; NumSGPRsForWavesPerEU: 20
; NumVGPRsForWavesPerEU: 7
; Occupancy: 10
; WaveLimiterHint : 0
; COMPUTE_PGM_RSRC2:SCRATCH_EN: 0
; COMPUTE_PGM_RSRC2:USER_SGPR: 6
; COMPUTE_PGM_RSRC2:TRAP_HANDLER: 0
; COMPUTE_PGM_RSRC2:TGID_X_EN: 1
; COMPUTE_PGM_RSRC2:TGID_Y_EN: 0
; COMPUTE_PGM_RSRC2:TGID_Z_EN: 0
; COMPUTE_PGM_RSRC2:TIDIG_COMP_CNT: 0
	.section	.text._ZN2at6native29vectorized_elementwise_kernelILi2ENS0_11FillFunctorIN3c107complexIfEEEESt5arrayIPcLm1EEEEviT0_T1_,"axG",@progbits,_ZN2at6native29vectorized_elementwise_kernelILi2ENS0_11FillFunctorIN3c107complexIfEEEESt5arrayIPcLm1EEEEviT0_T1_,comdat
	.protected	_ZN2at6native29vectorized_elementwise_kernelILi2ENS0_11FillFunctorIN3c107complexIfEEEESt5arrayIPcLm1EEEEviT0_T1_ ; -- Begin function _ZN2at6native29vectorized_elementwise_kernelILi2ENS0_11FillFunctorIN3c107complexIfEEEESt5arrayIPcLm1EEEEviT0_T1_
	.globl	_ZN2at6native29vectorized_elementwise_kernelILi2ENS0_11FillFunctorIN3c107complexIfEEEESt5arrayIPcLm1EEEEviT0_T1_
	.p2align	8
	.type	_ZN2at6native29vectorized_elementwise_kernelILi2ENS0_11FillFunctorIN3c107complexIfEEEESt5arrayIPcLm1EEEEviT0_T1_,@function
_ZN2at6native29vectorized_elementwise_kernelILi2ENS0_11FillFunctorIN3c107complexIfEEEESt5arrayIPcLm1EEEEviT0_T1_: ; @_ZN2at6native29vectorized_elementwise_kernelILi2ENS0_11FillFunctorIN3c107complexIfEEEESt5arrayIPcLm1EEEEviT0_T1_
; %bb.0:
	s_load_dword s7, s[4:5], 0x0
	s_load_dwordx4 s[0:3], s[4:5], 0x8
	s_lshl_b32 s4, s6, 10
	s_waitcnt lgkmcnt(0)
	s_sub_i32 s8, s7, s4
	s_cmpk_gt_i32 s8, 0x3ff
	s_mov_b64 s[6:7], -1
	s_cbranch_scc0 .LBB67_2
; %bb.1:
	s_ashr_i32 s5, s4, 31
	s_lshl_b64 s[6:7], s[4:5], 3
	s_add_u32 s6, s2, s6
	s_addc_u32 s7, s3, s7
	v_lshlrev_b32_e32 v5, 4, v0
	v_mov_b32_e32 v1, s7
	v_add_co_u32_e32 v6, vcc, s6, v5
	s_mov_b32 s12, s0
	v_addc_co_u32_e32 v7, vcc, 0, v1, vcc
	s_mov_b32 s13, s1
	s_mov_b32 s14, s0
	;; [unrolled: 1-line block ×3, first 2 shown]
	v_mov_b32_e32 v1, s12
	v_mov_b32_e32 v2, s13
	;; [unrolled: 1-line block ×4, first 2 shown]
	global_store_dwordx4 v5, v[1:4], s[6:7]
	v_add_co_u32_e32 v5, vcc, 0x1000, v6
	v_addc_co_u32_e32 v6, vcc, 0, v7, vcc
	global_store_dwordx4 v[5:6], v[1:4], off
	s_mov_b64 s[6:7], 0
.LBB67_2:
	s_andn2_b64 vcc, exec, s[6:7]
	s_cbranch_vccnz .LBB67_8
; %bb.3:
	v_cmp_gt_i32_e32 vcc, s8, v0
	v_or_b32_e32 v2, 0x100, v0
	v_mov_b32_e32 v1, v0
	s_and_saveexec_b64 s[6:7], vcc
	s_cbranch_execnz .LBB67_9
; %bb.4:
	s_or_b64 exec, exec, s[6:7]
	v_cmp_gt_i32_e32 vcc, s8, v1
	s_and_saveexec_b64 s[6:7], vcc
	s_cbranch_execnz .LBB67_10
.LBB67_5:
	s_or_b64 exec, exec, s[6:7]
	v_cmp_gt_i32_e32 vcc, s8, v1
	s_and_saveexec_b64 s[6:7], vcc
	s_cbranch_execnz .LBB67_11
.LBB67_6:
	s_or_b64 exec, exec, s[6:7]
	v_cmp_gt_i32_e32 vcc, s8, v1
	s_and_saveexec_b64 s[6:7], vcc
	s_cbranch_execz .LBB67_8
.LBB67_7:
	v_or_b32_e32 v0, 0x300, v0
	v_mov_b32_e32 v2, s1
	v_cmp_gt_i32_e32 vcc, s8, v0
	v_mov_b32_e32 v0, s0
	v_cndmask_b32_e32 v3, 0, v2, vcc
	v_cndmask_b32_e32 v2, 0, v0, vcc
	v_add_u32_e32 v0, s4, v1
	v_mov_b32_e32 v1, 0
	v_lshlrev_b64 v[0:1], 3, v[0:1]
	v_mov_b32_e32 v4, s3
	v_add_co_u32_e32 v0, vcc, s2, v0
	v_addc_co_u32_e32 v1, vcc, v4, v1, vcc
	global_store_dwordx2 v[0:1], v[2:3], off
.LBB67_8:
	s_endpgm
.LBB67_9:
	v_or_b32_e32 v3, s4, v0
	v_mov_b32_e32 v4, 0
	v_lshlrev_b64 v[3:4], 3, v[3:4]
	v_mov_b32_e32 v1, s3
	v_add_co_u32_e32 v3, vcc, s2, v3
	v_addc_co_u32_e32 v4, vcc, v1, v4, vcc
	v_mov_b32_e32 v5, s0
	v_mov_b32_e32 v6, s1
	;; [unrolled: 1-line block ×3, first 2 shown]
	global_store_dwordx2 v[3:4], v[5:6], off
	s_or_b64 exec, exec, s[6:7]
	v_cmp_gt_i32_e32 vcc, s8, v1
	s_and_saveexec_b64 s[6:7], vcc
	s_cbranch_execz .LBB67_5
.LBB67_10:
	v_add_u32_e32 v4, s4, v1
	v_mov_b32_e32 v5, 0
	v_lshlrev_b64 v[4:5], 3, v[4:5]
	v_mov_b32_e32 v3, s1
	v_cmp_gt_i32_e32 vcc, s8, v2
	v_mov_b32_e32 v2, s0
	v_cndmask_b32_e32 v3, 0, v3, vcc
	v_cndmask_b32_e32 v2, 0, v2, vcc
	v_add_u32_e32 v6, 0x100, v1
	v_mov_b32_e32 v1, s3
	v_add_co_u32_e32 v4, vcc, s2, v4
	v_addc_co_u32_e32 v5, vcc, v1, v5, vcc
	v_mov_b32_e32 v1, v6
	global_store_dwordx2 v[4:5], v[2:3], off
	s_or_b64 exec, exec, s[6:7]
	v_cmp_gt_i32_e32 vcc, s8, v1
	s_and_saveexec_b64 s[6:7], vcc
	s_cbranch_execz .LBB67_6
.LBB67_11:
	v_add_u32_e32 v4, s4, v1
	v_mov_b32_e32 v5, 0
	v_or_b32_e32 v2, 0x200, v0
	v_lshlrev_b64 v[4:5], 3, v[4:5]
	v_mov_b32_e32 v3, s1
	v_cmp_gt_i32_e32 vcc, s8, v2
	v_mov_b32_e32 v2, s0
	v_cndmask_b32_e32 v3, 0, v3, vcc
	v_cndmask_b32_e32 v2, 0, v2, vcc
	v_add_u32_e32 v6, 0x100, v1
	v_mov_b32_e32 v1, s3
	v_add_co_u32_e32 v4, vcc, s2, v4
	v_addc_co_u32_e32 v5, vcc, v1, v5, vcc
	v_mov_b32_e32 v1, v6
	global_store_dwordx2 v[4:5], v[2:3], off
	s_or_b64 exec, exec, s[6:7]
	v_cmp_gt_i32_e32 vcc, s8, v1
	s_and_saveexec_b64 s[6:7], vcc
	s_cbranch_execnz .LBB67_7
	s_branch .LBB67_8
	.section	.rodata,"a",@progbits
	.p2align	6, 0x0
	.amdhsa_kernel _ZN2at6native29vectorized_elementwise_kernelILi2ENS0_11FillFunctorIN3c107complexIfEEEESt5arrayIPcLm1EEEEviT0_T1_
		.amdhsa_group_segment_fixed_size 0
		.amdhsa_private_segment_fixed_size 0
		.amdhsa_kernarg_size 24
		.amdhsa_user_sgpr_count 6
		.amdhsa_user_sgpr_private_segment_buffer 1
		.amdhsa_user_sgpr_dispatch_ptr 0
		.amdhsa_user_sgpr_queue_ptr 0
		.amdhsa_user_sgpr_kernarg_segment_ptr 1
		.amdhsa_user_sgpr_dispatch_id 0
		.amdhsa_user_sgpr_flat_scratch_init 0
		.amdhsa_user_sgpr_private_segment_size 0
		.amdhsa_uses_dynamic_stack 0
		.amdhsa_system_sgpr_private_segment_wavefront_offset 0
		.amdhsa_system_sgpr_workgroup_id_x 1
		.amdhsa_system_sgpr_workgroup_id_y 0
		.amdhsa_system_sgpr_workgroup_id_z 0
		.amdhsa_system_sgpr_workgroup_info 0
		.amdhsa_system_vgpr_workitem_id 0
		.amdhsa_next_free_vgpr 8
		.amdhsa_next_free_sgpr 16
		.amdhsa_reserve_vcc 1
		.amdhsa_reserve_flat_scratch 0
		.amdhsa_float_round_mode_32 0
		.amdhsa_float_round_mode_16_64 0
		.amdhsa_float_denorm_mode_32 3
		.amdhsa_float_denorm_mode_16_64 3
		.amdhsa_dx10_clamp 1
		.amdhsa_ieee_mode 1
		.amdhsa_fp16_overflow 0
		.amdhsa_exception_fp_ieee_invalid_op 0
		.amdhsa_exception_fp_denorm_src 0
		.amdhsa_exception_fp_ieee_div_zero 0
		.amdhsa_exception_fp_ieee_overflow 0
		.amdhsa_exception_fp_ieee_underflow 0
		.amdhsa_exception_fp_ieee_inexact 0
		.amdhsa_exception_int_div_zero 0
	.end_amdhsa_kernel
	.section	.text._ZN2at6native29vectorized_elementwise_kernelILi2ENS0_11FillFunctorIN3c107complexIfEEEESt5arrayIPcLm1EEEEviT0_T1_,"axG",@progbits,_ZN2at6native29vectorized_elementwise_kernelILi2ENS0_11FillFunctorIN3c107complexIfEEEESt5arrayIPcLm1EEEEviT0_T1_,comdat
.Lfunc_end67:
	.size	_ZN2at6native29vectorized_elementwise_kernelILi2ENS0_11FillFunctorIN3c107complexIfEEEESt5arrayIPcLm1EEEEviT0_T1_, .Lfunc_end67-_ZN2at6native29vectorized_elementwise_kernelILi2ENS0_11FillFunctorIN3c107complexIfEEEESt5arrayIPcLm1EEEEviT0_T1_
                                        ; -- End function
	.set _ZN2at6native29vectorized_elementwise_kernelILi2ENS0_11FillFunctorIN3c107complexIfEEEESt5arrayIPcLm1EEEEviT0_T1_.num_vgpr, 8
	.set _ZN2at6native29vectorized_elementwise_kernelILi2ENS0_11FillFunctorIN3c107complexIfEEEESt5arrayIPcLm1EEEEviT0_T1_.num_agpr, 0
	.set _ZN2at6native29vectorized_elementwise_kernelILi2ENS0_11FillFunctorIN3c107complexIfEEEESt5arrayIPcLm1EEEEviT0_T1_.numbered_sgpr, 16
	.set _ZN2at6native29vectorized_elementwise_kernelILi2ENS0_11FillFunctorIN3c107complexIfEEEESt5arrayIPcLm1EEEEviT0_T1_.num_named_barrier, 0
	.set _ZN2at6native29vectorized_elementwise_kernelILi2ENS0_11FillFunctorIN3c107complexIfEEEESt5arrayIPcLm1EEEEviT0_T1_.private_seg_size, 0
	.set _ZN2at6native29vectorized_elementwise_kernelILi2ENS0_11FillFunctorIN3c107complexIfEEEESt5arrayIPcLm1EEEEviT0_T1_.uses_vcc, 1
	.set _ZN2at6native29vectorized_elementwise_kernelILi2ENS0_11FillFunctorIN3c107complexIfEEEESt5arrayIPcLm1EEEEviT0_T1_.uses_flat_scratch, 0
	.set _ZN2at6native29vectorized_elementwise_kernelILi2ENS0_11FillFunctorIN3c107complexIfEEEESt5arrayIPcLm1EEEEviT0_T1_.has_dyn_sized_stack, 0
	.set _ZN2at6native29vectorized_elementwise_kernelILi2ENS0_11FillFunctorIN3c107complexIfEEEESt5arrayIPcLm1EEEEviT0_T1_.has_recursion, 0
	.set _ZN2at6native29vectorized_elementwise_kernelILi2ENS0_11FillFunctorIN3c107complexIfEEEESt5arrayIPcLm1EEEEviT0_T1_.has_indirect_call, 0
	.section	.AMDGPU.csdata,"",@progbits
; Kernel info:
; codeLenInByte = 528
; TotalNumSgprs: 20
; NumVgprs: 8
; ScratchSize: 0
; MemoryBound: 0
; FloatMode: 240
; IeeeMode: 1
; LDSByteSize: 0 bytes/workgroup (compile time only)
; SGPRBlocks: 2
; VGPRBlocks: 1
; NumSGPRsForWavesPerEU: 20
; NumVGPRsForWavesPerEU: 8
; Occupancy: 10
; WaveLimiterHint : 1
; COMPUTE_PGM_RSRC2:SCRATCH_EN: 0
; COMPUTE_PGM_RSRC2:USER_SGPR: 6
; COMPUTE_PGM_RSRC2:TRAP_HANDLER: 0
; COMPUTE_PGM_RSRC2:TGID_X_EN: 1
; COMPUTE_PGM_RSRC2:TGID_Y_EN: 0
; COMPUTE_PGM_RSRC2:TGID_Z_EN: 0
; COMPUTE_PGM_RSRC2:TIDIG_COMP_CNT: 0
	.section	.text._ZN2at6native27unrolled_elementwise_kernelINS0_11FillFunctorIN3c107complexIfEEEESt5arrayIPcLm1EELi4E23TrivialOffsetCalculatorILi0EjESA_ILi1EjENS0_6memory15LoadWithoutCastENSD_16StoreWithoutCastEEEviT_T0_T2_T3_T4_T5_,"axG",@progbits,_ZN2at6native27unrolled_elementwise_kernelINS0_11FillFunctorIN3c107complexIfEEEESt5arrayIPcLm1EELi4E23TrivialOffsetCalculatorILi0EjESA_ILi1EjENS0_6memory15LoadWithoutCastENSD_16StoreWithoutCastEEEviT_T0_T2_T3_T4_T5_,comdat
	.protected	_ZN2at6native27unrolled_elementwise_kernelINS0_11FillFunctorIN3c107complexIfEEEESt5arrayIPcLm1EELi4E23TrivialOffsetCalculatorILi0EjESA_ILi1EjENS0_6memory15LoadWithoutCastENSD_16StoreWithoutCastEEEviT_T0_T2_T3_T4_T5_ ; -- Begin function _ZN2at6native27unrolled_elementwise_kernelINS0_11FillFunctorIN3c107complexIfEEEESt5arrayIPcLm1EELi4E23TrivialOffsetCalculatorILi0EjESA_ILi1EjENS0_6memory15LoadWithoutCastENSD_16StoreWithoutCastEEEviT_T0_T2_T3_T4_T5_
	.globl	_ZN2at6native27unrolled_elementwise_kernelINS0_11FillFunctorIN3c107complexIfEEEESt5arrayIPcLm1EELi4E23TrivialOffsetCalculatorILi0EjESA_ILi1EjENS0_6memory15LoadWithoutCastENSD_16StoreWithoutCastEEEviT_T0_T2_T3_T4_T5_
	.p2align	8
	.type	_ZN2at6native27unrolled_elementwise_kernelINS0_11FillFunctorIN3c107complexIfEEEESt5arrayIPcLm1EELi4E23TrivialOffsetCalculatorILi0EjESA_ILi1EjENS0_6memory15LoadWithoutCastENSD_16StoreWithoutCastEEEviT_T0_T2_T3_T4_T5_,@function
_ZN2at6native27unrolled_elementwise_kernelINS0_11FillFunctorIN3c107complexIfEEEESt5arrayIPcLm1EELi4E23TrivialOffsetCalculatorILi0EjESA_ILi1EjENS0_6memory15LoadWithoutCastENSD_16StoreWithoutCastEEEviT_T0_T2_T3_T4_T5_: ; @_ZN2at6native27unrolled_elementwise_kernelINS0_11FillFunctorIN3c107complexIfEEEESt5arrayIPcLm1EELi4E23TrivialOffsetCalculatorILi0EjESA_ILi1EjENS0_6memory15LoadWithoutCastENSD_16StoreWithoutCastEEEviT_T0_T2_T3_T4_T5_
; %bb.0:
	s_load_dword s7, s[4:5], 0x0
	s_load_dwordx4 s[0:3], s[4:5], 0x8
	s_lshl_b32 s6, s6, 10
	v_or_b32_e32 v2, 0x100, v0
	v_mov_b32_e32 v1, v0
	s_waitcnt lgkmcnt(0)
	s_sub_i32 s7, s7, s6
	v_cmp_gt_i32_e32 vcc, s7, v0
	s_and_saveexec_b64 s[4:5], vcc
	s_cbranch_execnz .LBB68_5
; %bb.1:
	s_or_b64 exec, exec, s[4:5]
	v_cmp_gt_i32_e32 vcc, s7, v1
	s_and_saveexec_b64 s[4:5], vcc
	s_cbranch_execnz .LBB68_6
.LBB68_2:
	s_or_b64 exec, exec, s[4:5]
	v_cmp_gt_i32_e32 vcc, s7, v1
	s_and_saveexec_b64 s[4:5], vcc
	s_cbranch_execnz .LBB68_7
.LBB68_3:
	s_or_b64 exec, exec, s[4:5]
	v_cmp_gt_i32_e32 vcc, s7, v1
	s_and_saveexec_b64 s[4:5], vcc
	s_cbranch_execnz .LBB68_8
.LBB68_4:
	s_endpgm
.LBB68_5:
	v_or_b32_e32 v3, s6, v0
	v_mov_b32_e32 v4, 0
	v_lshlrev_b64 v[3:4], 3, v[3:4]
	v_mov_b32_e32 v1, s3
	v_add_co_u32_e32 v3, vcc, s2, v3
	v_addc_co_u32_e32 v4, vcc, v1, v4, vcc
	v_mov_b32_e32 v5, s0
	v_mov_b32_e32 v6, s1
	v_mov_b32_e32 v1, v2
	global_store_dwordx2 v[3:4], v[5:6], off
	s_or_b64 exec, exec, s[4:5]
	v_cmp_gt_i32_e32 vcc, s7, v1
	s_and_saveexec_b64 s[4:5], vcc
	s_cbranch_execz .LBB68_2
.LBB68_6:
	v_add_u32_e32 v4, s6, v1
	v_mov_b32_e32 v5, 0
	v_lshlrev_b64 v[4:5], 3, v[4:5]
	v_mov_b32_e32 v3, s1
	v_cmp_gt_i32_e32 vcc, s7, v2
	v_mov_b32_e32 v2, s0
	v_cndmask_b32_e32 v3, 0, v3, vcc
	v_cndmask_b32_e32 v2, 0, v2, vcc
	v_mov_b32_e32 v6, s3
	v_add_co_u32_e32 v4, vcc, s2, v4
	v_addc_co_u32_e32 v5, vcc, v6, v5, vcc
	v_add_u32_e32 v1, 0x100, v1
	global_store_dwordx2 v[4:5], v[2:3], off
	s_or_b64 exec, exec, s[4:5]
	v_cmp_gt_i32_e32 vcc, s7, v1
	s_and_saveexec_b64 s[4:5], vcc
	s_cbranch_execz .LBB68_3
.LBB68_7:
	v_add_u32_e32 v4, s6, v1
	v_mov_b32_e32 v5, 0
	v_or_b32_e32 v2, 0x200, v0
	v_lshlrev_b64 v[4:5], 3, v[4:5]
	v_mov_b32_e32 v3, s1
	v_cmp_gt_i32_e32 vcc, s7, v2
	v_mov_b32_e32 v2, s0
	v_cndmask_b32_e32 v3, 0, v3, vcc
	v_cndmask_b32_e32 v2, 0, v2, vcc
	v_mov_b32_e32 v6, s3
	v_add_co_u32_e32 v4, vcc, s2, v4
	v_addc_co_u32_e32 v5, vcc, v6, v5, vcc
	v_add_u32_e32 v1, 0x100, v1
	global_store_dwordx2 v[4:5], v[2:3], off
	s_or_b64 exec, exec, s[4:5]
	v_cmp_gt_i32_e32 vcc, s7, v1
	s_and_saveexec_b64 s[4:5], vcc
	s_cbranch_execz .LBB68_4
.LBB68_8:
	v_or_b32_e32 v0, 0x300, v0
	v_mov_b32_e32 v2, s1
	v_cmp_gt_i32_e32 vcc, s7, v0
	v_mov_b32_e32 v0, s0
	v_cndmask_b32_e32 v3, 0, v2, vcc
	v_cndmask_b32_e32 v2, 0, v0, vcc
	v_add_u32_e32 v0, s6, v1
	v_mov_b32_e32 v1, 0
	v_lshlrev_b64 v[0:1], 3, v[0:1]
	v_mov_b32_e32 v4, s3
	v_add_co_u32_e32 v0, vcc, s2, v0
	v_addc_co_u32_e32 v1, vcc, v4, v1, vcc
	global_store_dwordx2 v[0:1], v[2:3], off
	s_endpgm
	.section	.rodata,"a",@progbits
	.p2align	6, 0x0
	.amdhsa_kernel _ZN2at6native27unrolled_elementwise_kernelINS0_11FillFunctorIN3c107complexIfEEEESt5arrayIPcLm1EELi4E23TrivialOffsetCalculatorILi0EjESA_ILi1EjENS0_6memory15LoadWithoutCastENSD_16StoreWithoutCastEEEviT_T0_T2_T3_T4_T5_
		.amdhsa_group_segment_fixed_size 0
		.amdhsa_private_segment_fixed_size 0
		.amdhsa_kernarg_size 28
		.amdhsa_user_sgpr_count 6
		.amdhsa_user_sgpr_private_segment_buffer 1
		.amdhsa_user_sgpr_dispatch_ptr 0
		.amdhsa_user_sgpr_queue_ptr 0
		.amdhsa_user_sgpr_kernarg_segment_ptr 1
		.amdhsa_user_sgpr_dispatch_id 0
		.amdhsa_user_sgpr_flat_scratch_init 0
		.amdhsa_user_sgpr_private_segment_size 0
		.amdhsa_uses_dynamic_stack 0
		.amdhsa_system_sgpr_private_segment_wavefront_offset 0
		.amdhsa_system_sgpr_workgroup_id_x 1
		.amdhsa_system_sgpr_workgroup_id_y 0
		.amdhsa_system_sgpr_workgroup_id_z 0
		.amdhsa_system_sgpr_workgroup_info 0
		.amdhsa_system_vgpr_workitem_id 0
		.amdhsa_next_free_vgpr 7
		.amdhsa_next_free_sgpr 8
		.amdhsa_reserve_vcc 1
		.amdhsa_reserve_flat_scratch 0
		.amdhsa_float_round_mode_32 0
		.amdhsa_float_round_mode_16_64 0
		.amdhsa_float_denorm_mode_32 3
		.amdhsa_float_denorm_mode_16_64 3
		.amdhsa_dx10_clamp 1
		.amdhsa_ieee_mode 1
		.amdhsa_fp16_overflow 0
		.amdhsa_exception_fp_ieee_invalid_op 0
		.amdhsa_exception_fp_denorm_src 0
		.amdhsa_exception_fp_ieee_div_zero 0
		.amdhsa_exception_fp_ieee_overflow 0
		.amdhsa_exception_fp_ieee_underflow 0
		.amdhsa_exception_fp_ieee_inexact 0
		.amdhsa_exception_int_div_zero 0
	.end_amdhsa_kernel
	.section	.text._ZN2at6native27unrolled_elementwise_kernelINS0_11FillFunctorIN3c107complexIfEEEESt5arrayIPcLm1EELi4E23TrivialOffsetCalculatorILi0EjESA_ILi1EjENS0_6memory15LoadWithoutCastENSD_16StoreWithoutCastEEEviT_T0_T2_T3_T4_T5_,"axG",@progbits,_ZN2at6native27unrolled_elementwise_kernelINS0_11FillFunctorIN3c107complexIfEEEESt5arrayIPcLm1EELi4E23TrivialOffsetCalculatorILi0EjESA_ILi1EjENS0_6memory15LoadWithoutCastENSD_16StoreWithoutCastEEEviT_T0_T2_T3_T4_T5_,comdat
.Lfunc_end68:
	.size	_ZN2at6native27unrolled_elementwise_kernelINS0_11FillFunctorIN3c107complexIfEEEESt5arrayIPcLm1EELi4E23TrivialOffsetCalculatorILi0EjESA_ILi1EjENS0_6memory15LoadWithoutCastENSD_16StoreWithoutCastEEEviT_T0_T2_T3_T4_T5_, .Lfunc_end68-_ZN2at6native27unrolled_elementwise_kernelINS0_11FillFunctorIN3c107complexIfEEEESt5arrayIPcLm1EELi4E23TrivialOffsetCalculatorILi0EjESA_ILi1EjENS0_6memory15LoadWithoutCastENSD_16StoreWithoutCastEEEviT_T0_T2_T3_T4_T5_
                                        ; -- End function
	.set _ZN2at6native27unrolled_elementwise_kernelINS0_11FillFunctorIN3c107complexIfEEEESt5arrayIPcLm1EELi4E23TrivialOffsetCalculatorILi0EjESA_ILi1EjENS0_6memory15LoadWithoutCastENSD_16StoreWithoutCastEEEviT_T0_T2_T3_T4_T5_.num_vgpr, 7
	.set _ZN2at6native27unrolled_elementwise_kernelINS0_11FillFunctorIN3c107complexIfEEEESt5arrayIPcLm1EELi4E23TrivialOffsetCalculatorILi0EjESA_ILi1EjENS0_6memory15LoadWithoutCastENSD_16StoreWithoutCastEEEviT_T0_T2_T3_T4_T5_.num_agpr, 0
	.set _ZN2at6native27unrolled_elementwise_kernelINS0_11FillFunctorIN3c107complexIfEEEESt5arrayIPcLm1EELi4E23TrivialOffsetCalculatorILi0EjESA_ILi1EjENS0_6memory15LoadWithoutCastENSD_16StoreWithoutCastEEEviT_T0_T2_T3_T4_T5_.numbered_sgpr, 8
	.set _ZN2at6native27unrolled_elementwise_kernelINS0_11FillFunctorIN3c107complexIfEEEESt5arrayIPcLm1EELi4E23TrivialOffsetCalculatorILi0EjESA_ILi1EjENS0_6memory15LoadWithoutCastENSD_16StoreWithoutCastEEEviT_T0_T2_T3_T4_T5_.num_named_barrier, 0
	.set _ZN2at6native27unrolled_elementwise_kernelINS0_11FillFunctorIN3c107complexIfEEEESt5arrayIPcLm1EELi4E23TrivialOffsetCalculatorILi0EjESA_ILi1EjENS0_6memory15LoadWithoutCastENSD_16StoreWithoutCastEEEviT_T0_T2_T3_T4_T5_.private_seg_size, 0
	.set _ZN2at6native27unrolled_elementwise_kernelINS0_11FillFunctorIN3c107complexIfEEEESt5arrayIPcLm1EELi4E23TrivialOffsetCalculatorILi0EjESA_ILi1EjENS0_6memory15LoadWithoutCastENSD_16StoreWithoutCastEEEviT_T0_T2_T3_T4_T5_.uses_vcc, 1
	.set _ZN2at6native27unrolled_elementwise_kernelINS0_11FillFunctorIN3c107complexIfEEEESt5arrayIPcLm1EELi4E23TrivialOffsetCalculatorILi0EjESA_ILi1EjENS0_6memory15LoadWithoutCastENSD_16StoreWithoutCastEEEviT_T0_T2_T3_T4_T5_.uses_flat_scratch, 0
	.set _ZN2at6native27unrolled_elementwise_kernelINS0_11FillFunctorIN3c107complexIfEEEESt5arrayIPcLm1EELi4E23TrivialOffsetCalculatorILi0EjESA_ILi1EjENS0_6memory15LoadWithoutCastENSD_16StoreWithoutCastEEEviT_T0_T2_T3_T4_T5_.has_dyn_sized_stack, 0
	.set _ZN2at6native27unrolled_elementwise_kernelINS0_11FillFunctorIN3c107complexIfEEEESt5arrayIPcLm1EELi4E23TrivialOffsetCalculatorILi0EjESA_ILi1EjENS0_6memory15LoadWithoutCastENSD_16StoreWithoutCastEEEviT_T0_T2_T3_T4_T5_.has_recursion, 0
	.set _ZN2at6native27unrolled_elementwise_kernelINS0_11FillFunctorIN3c107complexIfEEEESt5arrayIPcLm1EELi4E23TrivialOffsetCalculatorILi0EjESA_ILi1EjENS0_6memory15LoadWithoutCastENSD_16StoreWithoutCastEEEviT_T0_T2_T3_T4_T5_.has_indirect_call, 0
	.section	.AMDGPU.csdata,"",@progbits
; Kernel info:
; codeLenInByte = 404
; TotalNumSgprs: 12
; NumVgprs: 7
; ScratchSize: 0
; MemoryBound: 0
; FloatMode: 240
; IeeeMode: 1
; LDSByteSize: 0 bytes/workgroup (compile time only)
; SGPRBlocks: 1
; VGPRBlocks: 1
; NumSGPRsForWavesPerEU: 12
; NumVGPRsForWavesPerEU: 7
; Occupancy: 10
; WaveLimiterHint : 0
; COMPUTE_PGM_RSRC2:SCRATCH_EN: 0
; COMPUTE_PGM_RSRC2:USER_SGPR: 6
; COMPUTE_PGM_RSRC2:TRAP_HANDLER: 0
; COMPUTE_PGM_RSRC2:TGID_X_EN: 1
; COMPUTE_PGM_RSRC2:TGID_Y_EN: 0
; COMPUTE_PGM_RSRC2:TGID_Z_EN: 0
; COMPUTE_PGM_RSRC2:TIDIG_COMP_CNT: 0
	.section	.text._ZN2at6native32elementwise_kernel_manual_unrollILi128ELi4EZNS0_22gpu_kernel_impl_nocastINS0_11FillFunctorIN3c107complexIfEEEEEEvRNS_18TensorIteratorBaseERKT_EUlibE_EEviT1_,"axG",@progbits,_ZN2at6native32elementwise_kernel_manual_unrollILi128ELi4EZNS0_22gpu_kernel_impl_nocastINS0_11FillFunctorIN3c107complexIfEEEEEEvRNS_18TensorIteratorBaseERKT_EUlibE_EEviT1_,comdat
	.protected	_ZN2at6native32elementwise_kernel_manual_unrollILi128ELi4EZNS0_22gpu_kernel_impl_nocastINS0_11FillFunctorIN3c107complexIfEEEEEEvRNS_18TensorIteratorBaseERKT_EUlibE_EEviT1_ ; -- Begin function _ZN2at6native32elementwise_kernel_manual_unrollILi128ELi4EZNS0_22gpu_kernel_impl_nocastINS0_11FillFunctorIN3c107complexIfEEEEEEvRNS_18TensorIteratorBaseERKT_EUlibE_EEviT1_
	.globl	_ZN2at6native32elementwise_kernel_manual_unrollILi128ELi4EZNS0_22gpu_kernel_impl_nocastINS0_11FillFunctorIN3c107complexIfEEEEEEvRNS_18TensorIteratorBaseERKT_EUlibE_EEviT1_
	.p2align	8
	.type	_ZN2at6native32elementwise_kernel_manual_unrollILi128ELi4EZNS0_22gpu_kernel_impl_nocastINS0_11FillFunctorIN3c107complexIfEEEEEEvRNS_18TensorIteratorBaseERKT_EUlibE_EEviT1_,@function
_ZN2at6native32elementwise_kernel_manual_unrollILi128ELi4EZNS0_22gpu_kernel_impl_nocastINS0_11FillFunctorIN3c107complexIfEEEEEEvRNS_18TensorIteratorBaseERKT_EUlibE_EEviT1_: ; @_ZN2at6native32elementwise_kernel_manual_unrollILi128ELi4EZNS0_22gpu_kernel_impl_nocastINS0_11FillFunctorIN3c107complexIfEEEEEEvRNS_18TensorIteratorBaseERKT_EUlibE_EEviT1_
; %bb.0:
	s_load_dword s49, s[4:5], 0x0
	s_load_dword s33, s[4:5], 0x8
	s_add_u32 s24, s4, 8
	s_addc_u32 s25, s5, 0
	v_lshl_or_b32 v3, s6, 9, v0
	v_or_b32_e32 v6, 0x180, v3
	s_waitcnt lgkmcnt(0)
	s_add_i32 s48, s33, -1
	s_cmp_gt_u32 s48, 1
	v_cmp_le_i32_e32 vcc, s49, v6
	s_cselect_b64 s[26:27], -1, 0
	s_mov_b64 s[20:21], 0
                                        ; implicit-def: $sgpr11
                                        ; implicit-def: $vgpr4_vgpr5
	s_and_saveexec_b64 s[0:1], vcc
	s_xor_b64 s[28:29], exec, s[0:1]
	s_cbranch_execnz .LBB69_4
; %bb.1:
	s_or_saveexec_b64 s[22:23], s[28:29]
	v_mov_b32_e32 v0, s11
	s_xor_b64 exec, exec, s[22:23]
	s_cbranch_execnz .LBB69_69
.LBB69_2:
	s_or_b64 exec, exec, s[22:23]
	s_and_saveexec_b64 s[0:1], s[20:21]
	s_cbranch_execnz .LBB69_126
.LBB69_3:
	s_endpgm
.LBB69_4:
	s_load_dwordx4 s[12:15], s[24:25], 0x4
	s_load_dwordx2 s[34:35], s[24:25], 0x14
	s_load_dwordx2 s[30:31], s[24:25], 0xc4
	s_load_dwordx4 s[8:11], s[24:25], 0x108
	s_cmp_lg_u32 s33, 0
	s_cselect_b64 s[40:41], -1, 0
	s_add_u32 s38, s24, 0xc4
	s_addc_u32 s39, s25, 0
	s_min_u32 s50, s48, 15
	s_cmp_gt_u32 s33, 1
	s_cselect_b64 s[36:37], -1, 0
	v_cmp_gt_i32_e32 vcc, s49, v3
	s_and_saveexec_b64 s[42:43], vcc
	s_cbranch_execnz .LBB69_7
; %bb.5:
	s_or_b64 exec, exec, s[42:43]
	v_cmp_gt_i32_e32 vcc, s49, v3
	s_and_saveexec_b64 s[42:43], vcc
	s_cbranch_execnz .LBB69_22
.LBB69_6:
	s_or_b64 exec, exec, s[42:43]
	v_cmp_gt_i32_e32 vcc, s49, v3
	s_and_saveexec_b64 s[42:43], vcc
	s_cbranch_execnz .LBB69_37
	s_branch .LBB69_52
.LBB69_7:
	s_andn2_b64 vcc, exec, s[26:27]
	s_cbranch_vccnz .LBB69_12
; %bb.8:
	s_andn2_b64 vcc, exec, s[40:41]
	s_cbranch_vccnz .LBB69_13
; %bb.9:
	s_add_i32 s52, s50, 1
	s_cmp_eq_u32 s48, 2
	s_cbranch_scc1 .LBB69_14
; %bb.10:
	s_and_b32 s51, s52, 28
	s_mov_b32 s53, 0
	v_mov_b32_e32 v0, 0
	s_mov_b64 s[44:45], s[24:25]
	s_mov_b64 s[46:47], s[38:39]
	v_mov_b32_e32 v1, v3
.LBB69_11:                              ; =>This Inner Loop Header: Depth=1
	s_load_dwordx8 s[0:7], s[44:45], 0x4
	s_load_dwordx4 s[16:19], s[44:45], 0x24
	s_load_dwordx4 s[20:23], s[46:47], 0x0
	s_add_u32 s44, s44, 48
	s_addc_u32 s45, s45, 0
	s_waitcnt lgkmcnt(0)
	v_mul_hi_u32 v2, s1, v1
	s_add_i32 s53, s53, 4
	s_add_u32 s46, s46, 16
	s_addc_u32 s47, s47, 0
	v_add_u32_e32 v2, v1, v2
	v_lshrrev_b32_e32 v2, s2, v2
	v_mul_lo_u32 v4, v2, s0
	v_mul_hi_u32 v5, s4, v2
	s_cmp_lg_u32 s51, s53
	v_sub_u32_e32 v1, v1, v4
	v_add_u32_e32 v4, v2, v5
	v_lshrrev_b32_e32 v4, s5, v4
	v_mul_lo_u32 v5, v1, s20
	v_mul_hi_u32 v1, s7, v4
	v_mul_lo_u32 v7, v4, s3
	v_add_u32_e32 v1, v4, v1
	v_lshrrev_b32_e32 v6, s16, v1
	v_mul_hi_u32 v1, s18, v6
	v_sub_u32_e32 v2, v2, v7
	v_mul_lo_u32 v7, v6, s6
	v_mul_lo_u32 v2, v2, s21
	v_add_u32_e32 v1, v6, v1
	v_lshrrev_b32_e32 v1, s19, v1
	v_mul_lo_u32 v8, v1, s17
	v_sub_u32_e32 v4, v4, v7
	v_mul_lo_u32 v4, v4, s22
	v_add3_u32 v0, v5, v0, v2
	v_sub_u32_e32 v6, v6, v8
	v_mul_lo_u32 v6, v6, s23
	v_add3_u32 v0, v4, v0, v6
	s_cbranch_scc1 .LBB69_11
	s_branch .LBB69_15
.LBB69_12:
                                        ; implicit-def: $vgpr0
	s_branch .LBB69_19
.LBB69_13:
	v_mov_b32_e32 v0, 0
	s_branch .LBB69_18
.LBB69_14:
	v_mov_b32_e32 v0, 0
	s_mov_b32 s51, 0
	v_mov_b32_e32 v1, v3
.LBB69_15:
	s_and_b32 s4, s52, 3
	s_cmp_eq_u32 s4, 0
	s_cbranch_scc1 .LBB69_18
; %bb.16:
	s_lshl_b32 s0, s51, 2
	s_add_u32 s0, s24, s0
	s_addc_u32 s1, s25, 0
	s_add_u32 s0, s0, 0xc4
	s_addc_u32 s1, s1, 0
	s_mul_i32 s2, s51, 12
	s_add_u32 s2, s24, s2
	s_addc_u32 s3, s25, 0
.LBB69_17:                              ; =>This Inner Loop Header: Depth=1
	s_load_dwordx2 s[6:7], s[2:3], 0x4
	s_load_dword s5, s[2:3], 0xc
	s_add_u32 s2, s2, 12
	s_addc_u32 s3, s3, 0
	s_waitcnt lgkmcnt(0)
	v_mul_hi_u32 v2, s7, v1
	s_load_dword s7, s[0:1], 0x0
	s_add_u32 s0, s0, 4
	s_addc_u32 s1, s1, 0
	v_add_u32_e32 v2, v1, v2
	v_lshrrev_b32_e32 v2, s5, v2
	v_mul_lo_u32 v4, v2, s6
	s_add_i32 s4, s4, -1
	s_cmp_lg_u32 s4, 0
	v_sub_u32_e32 v1, v1, v4
	s_waitcnt lgkmcnt(0)
	v_mad_u64_u32 v[0:1], s[6:7], v1, s7, v[0:1]
	v_mov_b32_e32 v1, v2
	s_cbranch_scc1 .LBB69_17
.LBB69_18:
	s_cbranch_execnz .LBB69_21
.LBB69_19:
	s_waitcnt lgkmcnt(0)
	v_mul_hi_u32 v0, s13, v3
	s_andn2_b64 vcc, exec, s[36:37]
	v_add_u32_e32 v0, v3, v0
	v_lshrrev_b32_e32 v1, s14, v0
	v_mul_lo_u32 v0, v1, s12
	v_sub_u32_e32 v0, v3, v0
	v_mul_lo_u32 v0, v0, s30
	s_cbranch_vccnz .LBB69_21
; %bb.20:
	v_mul_hi_u32 v2, s34, v1
	v_add_u32_e32 v2, v1, v2
	v_lshrrev_b32_e32 v2, s35, v2
	v_mul_lo_u32 v2, v2, s15
	v_sub_u32_e32 v1, v1, v2
	v_mad_u64_u32 v[0:1], s[0:1], v1, s31, v[0:1]
.LBB69_21:
	s_waitcnt lgkmcnt(0)
	v_mov_b32_e32 v1, s10
	v_mov_b32_e32 v2, s11
	v_add_u32_e32 v3, 0x80, v3
	global_store_dwordx2 v0, v[1:2], s[8:9]
	s_or_b64 exec, exec, s[42:43]
	v_cmp_gt_i32_e32 vcc, s49, v3
	s_and_saveexec_b64 s[42:43], vcc
	s_cbranch_execz .LBB69_6
.LBB69_22:
	s_andn2_b64 vcc, exec, s[26:27]
	s_cbranch_vccnz .LBB69_27
; %bb.23:
	s_andn2_b64 vcc, exec, s[40:41]
	s_cbranch_vccnz .LBB69_28
; %bb.24:
	s_add_i32 s52, s50, 1
	s_cmp_eq_u32 s48, 2
	s_cbranch_scc1 .LBB69_29
; %bb.25:
	s_and_b32 s51, s52, 28
	s_mov_b32 s53, 0
	v_mov_b32_e32 v0, 0
	s_mov_b64 s[44:45], s[24:25]
	s_mov_b64 s[46:47], s[38:39]
	v_mov_b32_e32 v1, v3
.LBB69_26:                              ; =>This Inner Loop Header: Depth=1
	s_load_dwordx8 s[0:7], s[44:45], 0x4
	s_load_dwordx4 s[16:19], s[44:45], 0x24
	s_load_dwordx4 s[20:23], s[46:47], 0x0
	s_add_u32 s44, s44, 48
	s_addc_u32 s45, s45, 0
	s_waitcnt lgkmcnt(0)
	v_mul_hi_u32 v2, s1, v1
	s_add_i32 s53, s53, 4
	s_add_u32 s46, s46, 16
	s_addc_u32 s47, s47, 0
	v_add_u32_e32 v2, v1, v2
	v_lshrrev_b32_e32 v2, s2, v2
	v_mul_lo_u32 v4, v2, s0
	v_mul_hi_u32 v5, s4, v2
	s_cmp_eq_u32 s51, s53
	v_sub_u32_e32 v1, v1, v4
	v_add_u32_e32 v4, v2, v5
	v_lshrrev_b32_e32 v4, s5, v4
	v_mul_lo_u32 v5, v1, s20
	v_mul_hi_u32 v1, s7, v4
	v_mul_lo_u32 v7, v4, s3
	v_add_u32_e32 v1, v4, v1
	v_lshrrev_b32_e32 v6, s16, v1
	v_mul_hi_u32 v1, s18, v6
	v_sub_u32_e32 v2, v2, v7
	v_mul_lo_u32 v7, v6, s6
	v_mul_lo_u32 v2, v2, s21
	v_add_u32_e32 v1, v6, v1
	v_lshrrev_b32_e32 v1, s19, v1
	v_mul_lo_u32 v8, v1, s17
	v_sub_u32_e32 v4, v4, v7
	v_mul_lo_u32 v4, v4, s22
	v_add3_u32 v0, v5, v0, v2
	v_sub_u32_e32 v6, v6, v8
	v_mul_lo_u32 v6, v6, s23
	v_add3_u32 v0, v4, v0, v6
	s_cbranch_scc0 .LBB69_26
	s_branch .LBB69_30
.LBB69_27:
                                        ; implicit-def: $vgpr0
	s_branch .LBB69_34
.LBB69_28:
	v_mov_b32_e32 v0, 0
	s_branch .LBB69_33
.LBB69_29:
	v_mov_b32_e32 v0, 0
	s_mov_b32 s51, 0
	v_mov_b32_e32 v1, v3
.LBB69_30:
	s_and_b32 s4, s52, 3
	s_cmp_eq_u32 s4, 0
	s_cbranch_scc1 .LBB69_33
; %bb.31:
	s_lshl_b32 s0, s51, 2
	s_add_u32 s0, s24, s0
	s_addc_u32 s1, s25, 0
	s_add_u32 s0, s0, 0xc4
	s_addc_u32 s1, s1, 0
	s_mul_i32 s2, s51, 12
	s_add_u32 s2, s24, s2
	s_addc_u32 s3, s25, 0
.LBB69_32:                              ; =>This Inner Loop Header: Depth=1
	s_load_dwordx2 s[6:7], s[2:3], 0x4
	s_load_dword s5, s[2:3], 0xc
	s_add_u32 s2, s2, 12
	s_addc_u32 s3, s3, 0
	s_waitcnt lgkmcnt(0)
	v_mul_hi_u32 v2, s7, v1
	s_load_dword s7, s[0:1], 0x0
	s_add_u32 s0, s0, 4
	s_addc_u32 s1, s1, 0
	v_add_u32_e32 v2, v1, v2
	v_lshrrev_b32_e32 v2, s5, v2
	v_mul_lo_u32 v4, v2, s6
	s_add_i32 s4, s4, -1
	s_cmp_lg_u32 s4, 0
	v_sub_u32_e32 v1, v1, v4
	s_waitcnt lgkmcnt(0)
	v_mad_u64_u32 v[0:1], s[6:7], v1, s7, v[0:1]
	v_mov_b32_e32 v1, v2
	s_cbranch_scc1 .LBB69_32
.LBB69_33:
	s_cbranch_execnz .LBB69_36
.LBB69_34:
	s_waitcnt lgkmcnt(0)
	v_mul_hi_u32 v0, s13, v3
	s_andn2_b64 vcc, exec, s[36:37]
	v_add_u32_e32 v0, v3, v0
	v_lshrrev_b32_e32 v1, s14, v0
	v_mul_lo_u32 v0, v1, s12
	v_sub_u32_e32 v0, v3, v0
	v_mul_lo_u32 v0, v0, s30
	s_cbranch_vccnz .LBB69_36
; %bb.35:
	v_mul_hi_u32 v2, s34, v1
	v_add_u32_e32 v2, v1, v2
	v_lshrrev_b32_e32 v2, s35, v2
	v_mul_lo_u32 v2, v2, s15
	v_sub_u32_e32 v1, v1, v2
	v_mad_u64_u32 v[0:1], s[0:1], v1, s31, v[0:1]
.LBB69_36:
	s_waitcnt lgkmcnt(0)
	v_mov_b32_e32 v1, s10
	v_mov_b32_e32 v2, s11
	v_add_u32_e32 v3, 0x80, v3
	global_store_dwordx2 v0, v[1:2], s[8:9]
	s_or_b64 exec, exec, s[42:43]
	v_cmp_gt_i32_e32 vcc, s49, v3
	s_and_saveexec_b64 s[42:43], vcc
	s_cbranch_execz .LBB69_52
.LBB69_37:
	s_andn2_b64 vcc, exec, s[26:27]
	s_cbranch_vccnz .LBB69_42
; %bb.38:
	s_andn2_b64 vcc, exec, s[40:41]
	s_cbranch_vccnz .LBB69_43
; %bb.39:
	s_add_i32 s52, s50, 1
	s_cmp_eq_u32 s48, 2
	s_cbranch_scc1 .LBB69_44
; %bb.40:
	s_and_b32 s51, s52, 28
	s_mov_b32 s53, 0
	v_mov_b32_e32 v0, 0
	s_mov_b64 s[44:45], s[24:25]
	s_mov_b64 s[46:47], s[38:39]
	v_mov_b32_e32 v1, v3
.LBB69_41:                              ; =>This Inner Loop Header: Depth=1
	s_load_dwordx8 s[0:7], s[44:45], 0x4
	s_load_dwordx4 s[16:19], s[44:45], 0x24
	s_load_dwordx4 s[20:23], s[46:47], 0x0
	s_add_u32 s44, s44, 48
	s_addc_u32 s45, s45, 0
	s_waitcnt lgkmcnt(0)
	v_mul_hi_u32 v2, s1, v1
	s_add_i32 s53, s53, 4
	s_add_u32 s46, s46, 16
	s_addc_u32 s47, s47, 0
	v_add_u32_e32 v2, v1, v2
	v_lshrrev_b32_e32 v2, s2, v2
	v_mul_lo_u32 v4, v2, s0
	v_mul_hi_u32 v5, s4, v2
	s_cmp_eq_u32 s51, s53
	v_sub_u32_e32 v1, v1, v4
	v_add_u32_e32 v4, v2, v5
	v_lshrrev_b32_e32 v4, s5, v4
	v_mul_lo_u32 v5, v1, s20
	v_mul_hi_u32 v1, s7, v4
	v_mul_lo_u32 v7, v4, s3
	v_add_u32_e32 v1, v4, v1
	v_lshrrev_b32_e32 v6, s16, v1
	v_mul_hi_u32 v1, s18, v6
	v_sub_u32_e32 v2, v2, v7
	v_mul_lo_u32 v7, v6, s6
	v_mul_lo_u32 v2, v2, s21
	v_add_u32_e32 v1, v6, v1
	v_lshrrev_b32_e32 v1, s19, v1
	v_mul_lo_u32 v8, v1, s17
	v_sub_u32_e32 v4, v4, v7
	v_mul_lo_u32 v4, v4, s22
	v_add3_u32 v0, v5, v0, v2
	v_sub_u32_e32 v6, v6, v8
	v_mul_lo_u32 v6, v6, s23
	v_add3_u32 v0, v4, v0, v6
	s_cbranch_scc0 .LBB69_41
	s_branch .LBB69_45
.LBB69_42:
                                        ; implicit-def: $vgpr0
	s_branch .LBB69_49
.LBB69_43:
	v_mov_b32_e32 v0, 0
	s_branch .LBB69_48
.LBB69_44:
	v_mov_b32_e32 v0, 0
	s_mov_b32 s51, 0
	v_mov_b32_e32 v1, v3
.LBB69_45:
	s_and_b32 s4, s52, 3
	s_cmp_eq_u32 s4, 0
	s_cbranch_scc1 .LBB69_48
; %bb.46:
	s_lshl_b32 s0, s51, 2
	s_add_u32 s0, s24, s0
	s_addc_u32 s1, s25, 0
	s_add_u32 s0, s0, 0xc4
	s_addc_u32 s1, s1, 0
	s_mul_i32 s2, s51, 12
	s_add_u32 s2, s24, s2
	s_addc_u32 s3, s25, 0
.LBB69_47:                              ; =>This Inner Loop Header: Depth=1
	s_load_dwordx2 s[6:7], s[2:3], 0x4
	s_load_dword s5, s[2:3], 0xc
	s_add_u32 s2, s2, 12
	s_addc_u32 s3, s3, 0
	s_waitcnt lgkmcnt(0)
	v_mul_hi_u32 v2, s7, v1
	s_load_dword s7, s[0:1], 0x0
	s_add_u32 s0, s0, 4
	s_addc_u32 s1, s1, 0
	v_add_u32_e32 v2, v1, v2
	v_lshrrev_b32_e32 v2, s5, v2
	v_mul_lo_u32 v4, v2, s6
	s_add_i32 s4, s4, -1
	s_cmp_lg_u32 s4, 0
	v_sub_u32_e32 v1, v1, v4
	s_waitcnt lgkmcnt(0)
	v_mad_u64_u32 v[0:1], s[6:7], v1, s7, v[0:1]
	v_mov_b32_e32 v1, v2
	s_cbranch_scc1 .LBB69_47
.LBB69_48:
	s_cbranch_execnz .LBB69_51
.LBB69_49:
	s_waitcnt lgkmcnt(0)
	v_mul_hi_u32 v0, s13, v3
	s_andn2_b64 vcc, exec, s[36:37]
	v_add_u32_e32 v0, v3, v0
	v_lshrrev_b32_e32 v1, s14, v0
	v_mul_lo_u32 v0, v1, s12
	v_sub_u32_e32 v0, v3, v0
	v_mul_lo_u32 v0, v0, s30
	s_cbranch_vccnz .LBB69_51
; %bb.50:
	v_mul_hi_u32 v2, s34, v1
	v_add_u32_e32 v2, v1, v2
	v_lshrrev_b32_e32 v2, s35, v2
	v_mul_lo_u32 v2, v2, s15
	v_sub_u32_e32 v1, v1, v2
	v_mad_u64_u32 v[0:1], s[0:1], v1, s31, v[0:1]
.LBB69_51:
	s_waitcnt lgkmcnt(0)
	v_mov_b32_e32 v1, s10
	v_mov_b32_e32 v2, s11
	v_add_u32_e32 v3, 0x80, v3
	global_store_dwordx2 v0, v[1:2], s[8:9]
.LBB69_52:
	s_or_b64 exec, exec, s[42:43]
	v_cmp_gt_i32_e32 vcc, s49, v3
	s_mov_b64 s[0:1], 0
                                        ; implicit-def: $vgpr4_vgpr5
	s_and_saveexec_b64 s[42:43], vcc
	s_cbranch_execz .LBB69_68
; %bb.53:
	s_andn2_b64 vcc, exec, s[26:27]
	s_cbranch_vccnz .LBB69_58
; %bb.54:
	s_andn2_b64 vcc, exec, s[40:41]
	s_cbranch_vccnz .LBB69_59
; %bb.55:
	s_add_i32 s50, s50, 1
	s_cmp_eq_u32 s48, 2
	s_cbranch_scc1 .LBB69_60
; %bb.56:
	s_and_b32 s44, s50, 28
	s_mov_b32 s45, 0
	v_mov_b32_e32 v0, 0
	s_mov_b64 s[40:41], s[24:25]
	v_mov_b32_e32 v1, v3
.LBB69_57:                              ; =>This Inner Loop Header: Depth=1
	s_load_dwordx8 s[0:7], s[40:41], 0x4
	s_load_dwordx4 s[16:19], s[40:41], 0x24
	s_load_dwordx4 s[20:23], s[38:39], 0x0
	s_add_u32 s40, s40, 48
	s_addc_u32 s41, s41, 0
	s_waitcnt lgkmcnt(0)
	v_mul_hi_u32 v2, s1, v1
	s_add_i32 s45, s45, 4
	s_add_u32 s38, s38, 16
	s_addc_u32 s39, s39, 0
	v_add_u32_e32 v2, v1, v2
	v_lshrrev_b32_e32 v2, s2, v2
	v_mul_lo_u32 v4, v2, s0
	v_mul_hi_u32 v5, s4, v2
	s_cmp_eq_u32 s44, s45
	v_sub_u32_e32 v1, v1, v4
	v_add_u32_e32 v4, v2, v5
	v_lshrrev_b32_e32 v4, s5, v4
	v_mul_lo_u32 v5, v1, s20
	v_mul_hi_u32 v1, s7, v4
	v_mul_lo_u32 v7, v4, s3
	v_add_u32_e32 v1, v4, v1
	v_lshrrev_b32_e32 v6, s16, v1
	v_mul_hi_u32 v1, s18, v6
	v_sub_u32_e32 v2, v2, v7
	v_mul_lo_u32 v7, v6, s6
	v_mul_lo_u32 v2, v2, s21
	v_add_u32_e32 v1, v6, v1
	v_lshrrev_b32_e32 v1, s19, v1
	v_mul_lo_u32 v8, v1, s17
	v_sub_u32_e32 v4, v4, v7
	v_mul_lo_u32 v4, v4, s22
	v_add3_u32 v0, v5, v0, v2
	v_sub_u32_e32 v6, v6, v8
	v_mul_lo_u32 v6, v6, s23
	v_add3_u32 v0, v4, v0, v6
	s_cbranch_scc0 .LBB69_57
	s_branch .LBB69_61
.LBB69_58:
                                        ; implicit-def: $vgpr0
	s_branch .LBB69_65
.LBB69_59:
	v_mov_b32_e32 v0, 0
	s_branch .LBB69_64
.LBB69_60:
	v_mov_b32_e32 v0, 0
	s_mov_b32 s44, 0
	v_mov_b32_e32 v1, v3
.LBB69_61:
	s_and_b32 s4, s50, 3
	s_cmp_eq_u32 s4, 0
	s_cbranch_scc1 .LBB69_64
; %bb.62:
	s_lshl_b32 s0, s44, 2
	s_add_u32 s0, s24, s0
	s_addc_u32 s1, s25, 0
	s_add_u32 s0, s0, 0xc4
	s_addc_u32 s1, s1, 0
	s_mul_i32 s2, s44, 12
	s_add_u32 s2, s24, s2
	s_addc_u32 s3, s25, 0
.LBB69_63:                              ; =>This Inner Loop Header: Depth=1
	s_load_dwordx2 s[6:7], s[2:3], 0x4
	s_load_dword s5, s[2:3], 0xc
	s_add_u32 s2, s2, 12
	s_addc_u32 s3, s3, 0
	s_waitcnt lgkmcnt(0)
	v_mul_hi_u32 v2, s7, v1
	s_load_dword s7, s[0:1], 0x0
	s_add_u32 s0, s0, 4
	s_addc_u32 s1, s1, 0
	v_add_u32_e32 v2, v1, v2
	v_lshrrev_b32_e32 v2, s5, v2
	v_mul_lo_u32 v4, v2, s6
	s_add_i32 s4, s4, -1
	s_cmp_lg_u32 s4, 0
	v_sub_u32_e32 v1, v1, v4
	s_waitcnt lgkmcnt(0)
	v_mad_u64_u32 v[0:1], s[6:7], v1, s7, v[0:1]
	v_mov_b32_e32 v1, v2
	s_cbranch_scc1 .LBB69_63
.LBB69_64:
	s_cbranch_execnz .LBB69_67
.LBB69_65:
	s_waitcnt lgkmcnt(0)
	v_mul_hi_u32 v0, s13, v3
	s_andn2_b64 vcc, exec, s[36:37]
	v_add_u32_e32 v0, v3, v0
	v_lshrrev_b32_e32 v1, s14, v0
	v_mul_lo_u32 v0, v1, s12
	v_sub_u32_e32 v0, v3, v0
	v_mul_lo_u32 v0, v0, s30
	s_cbranch_vccnz .LBB69_67
; %bb.66:
	v_mul_hi_u32 v2, s34, v1
	v_add_u32_e32 v2, v1, v2
	v_lshrrev_b32_e32 v2, s35, v2
	v_mul_lo_u32 v2, v2, s15
	v_sub_u32_e32 v1, v1, v2
	v_mad_u64_u32 v[0:1], s[0:1], v1, s31, v[0:1]
.LBB69_67:
	s_waitcnt lgkmcnt(0)
	v_mov_b32_e32 v1, s9
	v_add_co_u32_e32 v4, vcc, s8, v0
	s_mov_b64 s[0:1], exec
	v_addc_co_u32_e32 v5, vcc, 0, v1, vcc
	v_mov_b32_e32 v1, s10
	global_store_dword v0, v1, s[8:9]
.LBB69_68:
	s_or_b64 exec, exec, s[42:43]
	s_and_b64 s[20:21], s[0:1], exec
                                        ; implicit-def: $vgpr6
                                        ; implicit-def: $vgpr3
	s_or_saveexec_b64 s[22:23], s[28:29]
	s_waitcnt lgkmcnt(0)
	v_mov_b32_e32 v0, s11
	s_xor_b64 exec, exec, s[22:23]
	s_cbranch_execz .LBB69_2
.LBB69_69:
	v_cndmask_b32_e64 v0, 0, 1, s[26:27]
	v_cmp_ne_u32_e64 s[0:1], 1, v0
	s_andn2_b64 vcc, exec, s[26:27]
	s_cbranch_vccnz .LBB69_75
; %bb.70:
	s_cmp_lg_u32 s33, 0
	s_mov_b32 s28, 0
	s_cbranch_scc0 .LBB69_76
; %bb.71:
	s_min_u32 s29, s48, 15
	s_add_i32 s29, s29, 1
	s_cmp_eq_u32 s48, 2
	s_cbranch_scc1 .LBB69_77
; %bb.72:
	s_and_b32 s28, s29, 28
	s_add_u32 s2, s24, 0xc4
	s_addc_u32 s3, s25, 0
	s_mov_b32 s30, 0
	v_mov_b32_e32 v0, 0
	s_mov_b64 s[26:27], s[24:25]
	v_mov_b32_e32 v1, v3
.LBB69_73:                              ; =>This Inner Loop Header: Depth=1
	s_load_dwordx8 s[4:11], s[26:27], 0x4
	s_load_dwordx4 s[12:15], s[26:27], 0x24
	s_load_dwordx4 s[16:19], s[2:3], 0x0
	s_add_u32 s26, s26, 48
	s_addc_u32 s27, s27, 0
	s_waitcnt lgkmcnt(0)
	v_mul_hi_u32 v2, s5, v1
	s_add_i32 s30, s30, 4
	s_add_u32 s2, s2, 16
	s_addc_u32 s3, s3, 0
	v_add_u32_e32 v2, v1, v2
	v_lshrrev_b32_e32 v2, s6, v2
	v_mul_lo_u32 v4, v2, s4
	v_mul_hi_u32 v5, s8, v2
	s_cmp_lg_u32 s28, s30
	v_sub_u32_e32 v1, v1, v4
	v_add_u32_e32 v4, v2, v5
	v_lshrrev_b32_e32 v4, s9, v4
	v_mul_lo_u32 v5, v1, s16
	v_mul_hi_u32 v1, s11, v4
	v_mul_lo_u32 v8, v4, s7
	v_add_u32_e32 v1, v4, v1
	v_lshrrev_b32_e32 v7, s12, v1
	v_mul_hi_u32 v1, s14, v7
	v_sub_u32_e32 v2, v2, v8
	v_mul_lo_u32 v8, v7, s10
	v_mul_lo_u32 v2, v2, s17
	v_add_u32_e32 v1, v7, v1
	v_lshrrev_b32_e32 v1, s15, v1
	v_mul_lo_u32 v9, v1, s13
	v_sub_u32_e32 v4, v4, v8
	v_mul_lo_u32 v4, v4, s18
	v_add3_u32 v0, v5, v0, v2
	v_sub_u32_e32 v7, v7, v9
	v_mul_lo_u32 v7, v7, s19
	v_add3_u32 v0, v4, v0, v7
	s_cbranch_scc1 .LBB69_73
; %bb.74:
	s_and_b32 s6, s29, 3
	s_cmp_eq_u32 s6, 0
	s_cbranch_scc0 .LBB69_78
	s_branch .LBB69_80
.LBB69_75:
                                        ; implicit-def: $vgpr0
	s_branch .LBB69_81
.LBB69_76:
	v_mov_b32_e32 v0, 0
	s_branch .LBB69_80
.LBB69_77:
	v_mov_b32_e32 v0, 0
	v_mov_b32_e32 v1, v3
	s_and_b32 s6, s29, 3
	s_cmp_eq_u32 s6, 0
	s_cbranch_scc1 .LBB69_80
.LBB69_78:
	s_lshl_b32 s2, s28, 2
	s_add_u32 s2, s24, s2
	s_addc_u32 s3, s25, 0
	s_add_u32 s2, s2, 0xc4
	s_addc_u32 s3, s3, 0
	s_mul_i32 s4, s28, 12
	s_add_u32 s4, s24, s4
	s_addc_u32 s5, s25, 0
.LBB69_79:                              ; =>This Inner Loop Header: Depth=1
	s_load_dwordx2 s[8:9], s[4:5], 0x4
	s_load_dword s7, s[4:5], 0xc
	s_add_u32 s4, s4, 12
	s_addc_u32 s5, s5, 0
	s_waitcnt lgkmcnt(0)
	v_mul_hi_u32 v2, s9, v1
	s_load_dword s9, s[2:3], 0x0
	s_add_u32 s2, s2, 4
	s_addc_u32 s3, s3, 0
	v_add_u32_e32 v2, v1, v2
	v_lshrrev_b32_e32 v2, s7, v2
	v_mul_lo_u32 v4, v2, s8
	s_add_i32 s6, s6, -1
	s_cmp_lg_u32 s6, 0
	v_sub_u32_e32 v1, v1, v4
	s_waitcnt lgkmcnt(0)
	v_mad_u64_u32 v[0:1], s[8:9], v1, s9, v[0:1]
	v_mov_b32_e32 v1, v2
	s_cbranch_scc1 .LBB69_79
.LBB69_80:
	s_cbranch_execnz .LBB69_83
.LBB69_81:
	s_load_dwordx4 s[4:7], s[24:25], 0x4
	s_load_dword s2, s[24:25], 0xc4
	s_cmp_lt_u32 s33, 2
	s_waitcnt lgkmcnt(0)
	v_mul_hi_u32 v0, s5, v3
	v_add_u32_e32 v0, v3, v0
	v_lshrrev_b32_e32 v1, s6, v0
	v_mul_lo_u32 v0, v1, s4
	v_sub_u32_e32 v0, v3, v0
	v_mul_lo_u32 v0, v0, s2
	s_cbranch_scc1 .LBB69_83
; %bb.82:
	s_load_dwordx4 s[4:7], s[24:25], 0x10
	s_load_dword s2, s[24:25], 0xc8
	s_waitcnt lgkmcnt(0)
	v_mul_hi_u32 v2, s5, v1
	v_add_u32_e32 v2, v1, v2
	v_lshrrev_b32_e32 v2, s6, v2
	v_mul_lo_u32 v2, v2, s4
	v_sub_u32_e32 v1, v1, v2
	v_mad_u64_u32 v[0:1], s[2:3], v1, s2, v[0:1]
.LBB69_83:
	s_and_b64 vcc, exec, s[0:1]
	v_add_u32_e32 v4, 0x80, v3
	s_cbranch_vccnz .LBB69_89
; %bb.84:
	s_cmp_lg_u32 s33, 0
	s_mov_b32 s28, 0
	s_cbranch_scc0 .LBB69_90
; %bb.85:
	s_min_u32 s29, s48, 15
	s_add_i32 s29, s29, 1
	s_cmp_eq_u32 s48, 2
	s_cbranch_scc1 .LBB69_91
; %bb.86:
	s_and_b32 s28, s29, 28
	s_add_u32 s2, s24, 0xc4
	s_addc_u32 s3, s25, 0
	s_mov_b32 s30, 0
	v_mov_b32_e32 v1, 0
	s_mov_b64 s[26:27], s[24:25]
	v_mov_b32_e32 v2, v4
.LBB69_87:                              ; =>This Inner Loop Header: Depth=1
	s_load_dwordx8 s[4:11], s[26:27], 0x4
	s_load_dwordx4 s[12:15], s[26:27], 0x24
	s_load_dwordx4 s[16:19], s[2:3], 0x0
	s_add_u32 s26, s26, 48
	s_addc_u32 s27, s27, 0
	s_waitcnt lgkmcnt(0)
	v_mul_hi_u32 v5, s5, v2
	s_add_i32 s30, s30, 4
	s_add_u32 s2, s2, 16
	s_addc_u32 s3, s3, 0
	v_add_u32_e32 v5, v2, v5
	v_lshrrev_b32_e32 v5, s6, v5
	v_mul_lo_u32 v7, v5, s4
	v_mul_hi_u32 v8, s8, v5
	s_cmp_lg_u32 s28, s30
	v_sub_u32_e32 v2, v2, v7
	v_add_u32_e32 v7, v5, v8
	v_lshrrev_b32_e32 v7, s9, v7
	v_mul_lo_u32 v8, v2, s16
	v_mul_hi_u32 v2, s11, v7
	v_mul_lo_u32 v10, v7, s7
	v_add_u32_e32 v2, v7, v2
	v_lshrrev_b32_e32 v9, s12, v2
	v_mul_hi_u32 v2, s14, v9
	v_sub_u32_e32 v5, v5, v10
	v_mul_lo_u32 v10, v9, s10
	v_mul_lo_u32 v5, v5, s17
	v_add_u32_e32 v2, v9, v2
	v_lshrrev_b32_e32 v2, s15, v2
	v_mul_lo_u32 v11, v2, s13
	v_sub_u32_e32 v7, v7, v10
	v_mul_lo_u32 v7, v7, s18
	v_add3_u32 v1, v8, v1, v5
	v_sub_u32_e32 v9, v9, v11
	v_mul_lo_u32 v9, v9, s19
	v_add3_u32 v1, v7, v1, v9
	s_cbranch_scc1 .LBB69_87
; %bb.88:
	s_and_b32 s6, s29, 3
	s_cmp_eq_u32 s6, 0
	s_cbranch_scc0 .LBB69_92
	s_branch .LBB69_94
.LBB69_89:
                                        ; implicit-def: $vgpr1
	s_branch .LBB69_95
.LBB69_90:
	v_mov_b32_e32 v1, 0
	s_branch .LBB69_94
.LBB69_91:
	v_mov_b32_e32 v1, 0
	v_mov_b32_e32 v2, v4
	s_and_b32 s6, s29, 3
	s_cmp_eq_u32 s6, 0
	s_cbranch_scc1 .LBB69_94
.LBB69_92:
	s_lshl_b32 s2, s28, 2
	s_add_u32 s2, s24, s2
	s_addc_u32 s3, s25, 0
	s_add_u32 s2, s2, 0xc4
	s_addc_u32 s3, s3, 0
	s_mul_i32 s4, s28, 12
	s_add_u32 s4, s24, s4
	s_addc_u32 s5, s25, 0
.LBB69_93:                              ; =>This Inner Loop Header: Depth=1
	s_load_dwordx2 s[8:9], s[4:5], 0x4
	s_load_dword s7, s[4:5], 0xc
	s_add_u32 s4, s4, 12
	s_addc_u32 s5, s5, 0
	s_waitcnt lgkmcnt(0)
	v_mul_hi_u32 v5, s9, v2
	s_load_dword s9, s[2:3], 0x0
	s_add_u32 s2, s2, 4
	s_addc_u32 s3, s3, 0
	v_add_u32_e32 v5, v2, v5
	v_lshrrev_b32_e32 v5, s7, v5
	v_mul_lo_u32 v7, v5, s8
	s_add_i32 s6, s6, -1
	s_cmp_lg_u32 s6, 0
	v_sub_u32_e32 v2, v2, v7
	s_waitcnt lgkmcnt(0)
	v_mad_u64_u32 v[1:2], s[8:9], v2, s9, v[1:2]
	v_mov_b32_e32 v2, v5
	s_cbranch_scc1 .LBB69_93
.LBB69_94:
	s_cbranch_execnz .LBB69_97
.LBB69_95:
	s_load_dwordx4 s[4:7], s[24:25], 0x4
	s_load_dword s2, s[24:25], 0xc4
	s_cmp_lt_u32 s33, 2
	s_waitcnt lgkmcnt(0)
	v_mul_hi_u32 v1, s5, v4
	v_add_u32_e32 v1, v4, v1
	v_lshrrev_b32_e32 v2, s6, v1
	v_mul_lo_u32 v1, v2, s4
	v_sub_u32_e32 v1, v4, v1
	v_mul_lo_u32 v1, v1, s2
	s_cbranch_scc1 .LBB69_97
; %bb.96:
	s_load_dwordx4 s[4:7], s[24:25], 0x10
	s_load_dword s2, s[24:25], 0xc8
	s_waitcnt lgkmcnt(0)
	v_mul_hi_u32 v4, s5, v2
	v_add_u32_e32 v4, v2, v4
	v_lshrrev_b32_e32 v4, s6, v4
	v_mul_lo_u32 v4, v4, s4
	v_sub_u32_e32 v2, v2, v4
	v_mad_u64_u32 v[1:2], s[2:3], v2, s2, v[1:2]
.LBB69_97:
	s_and_b64 vcc, exec, s[0:1]
	v_add_u32_e32 v4, 0x100, v3
	s_cbranch_vccnz .LBB69_103
; %bb.98:
	s_cmp_lg_u32 s33, 0
	s_mov_b32 s28, 0
	s_cbranch_scc0 .LBB69_104
; %bb.99:
	s_min_u32 s29, s48, 15
	s_add_i32 s29, s29, 1
	s_cmp_eq_u32 s48, 2
	s_cbranch_scc1 .LBB69_105
; %bb.100:
	s_and_b32 s28, s29, 28
	s_add_u32 s2, s24, 0xc4
	s_addc_u32 s3, s25, 0
	s_mov_b32 s30, 0
	v_mov_b32_e32 v2, 0
	s_mov_b64 s[26:27], s[24:25]
	v_mov_b32_e32 v3, v4
.LBB69_101:                             ; =>This Inner Loop Header: Depth=1
	s_load_dwordx8 s[4:11], s[26:27], 0x4
	s_load_dwordx4 s[12:15], s[26:27], 0x24
	s_load_dwordx4 s[16:19], s[2:3], 0x0
	s_add_u32 s26, s26, 48
	s_addc_u32 s27, s27, 0
	s_waitcnt lgkmcnt(0)
	v_mul_hi_u32 v5, s5, v3
	s_add_i32 s30, s30, 4
	s_add_u32 s2, s2, 16
	s_addc_u32 s3, s3, 0
	v_add_u32_e32 v5, v3, v5
	v_lshrrev_b32_e32 v5, s6, v5
	v_mul_lo_u32 v7, v5, s4
	v_mul_hi_u32 v8, s8, v5
	s_cmp_lg_u32 s28, s30
	v_sub_u32_e32 v3, v3, v7
	v_add_u32_e32 v7, v5, v8
	v_lshrrev_b32_e32 v7, s9, v7
	v_mul_lo_u32 v8, v3, s16
	v_mul_hi_u32 v3, s11, v7
	v_mul_lo_u32 v10, v7, s7
	v_add_u32_e32 v3, v7, v3
	v_lshrrev_b32_e32 v9, s12, v3
	v_mul_hi_u32 v3, s14, v9
	v_sub_u32_e32 v5, v5, v10
	v_mul_lo_u32 v10, v9, s10
	v_mul_lo_u32 v5, v5, s17
	v_add_u32_e32 v3, v9, v3
	v_lshrrev_b32_e32 v3, s15, v3
	v_mul_lo_u32 v11, v3, s13
	v_sub_u32_e32 v7, v7, v10
	v_mul_lo_u32 v7, v7, s18
	v_add3_u32 v2, v8, v2, v5
	v_sub_u32_e32 v9, v9, v11
	v_mul_lo_u32 v9, v9, s19
	v_add3_u32 v2, v7, v2, v9
	s_cbranch_scc1 .LBB69_101
; %bb.102:
	s_and_b32 s6, s29, 3
	s_cmp_eq_u32 s6, 0
	s_cbranch_scc0 .LBB69_106
	s_branch .LBB69_108
.LBB69_103:
                                        ; implicit-def: $vgpr2
	s_branch .LBB69_109
.LBB69_104:
	v_mov_b32_e32 v2, 0
	s_branch .LBB69_108
.LBB69_105:
	v_mov_b32_e32 v2, 0
	v_mov_b32_e32 v3, v4
	s_and_b32 s6, s29, 3
	s_cmp_eq_u32 s6, 0
	s_cbranch_scc1 .LBB69_108
.LBB69_106:
	s_lshl_b32 s2, s28, 2
	s_add_u32 s2, s24, s2
	s_addc_u32 s3, s25, 0
	s_add_u32 s2, s2, 0xc4
	s_addc_u32 s3, s3, 0
	s_mul_i32 s4, s28, 12
	s_add_u32 s4, s24, s4
	s_addc_u32 s5, s25, 0
.LBB69_107:                             ; =>This Inner Loop Header: Depth=1
	s_load_dwordx2 s[8:9], s[4:5], 0x4
	s_load_dword s7, s[4:5], 0xc
	s_add_u32 s4, s4, 12
	s_addc_u32 s5, s5, 0
	s_waitcnt lgkmcnt(0)
	v_mul_hi_u32 v5, s9, v3
	s_load_dword s9, s[2:3], 0x0
	s_add_u32 s2, s2, 4
	s_addc_u32 s3, s3, 0
	v_add_u32_e32 v5, v3, v5
	v_lshrrev_b32_e32 v5, s7, v5
	v_mul_lo_u32 v7, v5, s8
	s_add_i32 s6, s6, -1
	s_cmp_lg_u32 s6, 0
	v_sub_u32_e32 v3, v3, v7
	s_waitcnt lgkmcnt(0)
	v_mad_u64_u32 v[2:3], s[8:9], v3, s9, v[2:3]
	v_mov_b32_e32 v3, v5
	s_cbranch_scc1 .LBB69_107
.LBB69_108:
	s_cbranch_execnz .LBB69_111
.LBB69_109:
	s_load_dwordx4 s[4:7], s[24:25], 0x4
	s_load_dword s2, s[24:25], 0xc4
	s_cmp_lt_u32 s33, 2
	s_waitcnt lgkmcnt(0)
	v_mul_hi_u32 v2, s5, v4
	v_add_u32_e32 v2, v4, v2
	v_lshrrev_b32_e32 v3, s6, v2
	v_mul_lo_u32 v2, v3, s4
	v_sub_u32_e32 v2, v4, v2
	v_mul_lo_u32 v2, v2, s2
	s_cbranch_scc1 .LBB69_111
; %bb.110:
	s_load_dwordx4 s[4:7], s[24:25], 0x10
	s_load_dword s2, s[24:25], 0xc8
	s_waitcnt lgkmcnt(0)
	v_mul_hi_u32 v4, s5, v3
	v_add_u32_e32 v4, v3, v4
	v_lshrrev_b32_e32 v4, s6, v4
	v_mul_lo_u32 v4, v4, s4
	v_sub_u32_e32 v3, v3, v4
	v_mad_u64_u32 v[2:3], s[2:3], v3, s2, v[2:3]
.LBB69_111:
	s_and_b64 vcc, exec, s[0:1]
	s_cbranch_vccnz .LBB69_117
; %bb.112:
	s_cmp_lg_u32 s33, 0
	s_mov_b32 s26, 0
	s_cbranch_scc0 .LBB69_118
; %bb.113:
	s_min_u32 s27, s48, 15
	s_add_i32 s27, s27, 1
	s_cmp_eq_u32 s48, 2
	s_cbranch_scc1 .LBB69_119
; %bb.114:
	s_and_b32 s26, s27, 28
	s_add_u32 s16, s24, 0xc4
	s_addc_u32 s17, s25, 0
	s_mov_b32 s28, 0
	v_mov_b32_e32 v3, 0
	s_mov_b64 s[18:19], s[24:25]
	v_mov_b32_e32 v4, v6
.LBB69_115:                             ; =>This Inner Loop Header: Depth=1
	s_load_dwordx8 s[0:7], s[18:19], 0x4
	s_load_dwordx4 s[8:11], s[18:19], 0x24
	s_load_dwordx4 s[12:15], s[16:17], 0x0
	s_add_u32 s18, s18, 48
	s_addc_u32 s19, s19, 0
	s_waitcnt lgkmcnt(0)
	v_mul_hi_u32 v5, s1, v4
	s_add_i32 s28, s28, 4
	s_add_u32 s16, s16, 16
	s_addc_u32 s17, s17, 0
	v_add_u32_e32 v5, v4, v5
	v_lshrrev_b32_e32 v5, s2, v5
	v_mul_lo_u32 v7, v5, s0
	v_mul_hi_u32 v8, s4, v5
	s_cmp_lg_u32 s26, s28
	v_sub_u32_e32 v4, v4, v7
	v_add_u32_e32 v7, v5, v8
	v_lshrrev_b32_e32 v7, s5, v7
	v_mul_lo_u32 v8, v4, s12
	v_mul_hi_u32 v4, s7, v7
	v_mul_lo_u32 v10, v7, s3
	v_add_u32_e32 v4, v7, v4
	v_lshrrev_b32_e32 v9, s8, v4
	v_mul_hi_u32 v4, s10, v9
	v_sub_u32_e32 v5, v5, v10
	v_mul_lo_u32 v10, v9, s6
	v_mul_lo_u32 v5, v5, s13
	v_add_u32_e32 v4, v9, v4
	v_lshrrev_b32_e32 v4, s11, v4
	v_mul_lo_u32 v11, v4, s9
	v_sub_u32_e32 v7, v7, v10
	v_mul_lo_u32 v7, v7, s14
	v_add3_u32 v3, v8, v3, v5
	v_sub_u32_e32 v9, v9, v11
	v_mul_lo_u32 v9, v9, s15
	v_add3_u32 v3, v7, v3, v9
	s_cbranch_scc1 .LBB69_115
; %bb.116:
	s_and_b32 s4, s27, 3
	s_cmp_eq_u32 s4, 0
	s_cbranch_scc0 .LBB69_120
	s_branch .LBB69_122
.LBB69_117:
                                        ; implicit-def: $vgpr3
	s_branch .LBB69_123
.LBB69_118:
	v_mov_b32_e32 v3, 0
	s_branch .LBB69_122
.LBB69_119:
	v_mov_b32_e32 v3, 0
	v_mov_b32_e32 v4, v6
	s_and_b32 s4, s27, 3
	s_cmp_eq_u32 s4, 0
	s_cbranch_scc1 .LBB69_122
.LBB69_120:
	s_lshl_b32 s0, s26, 2
	s_add_u32 s0, s24, s0
	s_addc_u32 s1, s25, 0
	s_add_u32 s0, s0, 0xc4
	s_addc_u32 s1, s1, 0
	s_mul_i32 s2, s26, 12
	s_add_u32 s2, s24, s2
	s_addc_u32 s3, s25, 0
.LBB69_121:                             ; =>This Inner Loop Header: Depth=1
	s_load_dwordx2 s[6:7], s[2:3], 0x4
	s_load_dword s5, s[2:3], 0xc
	s_add_u32 s2, s2, 12
	s_addc_u32 s3, s3, 0
	s_waitcnt lgkmcnt(0)
	v_mul_hi_u32 v5, s7, v4
	s_load_dword s7, s[0:1], 0x0
	s_add_u32 s0, s0, 4
	s_addc_u32 s1, s1, 0
	v_add_u32_e32 v5, v4, v5
	v_lshrrev_b32_e32 v5, s5, v5
	v_mul_lo_u32 v7, v5, s6
	s_add_i32 s4, s4, -1
	s_cmp_lg_u32 s4, 0
	v_sub_u32_e32 v4, v4, v7
	s_waitcnt lgkmcnt(0)
	v_mad_u64_u32 v[3:4], s[6:7], v4, s7, v[3:4]
	v_mov_b32_e32 v4, v5
	s_cbranch_scc1 .LBB69_121
.LBB69_122:
	s_cbranch_execnz .LBB69_125
.LBB69_123:
	s_load_dwordx4 s[0:3], s[24:25], 0x4
	s_waitcnt lgkmcnt(0)
	s_load_dword s3, s[24:25], 0xc4
	s_cmp_lt_u32 s33, 2
	v_mul_hi_u32 v3, s1, v6
	v_add_u32_e32 v3, v6, v3
	v_lshrrev_b32_e32 v4, s2, v3
	v_mul_lo_u32 v3, v4, s0
	v_sub_u32_e32 v3, v6, v3
	s_waitcnt lgkmcnt(0)
	v_mul_lo_u32 v3, v3, s3
	s_cbranch_scc1 .LBB69_125
; %bb.124:
	s_load_dwordx4 s[0:3], s[24:25], 0x10
	s_waitcnt lgkmcnt(0)
	s_load_dword s3, s[24:25], 0xc8
	v_mul_hi_u32 v5, s1, v4
	v_add_u32_e32 v5, v4, v5
	v_lshrrev_b32_e32 v5, s2, v5
	v_mul_lo_u32 v5, v5, s0
	v_sub_u32_e32 v4, v4, v5
	s_waitcnt lgkmcnt(0)
	v_mad_u64_u32 v[3:4], s[0:1], v4, s3, v[3:4]
.LBB69_125:
	s_load_dwordx4 s[0:3], s[24:25], 0x108
	s_or_b64 s[20:21], s[20:21], exec
	s_waitcnt lgkmcnt(0)
	v_mov_b32_e32 v7, s3
	v_mov_b32_e32 v6, s2
	;; [unrolled: 1-line block ×3, first 2 shown]
	v_add_co_u32_e32 v4, vcc, s0, v3
	global_store_dwordx2 v0, v[6:7], s[0:1]
	global_store_dwordx2 v1, v[6:7], s[0:1]
	global_store_dwordx2 v2, v[6:7], s[0:1]
	v_mov_b32_e32 v0, s2
	v_addc_co_u32_e32 v5, vcc, 0, v5, vcc
	global_store_dword v3, v0, s[0:1]
	v_mov_b32_e32 v0, s3
	s_or_b64 exec, exec, s[22:23]
	s_and_saveexec_b64 s[0:1], s[20:21]
	s_cbranch_execz .LBB69_3
.LBB69_126:
	global_store_dword v[4:5], v0, off offset:4
	s_endpgm
	.section	.rodata,"a",@progbits
	.p2align	6, 0x0
	.amdhsa_kernel _ZN2at6native32elementwise_kernel_manual_unrollILi128ELi4EZNS0_22gpu_kernel_impl_nocastINS0_11FillFunctorIN3c107complexIfEEEEEEvRNS_18TensorIteratorBaseERKT_EUlibE_EEviT1_
		.amdhsa_group_segment_fixed_size 0
		.amdhsa_private_segment_fixed_size 0
		.amdhsa_kernarg_size 288
		.amdhsa_user_sgpr_count 6
		.amdhsa_user_sgpr_private_segment_buffer 1
		.amdhsa_user_sgpr_dispatch_ptr 0
		.amdhsa_user_sgpr_queue_ptr 0
		.amdhsa_user_sgpr_kernarg_segment_ptr 1
		.amdhsa_user_sgpr_dispatch_id 0
		.amdhsa_user_sgpr_flat_scratch_init 0
		.amdhsa_user_sgpr_private_segment_size 0
		.amdhsa_uses_dynamic_stack 0
		.amdhsa_system_sgpr_private_segment_wavefront_offset 0
		.amdhsa_system_sgpr_workgroup_id_x 1
		.amdhsa_system_sgpr_workgroup_id_y 0
		.amdhsa_system_sgpr_workgroup_id_z 0
		.amdhsa_system_sgpr_workgroup_info 0
		.amdhsa_system_vgpr_workitem_id 0
		.amdhsa_next_free_vgpr 12
		.amdhsa_next_free_sgpr 54
		.amdhsa_reserve_vcc 1
		.amdhsa_reserve_flat_scratch 0
		.amdhsa_float_round_mode_32 0
		.amdhsa_float_round_mode_16_64 0
		.amdhsa_float_denorm_mode_32 3
		.amdhsa_float_denorm_mode_16_64 3
		.amdhsa_dx10_clamp 1
		.amdhsa_ieee_mode 1
		.amdhsa_fp16_overflow 0
		.amdhsa_exception_fp_ieee_invalid_op 0
		.amdhsa_exception_fp_denorm_src 0
		.amdhsa_exception_fp_ieee_div_zero 0
		.amdhsa_exception_fp_ieee_overflow 0
		.amdhsa_exception_fp_ieee_underflow 0
		.amdhsa_exception_fp_ieee_inexact 0
		.amdhsa_exception_int_div_zero 0
	.end_amdhsa_kernel
	.section	.text._ZN2at6native32elementwise_kernel_manual_unrollILi128ELi4EZNS0_22gpu_kernel_impl_nocastINS0_11FillFunctorIN3c107complexIfEEEEEEvRNS_18TensorIteratorBaseERKT_EUlibE_EEviT1_,"axG",@progbits,_ZN2at6native32elementwise_kernel_manual_unrollILi128ELi4EZNS0_22gpu_kernel_impl_nocastINS0_11FillFunctorIN3c107complexIfEEEEEEvRNS_18TensorIteratorBaseERKT_EUlibE_EEviT1_,comdat
.Lfunc_end69:
	.size	_ZN2at6native32elementwise_kernel_manual_unrollILi128ELi4EZNS0_22gpu_kernel_impl_nocastINS0_11FillFunctorIN3c107complexIfEEEEEEvRNS_18TensorIteratorBaseERKT_EUlibE_EEviT1_, .Lfunc_end69-_ZN2at6native32elementwise_kernel_manual_unrollILi128ELi4EZNS0_22gpu_kernel_impl_nocastINS0_11FillFunctorIN3c107complexIfEEEEEEvRNS_18TensorIteratorBaseERKT_EUlibE_EEviT1_
                                        ; -- End function
	.set _ZN2at6native32elementwise_kernel_manual_unrollILi128ELi4EZNS0_22gpu_kernel_impl_nocastINS0_11FillFunctorIN3c107complexIfEEEEEEvRNS_18TensorIteratorBaseERKT_EUlibE_EEviT1_.num_vgpr, 12
	.set _ZN2at6native32elementwise_kernel_manual_unrollILi128ELi4EZNS0_22gpu_kernel_impl_nocastINS0_11FillFunctorIN3c107complexIfEEEEEEvRNS_18TensorIteratorBaseERKT_EUlibE_EEviT1_.num_agpr, 0
	.set _ZN2at6native32elementwise_kernel_manual_unrollILi128ELi4EZNS0_22gpu_kernel_impl_nocastINS0_11FillFunctorIN3c107complexIfEEEEEEvRNS_18TensorIteratorBaseERKT_EUlibE_EEviT1_.numbered_sgpr, 54
	.set _ZN2at6native32elementwise_kernel_manual_unrollILi128ELi4EZNS0_22gpu_kernel_impl_nocastINS0_11FillFunctorIN3c107complexIfEEEEEEvRNS_18TensorIteratorBaseERKT_EUlibE_EEviT1_.num_named_barrier, 0
	.set _ZN2at6native32elementwise_kernel_manual_unrollILi128ELi4EZNS0_22gpu_kernel_impl_nocastINS0_11FillFunctorIN3c107complexIfEEEEEEvRNS_18TensorIteratorBaseERKT_EUlibE_EEviT1_.private_seg_size, 0
	.set _ZN2at6native32elementwise_kernel_manual_unrollILi128ELi4EZNS0_22gpu_kernel_impl_nocastINS0_11FillFunctorIN3c107complexIfEEEEEEvRNS_18TensorIteratorBaseERKT_EUlibE_EEviT1_.uses_vcc, 1
	.set _ZN2at6native32elementwise_kernel_manual_unrollILi128ELi4EZNS0_22gpu_kernel_impl_nocastINS0_11FillFunctorIN3c107complexIfEEEEEEvRNS_18TensorIteratorBaseERKT_EUlibE_EEviT1_.uses_flat_scratch, 0
	.set _ZN2at6native32elementwise_kernel_manual_unrollILi128ELi4EZNS0_22gpu_kernel_impl_nocastINS0_11FillFunctorIN3c107complexIfEEEEEEvRNS_18TensorIteratorBaseERKT_EUlibE_EEviT1_.has_dyn_sized_stack, 0
	.set _ZN2at6native32elementwise_kernel_manual_unrollILi128ELi4EZNS0_22gpu_kernel_impl_nocastINS0_11FillFunctorIN3c107complexIfEEEEEEvRNS_18TensorIteratorBaseERKT_EUlibE_EEviT1_.has_recursion, 0
	.set _ZN2at6native32elementwise_kernel_manual_unrollILi128ELi4EZNS0_22gpu_kernel_impl_nocastINS0_11FillFunctorIN3c107complexIfEEEEEEvRNS_18TensorIteratorBaseERKT_EUlibE_EEviT1_.has_indirect_call, 0
	.section	.AMDGPU.csdata,"",@progbits
; Kernel info:
; codeLenInByte = 5048
; TotalNumSgprs: 58
; NumVgprs: 12
; ScratchSize: 0
; MemoryBound: 0
; FloatMode: 240
; IeeeMode: 1
; LDSByteSize: 0 bytes/workgroup (compile time only)
; SGPRBlocks: 7
; VGPRBlocks: 2
; NumSGPRsForWavesPerEU: 58
; NumVGPRsForWavesPerEU: 12
; Occupancy: 10
; WaveLimiterHint : 1
; COMPUTE_PGM_RSRC2:SCRATCH_EN: 0
; COMPUTE_PGM_RSRC2:USER_SGPR: 6
; COMPUTE_PGM_RSRC2:TRAP_HANDLER: 0
; COMPUTE_PGM_RSRC2:TGID_X_EN: 1
; COMPUTE_PGM_RSRC2:TGID_Y_EN: 0
; COMPUTE_PGM_RSRC2:TGID_Z_EN: 0
; COMPUTE_PGM_RSRC2:TIDIG_COMP_CNT: 0
	.section	.text._ZN2at6native32elementwise_kernel_manual_unrollILi128ELi4EZNS0_15gpu_kernel_implINS0_11FillFunctorIN3c107complexIfEEEEEEvRNS_18TensorIteratorBaseERKT_EUlibE_EEviT1_,"axG",@progbits,_ZN2at6native32elementwise_kernel_manual_unrollILi128ELi4EZNS0_15gpu_kernel_implINS0_11FillFunctorIN3c107complexIfEEEEEEvRNS_18TensorIteratorBaseERKT_EUlibE_EEviT1_,comdat
	.protected	_ZN2at6native32elementwise_kernel_manual_unrollILi128ELi4EZNS0_15gpu_kernel_implINS0_11FillFunctorIN3c107complexIfEEEEEEvRNS_18TensorIteratorBaseERKT_EUlibE_EEviT1_ ; -- Begin function _ZN2at6native32elementwise_kernel_manual_unrollILi128ELi4EZNS0_15gpu_kernel_implINS0_11FillFunctorIN3c107complexIfEEEEEEvRNS_18TensorIteratorBaseERKT_EUlibE_EEviT1_
	.globl	_ZN2at6native32elementwise_kernel_manual_unrollILi128ELi4EZNS0_15gpu_kernel_implINS0_11FillFunctorIN3c107complexIfEEEEEEvRNS_18TensorIteratorBaseERKT_EUlibE_EEviT1_
	.p2align	8
	.type	_ZN2at6native32elementwise_kernel_manual_unrollILi128ELi4EZNS0_15gpu_kernel_implINS0_11FillFunctorIN3c107complexIfEEEEEEvRNS_18TensorIteratorBaseERKT_EUlibE_EEviT1_,@function
_ZN2at6native32elementwise_kernel_manual_unrollILi128ELi4EZNS0_15gpu_kernel_implINS0_11FillFunctorIN3c107complexIfEEEEEEvRNS_18TensorIteratorBaseERKT_EUlibE_EEviT1_: ; @_ZN2at6native32elementwise_kernel_manual_unrollILi128ELi4EZNS0_15gpu_kernel_implINS0_11FillFunctorIN3c107complexIfEEEEEEvRNS_18TensorIteratorBaseERKT_EUlibE_EEviT1_
; %bb.0:
	v_lshl_or_b32 v16, s6, 9, v0
	s_load_dword s48, s[4:5], 0x0
	s_load_dwordx2 s[8:9], s[4:5], 0x8
	s_load_dword s33, s[4:5], 0x10
	s_load_dwordx2 s[2:3], s[4:5], 0x18
	s_load_dword s52, s[4:5], 0x20
	v_or_b32_e32 v0, 0x180, v16
	s_waitcnt lgkmcnt(0)
	v_cmp_le_i32_e32 vcc, s48, v0
	s_mov_b64 s[6:7], 0
	s_mov_b64 s[0:1], 0
	s_and_saveexec_b64 s[4:5], vcc
	s_xor_b64 s[4:5], exec, s[4:5]
	s_cbranch_execz .LBB70_404
; %bb.1:
	s_lshr_b32 s14, s2, 23
	s_bfe_u32 s12, s2, 0x80017
	s_cmpk_eq_i32 s12, 0xff
	s_cselect_b64 s[0:1], -1, 0
	s_bitcmp1_b32 s2, 22
	s_cselect_b64 s[10:11], -1, 0
	s_and_b32 s13, s2, 0x3fffff
	s_or_b32 s12, s12, s13
	s_cmp_lg_u32 s12, 0
	v_trunc_f32_e32 v4, s2
	s_cselect_b64 s[12:13], -1, 0
	v_mul_f32_e32 v0, 0x2f800000, v4
	s_and_b64 s[10:11], s[10:11], s[12:13]
	s_and_b32 s30, s2, 0x7fffffff
	v_floor_f32_e32 v0, v0
	v_mov_b32_e32 v1, v4
	s_cmp_lt_u32 s30, 0x43800000
	v_cvt_u32_f32_e32 v7, v0
	v_fmac_f32_e32 v1, 0xcf800000, v0
	v_cndmask_b32_e64 v0, 0, 1, s[10:11]
	s_cselect_b64 s[26:27], -1, 0
	s_cmp_gt_u32 s30, 0x3bffffff
	v_add_u32_e32 v15, s14, v0
	s_cselect_b64 s[24:25], -1, 0
	s_bfe_u32 s10, s2, 0x10014
	v_mov_b32_e32 v0, 0x46000000
	s_add_i32 s12, s2, s10
	v_add_f32_e64 v0, |s2|, v0
	s_add_i32 s10, s12, 0x487ffff
	v_readfirstlane_b32 s64, v0
	s_lshr_b32 s63, s10, 20
	s_and_b32 s10, s64, 0xff
	s_cmp_lg_u32 s10, 0
	s_cselect_b64 s[28:29], -1, 0
	s_lshr_b32 s10, s2, 24
	s_and_b32 s53, s10, 0x80
	s_cmp_gt_u32 s30, 0x477fffff
	s_cselect_b64 s[10:11], -1, 0
	s_cmp_lt_u32 s30, 0x47800000
	s_cselect_b64 s[20:21], -1, 0
	s_cmp_gt_u32 s30, 0x37ffffff
	s_cselect_b64 s[18:19], -1, 0
	s_bfe_u32 s13, s2, 0x10015
	v_mov_b32_e32 v0, 0x42800000
	s_add_i32 s31, s2, s13
	v_add_f32_e64 v0, |s2|, v0
	s_add_i32 s13, s31, 0x88fffff
	v_readfirstlane_b32 s62, v0
	s_lshr_b32 s60, s13, 21
	s_and_b32 s13, s62, 0xff
	s_cmp_lg_u32 s13, 0
	s_cselect_b64 s[22:23], -1, 0
	s_cmp_gt_u32 s30, 0x43efffff
	s_cselect_b64 s[14:15], -1, 0
	s_cmp_lt_u32 s30, 0x3c800000
	s_cselect_b64 s[16:17], -1, 0
	s_add_i32 s12, s12, 0x407ffff
	s_lshr_b32 s13, s12, 20
	s_and_b32 s12, s12, 0xff00000
	s_cmp_lg_u32 s12, 0x7f00000
	s_cselect_b32 s58, s13, 0x7e
	s_cmp_lt_u32 s30, 0x38800000
	s_cselect_b64 s[12:13], -1, 0
	s_add_i32 s31, s31, 0x80fffff
	s_lshr_b32 s55, s31, 21
	s_cmp_gt_u32 s30, 0x7f800000
	s_movk_i32 s30, 0x7f
	s_cselect_b32 s61, s30, 0x7e
	s_movk_i32 s30, 0x7c
	s_cselect_b32 s57, 0x7f, s30
	s_bfe_u32 s30, s2, 0x10010
	s_add_i32 s30, s2, s30
	s_addk_i32 s30, 0x7fff
	s_lshr_b32 s36, s30, 16
	v_cmp_o_f32_e64 s[30:31], s2, s2
	s_mov_b32 s34, 0x2f800000
	s_and_b64 s[30:31], s[30:31], exec
	s_cselect_b32 s54, s36, 0x7fc0
	s_or_b32 s30, s2, s3
	v_mul_f32_e64 v8, |v4|, s34
	s_mov_b32 s35, 0xcf800000
	s_bitset0_b32 s30, 31
	v_floor_f32_e32 v8, v8
	s_cmp_lg_u32 s30, 0
	v_cvt_f16_f32_e32 v11, s2
	v_cvt_f16_f32_sdwa v5, s3 dst_sel:WORD_1 dst_unused:UNUSED_PAD src0_sel:DWORD
	v_fma_f32 v9, v8, s35, |v4|
	v_mov_b32_e32 v0, 0x46800000
	s_cselect_b64 s[30:31], -1, 0
	v_cvt_u32_f32_e32 v9, v9
	v_add_f32_e64 v0, |s2|, v0
	v_cndmask_b32_e64 v13, 0, 1, s[30:31]
	s_bfe_u32 s30, s3, 0x10010
	v_cvt_u32_f32_e32 v8, v8
	v_readfirstlane_b32 s59, v0
	v_mov_b32_e32 v0, 0x43000000
	s_add_i32 s30, s3, s30
	v_add_f32_e64 v0, |s2|, v0
	s_addk_i32 s30, 0x7fff
	v_or_b32_e32 v12, v5, v11
	v_ashrrev_i32_e32 v5, 31, v4
	v_cvt_u32_f32_e32 v6, v1
	v_cvt_u32_f32_e32 v14, s2
	v_readfirstlane_b32 s56, v0
	v_cvt_f64_f32_e32 v[0:1], s2
	v_cvt_f64_f32_e32 v[2:3], s3
	s_and_b32 s36, s30, 0xffff0000
	v_cmp_o_f32_e64 s[30:31], s3, s3
	v_xor_b32_e32 v4, v9, v5
	v_cvt_i32_f32_e32 v10, s2
	s_and_b64 s[30:31], s[30:31], exec
	v_xor_b32_e32 v8, v8, v5
	v_sub_co_u32_e32 v4, vcc, v4, v5
	s_cselect_b32 s30, s36, 0x7fc00000
	v_subb_co_u32_e32 v5, vcc, v8, v5, vcc
	s_or_b32 s65, s30, s54
	v_cmp_gt_i32_e32 vcc, s48, v16
	s_mov_b64 s[36:37], -1
	s_mov_b64 s[38:39], 0
	s_mov_b64 s[30:31], 0
	s_and_saveexec_b64 s[34:35], vcc
	s_cbranch_execz .LBB70_100
; %bb.2:
	v_mul_lo_u32 v8, v16, s33
	v_mov_b32_e32 v9, s9
	s_and_b32 s42, s52, 0xff
	s_cmp_lt_i32 s42, 11
	v_ashrrev_i32_e32 v17, 31, v8
	v_add_co_u32_e32 v8, vcc, s8, v8
	v_addc_co_u32_e32 v9, vcc, v9, v17, vcc
	s_cbranch_scc1 .LBB70_9
; %bb.3:
	s_and_b32 s43, 0xffff, s42
	s_cmp_gt_i32 s43, 25
	s_cbranch_scc0 .LBB70_12
; %bb.4:
	s_cmp_gt_i32 s43, 28
	s_cbranch_scc0 .LBB70_13
; %bb.5:
	;; [unrolled: 3-line block ×4, first 2 shown]
	s_mov_b64 s[40:41], 0
	s_mov_b64 s[30:31], -1
	s_cmp_eq_u32 s43, 46
	s_mov_b64 s[36:37], 0
	s_cbranch_scc0 .LBB70_16
; %bb.8:
	v_mov_b32_e32 v17, s65
	global_store_dword v[8:9], v17, off
	s_mov_b64 s[36:37], -1
	s_mov_b64 s[30:31], 0
	s_branch .LBB70_16
.LBB70_9:
	s_mov_b64 s[36:37], 0
	s_cbranch_execnz .LBB70_60
.LBB70_10:
	s_andn2_b64 vcc, exec, s[36:37]
	s_cbranch_vccnz .LBB70_98
.LBB70_11:
	v_add_u32_e32 v16, 0x80, v16
	s_mov_b64 s[36:37], -1
	s_branch .LBB70_99
.LBB70_12:
	s_mov_b64 s[36:37], 0
	s_cbranch_execnz .LBB70_38
	s_branch .LBB70_59
.LBB70_13:
	s_mov_b64 s[40:41], -1
	s_mov_b64 s[36:37], 0
	s_branch .LBB70_24
.LBB70_14:
	s_mov_b64 s[40:41], -1
	s_mov_b64 s[36:37], 0
	s_branch .LBB70_20
.LBB70_15:
	s_mov_b64 s[40:41], -1
	s_mov_b64 s[36:37], 0
.LBB70_16:
	s_and_b64 vcc, exec, s[40:41]
	s_cbranch_vccz .LBB70_19
; %bb.17:
	s_cmp_eq_u32 s43, 44
	s_mov_b64 s[30:31], -1
	s_cbranch_scc0 .LBB70_19
; %bb.18:
	v_mov_b32_e32 v17, 0xffff
	v_cndmask_b32_e64 v17, v15, v17, s[0:1]
	global_store_byte v[8:9], v17, off
	s_mov_b64 s[36:37], -1
	s_mov_b64 s[30:31], 0
.LBB70_19:
	s_mov_b64 s[40:41], 0
.LBB70_20:
	s_and_b64 vcc, exec, s[40:41]
	s_cbranch_vccz .LBB70_23
; %bb.21:
	s_cmp_eq_u32 s43, 29
	s_mov_b64 s[30:31], -1
	s_cbranch_scc0 .LBB70_23
; %bb.22:
	global_store_dwordx2 v[8:9], v[6:7], off
	s_mov_b64 s[36:37], -1
	s_mov_b64 s[30:31], 0
.LBB70_23:
	s_mov_b64 s[40:41], 0
.LBB70_24:
	s_and_b64 vcc, exec, s[40:41]
	s_cbranch_vccz .LBB70_37
; %bb.25:
	s_cmp_lt_i32 s43, 27
	s_mov_b64 s[36:37], -1
	s_cbranch_scc1 .LBB70_31
; %bb.26:
	s_cmp_gt_i32 s43, 27
	s_cbranch_scc0 .LBB70_28
; %bb.27:
	s_mov_b64 s[36:37], 0
	global_store_dword v[8:9], v14, off
.LBB70_28:
	s_andn2_b64 vcc, exec, s[36:37]
	s_cbranch_vccnz .LBB70_30
; %bb.29:
	global_store_short v[8:9], v14, off
.LBB70_30:
	s_mov_b64 s[36:37], 0
.LBB70_31:
	s_andn2_b64 vcc, exec, s[36:37]
	s_cbranch_vccnz .LBB70_36
; %bb.32:
	s_andn2_b64 vcc, exec, s[26:27]
	s_movk_i32 s36, 0x80
	s_cbranch_vccnz .LBB70_35
; %bb.33:
	s_or_b64 s[36:37], s[24:25], s[28:29]
	s_andn2_b64 vcc, exec, s[36:37]
	s_mov_b32 s36, 0
	s_cbranch_vccnz .LBB70_35
; %bb.34:
	s_and_b64 s[36:37], s[24:25], exec
	s_cselect_b32 s36, s63, s64
	s_or_b32 s36, s36, s53
.LBB70_35:
	v_mov_b32_e32 v17, s36
	global_store_byte v[8:9], v17, off
.LBB70_36:
	s_mov_b64 s[36:37], -1
.LBB70_37:
	s_branch .LBB70_59
.LBB70_38:
	s_cmp_gt_i32 s43, 22
	s_mov_b64 s[40:41], -1
	s_cbranch_scc0 .LBB70_51
; %bb.39:
	s_cmp_lt_i32 s43, 24
	s_mov_b64 s[36:37], -1
	s_cbranch_scc1 .LBB70_48
; %bb.40:
	s_cmp_gt_i32 s43, 24
	s_cbranch_scc0 .LBB70_45
; %bb.41:
	s_andn2_b64 vcc, exec, s[20:21]
	s_movk_i32 s36, 0x80
	s_cbranch_vccnz .LBB70_44
; %bb.42:
	s_or_b64 s[36:37], s[18:19], s[22:23]
	s_andn2_b64 vcc, exec, s[36:37]
	s_mov_b32 s36, 0
	s_cbranch_vccnz .LBB70_44
; %bb.43:
	s_and_b64 s[36:37], s[18:19], exec
	s_cselect_b32 s36, s60, s62
	s_or_b32 s36, s36, s53
.LBB70_44:
	v_mov_b32_e32 v17, s36
	s_mov_b64 s[36:37], 0
	global_store_byte v[8:9], v17, off
.LBB70_45:
	s_and_b64 vcc, exec, s[36:37]
	s_cbranch_vccz .LBB70_47
; %bb.46:
	s_and_b64 s[36:37], s[16:17], exec
	s_cselect_b32 s40, s59, s58
	s_and_b64 s[36:37], s[14:15], exec
	s_cselect_b32 s36, s61, s40
	s_or_b32 s36, s36, s53
	v_mov_b32_e32 v17, s36
	global_store_byte v[8:9], v17, off
.LBB70_47:
	s_mov_b64 s[36:37], 0
.LBB70_48:
	s_andn2_b64 vcc, exec, s[36:37]
	s_cbranch_vccnz .LBB70_50
; %bb.49:
	s_and_b64 s[36:37], s[12:13], exec
	s_cselect_b32 s40, s56, s55
	s_and_b64 s[36:37], s[10:11], exec
	s_cselect_b32 s36, s57, s40
	s_or_b32 s36, s36, s53
	v_mov_b32_e32 v17, s36
	global_store_byte v[8:9], v17, off
.LBB70_50:
	s_mov_b64 s[40:41], 0
	s_mov_b64 s[36:37], -1
.LBB70_51:
	s_andn2_b64 vcc, exec, s[40:41]
	s_cbranch_vccnz .LBB70_59
; %bb.52:
	s_cmp_gt_i32 s43, 14
	s_mov_b64 s[40:41], -1
	s_cbranch_scc0 .LBB70_56
; %bb.53:
	s_cmp_eq_u32 s43, 15
	s_mov_b64 s[30:31], -1
	s_cbranch_scc0 .LBB70_55
; %bb.54:
	v_mov_b32_e32 v17, s54
	global_store_short v[8:9], v17, off
	s_mov_b64 s[36:37], -1
	s_mov_b64 s[30:31], 0
.LBB70_55:
	s_mov_b64 s[40:41], 0
.LBB70_56:
	s_and_b64 vcc, exec, s[40:41]
	s_cbranch_vccz .LBB70_59
; %bb.57:
	s_cmp_eq_u32 s43, 11
	s_mov_b64 s[30:31], -1
	s_cbranch_scc0 .LBB70_59
; %bb.58:
	s_mov_b64 s[36:37], -1
	s_mov_b64 s[30:31], 0
	global_store_byte v[8:9], v13, off
.LBB70_59:
	s_branch .LBB70_10
.LBB70_60:
	s_and_b32 s40, 0xffff, s42
	s_cmp_lt_i32 s40, 5
	s_mov_b64 s[36:37], -1
	s_cbranch_scc1 .LBB70_81
; %bb.61:
	s_cmp_lt_i32 s40, 8
	s_cbranch_scc1 .LBB70_71
; %bb.62:
	s_cmp_lt_i32 s40, 9
	s_cbranch_scc1 .LBB70_68
; %bb.63:
	s_cmp_gt_i32 s40, 9
	s_cbranch_scc0 .LBB70_65
; %bb.64:
	global_store_dwordx4 v[8:9], v[0:3], off
	s_mov_b64 s[36:37], 0
.LBB70_65:
	s_andn2_b64 vcc, exec, s[36:37]
	s_cbranch_vccnz .LBB70_67
; %bb.66:
	v_mov_b32_e32 v17, s2
	v_mov_b32_e32 v18, s3
	global_store_dwordx2 v[8:9], v[17:18], off
.LBB70_67:
	s_mov_b64 s[36:37], 0
.LBB70_68:
	s_andn2_b64 vcc, exec, s[36:37]
	s_cbranch_vccnz .LBB70_70
; %bb.69:
	global_store_dword v[8:9], v12, off
.LBB70_70:
	s_mov_b64 s[36:37], 0
.LBB70_71:
	s_andn2_b64 vcc, exec, s[36:37]
	s_cbranch_vccnz .LBB70_80
; %bb.72:
	s_cmp_lt_i32 s40, 6
	s_mov_b64 s[36:37], -1
	s_cbranch_scc1 .LBB70_78
; %bb.73:
	s_cmp_gt_i32 s40, 6
	s_cbranch_scc0 .LBB70_75
; %bb.74:
	global_store_dwordx2 v[8:9], v[0:1], off
	s_mov_b64 s[36:37], 0
.LBB70_75:
	s_andn2_b64 vcc, exec, s[36:37]
	s_cbranch_vccnz .LBB70_77
; %bb.76:
	v_mov_b32_e32 v17, s2
	global_store_dword v[8:9], v17, off
.LBB70_77:
	s_mov_b64 s[36:37], 0
.LBB70_78:
	s_andn2_b64 vcc, exec, s[36:37]
	s_cbranch_vccnz .LBB70_80
; %bb.79:
	global_store_short v[8:9], v11, off
.LBB70_80:
	s_mov_b64 s[36:37], 0
.LBB70_81:
	s_andn2_b64 vcc, exec, s[36:37]
	s_cbranch_vccnz .LBB70_97
; %bb.82:
	s_cmp_lt_i32 s40, 2
	s_mov_b64 s[36:37], -1
	s_cbranch_scc1 .LBB70_92
; %bb.83:
	s_cmp_lt_i32 s40, 3
	s_cbranch_scc1 .LBB70_89
; %bb.84:
	s_cmp_gt_i32 s40, 3
	s_cbranch_scc0 .LBB70_86
; %bb.85:
	global_store_dwordx2 v[8:9], v[4:5], off
	s_mov_b64 s[36:37], 0
.LBB70_86:
	s_andn2_b64 vcc, exec, s[36:37]
	s_cbranch_vccnz .LBB70_88
; %bb.87:
	global_store_dword v[8:9], v10, off
.LBB70_88:
	s_mov_b64 s[36:37], 0
.LBB70_89:
	s_andn2_b64 vcc, exec, s[36:37]
	s_cbranch_vccnz .LBB70_91
; %bb.90:
	global_store_short v[8:9], v10, off
.LBB70_91:
	s_mov_b64 s[36:37], 0
.LBB70_92:
	s_andn2_b64 vcc, exec, s[36:37]
	s_cbranch_vccnz .LBB70_97
; %bb.93:
	s_cmp_gt_i32 s40, 0
	s_mov_b64 s[36:37], -1
	s_cbranch_scc0 .LBB70_95
; %bb.94:
	global_store_byte v[8:9], v10, off
	s_mov_b64 s[36:37], 0
.LBB70_95:
	s_andn2_b64 vcc, exec, s[36:37]
	s_cbranch_vccnz .LBB70_97
; %bb.96:
	global_store_byte v[8:9], v4, off
.LBB70_97:
	s_branch .LBB70_11
.LBB70_98:
	s_mov_b64 s[36:37], 0
                                        ; implicit-def: $vgpr16
.LBB70_99:
	s_and_b64 s[30:31], s[30:31], exec
	s_orn2_b64 s[36:37], s[36:37], exec
.LBB70_100:
	s_or_b64 exec, exec, s[34:35]
	s_mov_b64 s[40:41], 0
                                        ; implicit-def: $sgpr66
                                        ; implicit-def: $vgpr8_vgpr9
	s_and_saveexec_b64 s[34:35], s[36:37]
	s_cbranch_execz .LBB70_109
; %bb.101:
	v_cmp_gt_i32_e32 vcc, s48, v16
	s_mov_b64 s[42:43], -1
	s_mov_b64 s[36:37], s[30:31]
	s_and_saveexec_b64 s[38:39], vcc
	s_cbranch_execz .LBB70_204
; %bb.102:
	v_mul_lo_u32 v8, v16, s33
	v_mov_b32_e32 v9, s9
	s_and_b32 s44, s52, 0xff
	s_cmp_lt_i32 s44, 11
	v_ashrrev_i32_e32 v17, 31, v8
	v_add_co_u32_e32 v8, vcc, s8, v8
	v_addc_co_u32_e32 v9, vcc, v9, v17, vcc
	s_cbranch_scc1 .LBB70_112
; %bb.103:
	s_and_b32 s45, 0xffff, s44
	s_cmp_gt_i32 s45, 25
	s_cbranch_scc0 .LBB70_115
; %bb.104:
	s_cmp_gt_i32 s45, 28
	s_cbranch_scc0 .LBB70_116
; %bb.105:
	;; [unrolled: 3-line block ×4, first 2 shown]
	s_mov_b64 s[42:43], 0
	s_mov_b64 s[36:37], -1
	s_cmp_eq_u32 s45, 46
	s_cbranch_scc0 .LBB70_119
; %bb.108:
	v_mov_b32_e32 v17, s65
	global_store_dword v[8:9], v17, off
	s_mov_b64 s[40:41], -1
	s_mov_b64 s[36:37], 0
	s_branch .LBB70_119
.LBB70_109:
	s_or_b64 exec, exec, s[34:35]
	s_mov_b64 s[0:1], 0
	s_and_saveexec_b64 s[10:11], s[30:31]
	s_cbranch_execnz .LBB70_364
.LBB70_110:
	s_or_b64 exec, exec, s[10:11]
	s_and_saveexec_b64 s[10:11], s[38:39]
	s_xor_b64 s[10:11], exec, s[10:11]
	s_cbranch_execz .LBB70_365
.LBB70_111:
	global_store_byte v[8:9], v13, off
	s_or_b64 exec, exec, s[10:11]
	s_and_saveexec_b64 s[10:11], s[40:41]
	s_xor_b64 s[10:11], exec, s[10:11]
	s_cbranch_execz .LBB70_403
	s_branch .LBB70_366
.LBB70_112:
	s_mov_b64 s[36:37], s[30:31]
	s_and_b64 vcc, exec, s[42:43]
	s_cbranch_vccnz .LBB70_164
.LBB70_113:
	s_andn2_b64 vcc, exec, s[40:41]
	s_cbranch_vccnz .LBB70_202
.LBB70_114:
	v_add_u32_e32 v16, 0x80, v16
	s_mov_b64 s[40:41], -1
	s_branch .LBB70_203
.LBB70_115:
	s_mov_b64 s[36:37], s[30:31]
	s_branch .LBB70_141
.LBB70_116:
	s_mov_b64 s[36:37], s[30:31]
	s_branch .LBB70_127
.LBB70_117:
	s_mov_b64 s[36:37], s[30:31]
	s_branch .LBB70_123
.LBB70_118:
	s_mov_b64 s[36:37], s[30:31]
.LBB70_119:
	s_and_b64 vcc, exec, s[42:43]
	s_cbranch_vccz .LBB70_122
; %bb.120:
	s_cmp_eq_u32 s45, 44
	s_mov_b64 s[36:37], -1
	s_cbranch_scc0 .LBB70_122
; %bb.121:
	v_mov_b32_e32 v17, 0xffff
	v_cndmask_b32_e64 v17, v15, v17, s[0:1]
	s_mov_b64 s[40:41], -1
	s_mov_b64 s[36:37], 0
	global_store_byte v[8:9], v17, off
.LBB70_122:
	s_mov_b64 s[42:43], 0
.LBB70_123:
	s_and_b64 vcc, exec, s[42:43]
	s_cbranch_vccz .LBB70_126
; %bb.124:
	s_cmp_eq_u32 s45, 29
	s_mov_b64 s[36:37], -1
	s_cbranch_scc0 .LBB70_126
; %bb.125:
	global_store_dwordx2 v[8:9], v[6:7], off
	s_mov_b64 s[40:41], -1
	s_mov_b64 s[36:37], 0
.LBB70_126:
	s_mov_b64 s[42:43], 0
.LBB70_127:
	s_and_b64 vcc, exec, s[42:43]
	s_cbranch_vccz .LBB70_140
; %bb.128:
	s_cmp_lt_i32 s45, 27
	s_mov_b64 s[40:41], -1
	s_cbranch_scc1 .LBB70_134
; %bb.129:
	s_cmp_gt_i32 s45, 27
	s_cbranch_scc0 .LBB70_131
; %bb.130:
	s_mov_b64 s[40:41], 0
	global_store_dword v[8:9], v14, off
.LBB70_131:
	s_andn2_b64 vcc, exec, s[40:41]
	s_cbranch_vccnz .LBB70_133
; %bb.132:
	global_store_short v[8:9], v14, off
.LBB70_133:
	s_mov_b64 s[40:41], 0
.LBB70_134:
	s_andn2_b64 vcc, exec, s[40:41]
	s_cbranch_vccnz .LBB70_139
; %bb.135:
	s_andn2_b64 vcc, exec, s[26:27]
	s_movk_i32 s40, 0x80
	s_cbranch_vccnz .LBB70_138
; %bb.136:
	s_or_b64 s[40:41], s[24:25], s[28:29]
	s_andn2_b64 vcc, exec, s[40:41]
	s_mov_b32 s40, 0
	s_cbranch_vccnz .LBB70_138
; %bb.137:
	s_and_b64 s[40:41], s[24:25], exec
	s_cselect_b32 s40, s63, s64
	s_or_b32 s40, s40, s53
.LBB70_138:
	v_mov_b32_e32 v17, s40
	global_store_byte v[8:9], v17, off
.LBB70_139:
	s_mov_b64 s[40:41], -1
.LBB70_140:
	s_mov_b64 s[42:43], 0
.LBB70_141:
	s_and_b64 vcc, exec, s[42:43]
	s_cbranch_vccz .LBB70_163
; %bb.142:
	s_cmp_gt_i32 s45, 22
	s_mov_b64 s[42:43], -1
	s_cbranch_scc0 .LBB70_155
; %bb.143:
	s_cmp_lt_i32 s45, 24
	s_mov_b64 s[40:41], -1
	s_cbranch_scc1 .LBB70_152
; %bb.144:
	s_cmp_gt_i32 s45, 24
	s_cbranch_scc0 .LBB70_149
; %bb.145:
	s_andn2_b64 vcc, exec, s[20:21]
	s_movk_i32 s40, 0x80
	s_cbranch_vccnz .LBB70_148
; %bb.146:
	s_or_b64 s[40:41], s[18:19], s[22:23]
	s_andn2_b64 vcc, exec, s[40:41]
	s_mov_b32 s40, 0
	s_cbranch_vccnz .LBB70_148
; %bb.147:
	s_and_b64 s[40:41], s[18:19], exec
	s_cselect_b32 s40, s60, s62
	s_or_b32 s40, s40, s53
.LBB70_148:
	v_mov_b32_e32 v17, s40
	s_mov_b64 s[40:41], 0
	global_store_byte v[8:9], v17, off
.LBB70_149:
	s_and_b64 vcc, exec, s[40:41]
	s_cbranch_vccz .LBB70_151
; %bb.150:
	s_and_b64 s[40:41], s[16:17], exec
	s_cselect_b32 s42, s59, s58
	s_and_b64 s[40:41], s[14:15], exec
	s_cselect_b32 s40, s61, s42
	s_or_b32 s40, s40, s53
	v_mov_b32_e32 v17, s40
	global_store_byte v[8:9], v17, off
.LBB70_151:
	s_mov_b64 s[40:41], 0
.LBB70_152:
	s_andn2_b64 vcc, exec, s[40:41]
	s_cbranch_vccnz .LBB70_154
; %bb.153:
	s_and_b64 s[40:41], s[12:13], exec
	s_cselect_b32 s42, s56, s55
	s_and_b64 s[40:41], s[10:11], exec
	s_cselect_b32 s40, s57, s42
	s_or_b32 s40, s40, s53
	v_mov_b32_e32 v17, s40
	global_store_byte v[8:9], v17, off
.LBB70_154:
	s_mov_b64 s[42:43], 0
	s_mov_b64 s[40:41], -1
.LBB70_155:
	s_andn2_b64 vcc, exec, s[42:43]
	s_cbranch_vccnz .LBB70_163
; %bb.156:
	s_cmp_gt_i32 s45, 14
	s_mov_b64 s[42:43], -1
	s_cbranch_scc0 .LBB70_160
; %bb.157:
	s_cmp_eq_u32 s45, 15
	s_mov_b64 s[36:37], -1
	s_cbranch_scc0 .LBB70_159
; %bb.158:
	v_mov_b32_e32 v17, s54
	global_store_short v[8:9], v17, off
	s_mov_b64 s[40:41], -1
	s_mov_b64 s[36:37], 0
.LBB70_159:
	s_mov_b64 s[42:43], 0
.LBB70_160:
	s_and_b64 vcc, exec, s[42:43]
	s_cbranch_vccz .LBB70_163
; %bb.161:
	s_cmp_eq_u32 s45, 11
	s_mov_b64 s[36:37], -1
	s_cbranch_scc0 .LBB70_163
; %bb.162:
	s_mov_b64 s[40:41], -1
	s_mov_b64 s[36:37], 0
	global_store_byte v[8:9], v13, off
.LBB70_163:
	s_branch .LBB70_113
.LBB70_164:
	s_and_b32 s42, 0xffff, s44
	s_cmp_lt_i32 s42, 5
	s_mov_b64 s[40:41], -1
	s_cbranch_scc1 .LBB70_185
; %bb.165:
	s_cmp_lt_i32 s42, 8
	s_cbranch_scc1 .LBB70_175
; %bb.166:
	s_cmp_lt_i32 s42, 9
	s_cbranch_scc1 .LBB70_172
; %bb.167:
	s_cmp_gt_i32 s42, 9
	s_cbranch_scc0 .LBB70_169
; %bb.168:
	s_mov_b64 s[40:41], 0
	global_store_dwordx4 v[8:9], v[0:3], off
.LBB70_169:
	s_andn2_b64 vcc, exec, s[40:41]
	s_cbranch_vccnz .LBB70_171
; %bb.170:
	v_mov_b32_e32 v17, s2
	v_mov_b32_e32 v18, s3
	global_store_dwordx2 v[8:9], v[17:18], off
.LBB70_171:
	s_mov_b64 s[40:41], 0
.LBB70_172:
	s_andn2_b64 vcc, exec, s[40:41]
	s_cbranch_vccnz .LBB70_174
; %bb.173:
	global_store_dword v[8:9], v12, off
.LBB70_174:
	s_mov_b64 s[40:41], 0
.LBB70_175:
	s_andn2_b64 vcc, exec, s[40:41]
	s_cbranch_vccnz .LBB70_184
; %bb.176:
	s_cmp_lt_i32 s42, 6
	s_mov_b64 s[40:41], -1
	s_cbranch_scc1 .LBB70_182
; %bb.177:
	s_cmp_gt_i32 s42, 6
	s_cbranch_scc0 .LBB70_179
; %bb.178:
	s_mov_b64 s[40:41], 0
	global_store_dwordx2 v[8:9], v[0:1], off
.LBB70_179:
	s_andn2_b64 vcc, exec, s[40:41]
	s_cbranch_vccnz .LBB70_181
; %bb.180:
	v_mov_b32_e32 v17, s2
	global_store_dword v[8:9], v17, off
.LBB70_181:
	s_mov_b64 s[40:41], 0
.LBB70_182:
	s_andn2_b64 vcc, exec, s[40:41]
	s_cbranch_vccnz .LBB70_184
; %bb.183:
	global_store_short v[8:9], v11, off
.LBB70_184:
	s_mov_b64 s[40:41], 0
.LBB70_185:
	s_andn2_b64 vcc, exec, s[40:41]
	s_cbranch_vccnz .LBB70_201
; %bb.186:
	s_cmp_lt_i32 s42, 2
	s_mov_b64 s[40:41], -1
	s_cbranch_scc1 .LBB70_196
; %bb.187:
	s_cmp_lt_i32 s42, 3
	s_cbranch_scc1 .LBB70_193
; %bb.188:
	s_cmp_gt_i32 s42, 3
	s_cbranch_scc0 .LBB70_190
; %bb.189:
	s_mov_b64 s[40:41], 0
	global_store_dwordx2 v[8:9], v[4:5], off
.LBB70_190:
	s_andn2_b64 vcc, exec, s[40:41]
	s_cbranch_vccnz .LBB70_192
; %bb.191:
	global_store_dword v[8:9], v10, off
.LBB70_192:
	s_mov_b64 s[40:41], 0
.LBB70_193:
	s_andn2_b64 vcc, exec, s[40:41]
	s_cbranch_vccnz .LBB70_195
; %bb.194:
	global_store_short v[8:9], v10, off
.LBB70_195:
	s_mov_b64 s[40:41], 0
.LBB70_196:
	s_andn2_b64 vcc, exec, s[40:41]
	s_cbranch_vccnz .LBB70_201
; %bb.197:
	s_cmp_gt_i32 s42, 0
	s_mov_b64 s[40:41], -1
	s_cbranch_scc0 .LBB70_199
; %bb.198:
	s_mov_b64 s[40:41], 0
	global_store_byte v[8:9], v10, off
.LBB70_199:
	s_andn2_b64 vcc, exec, s[40:41]
	s_cbranch_vccnz .LBB70_201
; %bb.200:
	global_store_byte v[8:9], v4, off
.LBB70_201:
	s_branch .LBB70_114
.LBB70_202:
	s_mov_b64 s[40:41], 0
                                        ; implicit-def: $vgpr16
.LBB70_203:
	s_andn2_b64 s[42:43], s[30:31], exec
	s_and_b64 s[36:37], s[36:37], exec
	s_or_b64 s[36:37], s[42:43], s[36:37]
	s_orn2_b64 s[42:43], s[40:41], exec
.LBB70_204:
	s_or_b64 exec, exec, s[38:39]
	s_mov_b64 s[44:45], 0
	s_mov_b64 s[40:41], 0
                                        ; implicit-def: $sgpr66
                                        ; implicit-def: $vgpr8_vgpr9
	s_and_saveexec_b64 s[38:39], s[42:43]
	s_cbranch_execz .LBB70_363
; %bb.205:
	v_cmp_gt_i32_e32 vcc, s48, v16
	s_mov_b64 s[46:47], -1
	s_mov_b64 s[42:43], s[36:37]
	s_and_saveexec_b64 s[40:41], vcc
	s_cbranch_execz .LBB70_306
; %bb.206:
	v_mul_lo_u32 v8, v16, s33
	v_mov_b32_e32 v9, s9
	s_and_b32 s49, s52, 0xff
	s_cmp_lt_i32 s49, 11
	v_ashrrev_i32_e32 v17, 31, v8
	v_add_co_u32_e32 v8, vcc, s8, v8
	v_addc_co_u32_e32 v9, vcc, v9, v17, vcc
	s_cbranch_scc1 .LBB70_213
; %bb.207:
	s_and_b32 s50, 0xffff, s49
	s_cmp_gt_i32 s50, 25
	s_cbranch_scc0 .LBB70_214
; %bb.208:
	s_cmp_gt_i32 s50, 28
	s_cbranch_scc0 .LBB70_215
; %bb.209:
	s_cmp_gt_i32 s50, 43
	s_cbranch_scc0 .LBB70_216
; %bb.210:
	s_cmp_gt_i32 s50, 45
	s_cbranch_scc0 .LBB70_217
; %bb.211:
	s_mov_b64 s[46:47], 0
	s_mov_b64 s[42:43], -1
	s_cmp_eq_u32 s50, 46
	s_cbranch_scc0 .LBB70_218
; %bb.212:
	v_mov_b32_e32 v17, s65
	global_store_dword v[8:9], v17, off
	s_mov_b64 s[44:45], -1
	s_mov_b64 s[42:43], 0
	s_branch .LBB70_218
.LBB70_213:
	s_mov_b64 s[42:43], s[36:37]
	s_branch .LBB70_263
.LBB70_214:
	s_mov_b64 s[42:43], s[36:37]
	s_branch .LBB70_240
.LBB70_215:
	s_mov_b64 s[42:43], s[36:37]
	s_branch .LBB70_226
.LBB70_216:
	s_mov_b64 s[42:43], s[36:37]
	s_branch .LBB70_222
.LBB70_217:
	s_mov_b64 s[42:43], s[36:37]
.LBB70_218:
	s_and_b64 vcc, exec, s[46:47]
	s_cbranch_vccz .LBB70_221
; %bb.219:
	s_cmp_eq_u32 s50, 44
	s_mov_b64 s[42:43], -1
	s_cbranch_scc0 .LBB70_221
; %bb.220:
	v_mov_b32_e32 v17, 0xffff
	v_cndmask_b32_e64 v17, v15, v17, s[0:1]
	s_mov_b64 s[44:45], -1
	s_mov_b64 s[42:43], 0
	global_store_byte v[8:9], v17, off
.LBB70_221:
	s_mov_b64 s[46:47], 0
.LBB70_222:
	s_and_b64 vcc, exec, s[46:47]
	s_cbranch_vccz .LBB70_225
; %bb.223:
	s_cmp_eq_u32 s50, 29
	s_mov_b64 s[42:43], -1
	s_cbranch_scc0 .LBB70_225
; %bb.224:
	global_store_dwordx2 v[8:9], v[6:7], off
	s_mov_b64 s[44:45], -1
	s_mov_b64 s[42:43], 0
.LBB70_225:
	s_mov_b64 s[46:47], 0
.LBB70_226:
	s_and_b64 vcc, exec, s[46:47]
	s_cbranch_vccz .LBB70_239
; %bb.227:
	s_cmp_lt_i32 s50, 27
	s_mov_b64 s[44:45], -1
	s_cbranch_scc1 .LBB70_233
; %bb.228:
	s_cmp_gt_i32 s50, 27
	s_cbranch_scc0 .LBB70_230
; %bb.229:
	s_mov_b64 s[44:45], 0
	global_store_dword v[8:9], v14, off
.LBB70_230:
	s_andn2_b64 vcc, exec, s[44:45]
	s_cbranch_vccnz .LBB70_232
; %bb.231:
	global_store_short v[8:9], v14, off
.LBB70_232:
	s_mov_b64 s[44:45], 0
.LBB70_233:
	s_andn2_b64 vcc, exec, s[44:45]
	s_cbranch_vccnz .LBB70_238
; %bb.234:
	s_andn2_b64 vcc, exec, s[26:27]
	s_movk_i32 s44, 0x80
	s_cbranch_vccnz .LBB70_237
; %bb.235:
	s_or_b64 s[44:45], s[24:25], s[28:29]
	s_andn2_b64 vcc, exec, s[44:45]
	s_mov_b32 s44, 0
	s_cbranch_vccnz .LBB70_237
; %bb.236:
	s_and_b64 s[44:45], s[24:25], exec
	s_cselect_b32 s44, s63, s64
	s_or_b32 s44, s44, s53
.LBB70_237:
	v_mov_b32_e32 v17, s44
	global_store_byte v[8:9], v17, off
.LBB70_238:
	s_mov_b64 s[44:45], -1
.LBB70_239:
	s_mov_b64 s[46:47], 0
.LBB70_240:
	s_and_b64 vcc, exec, s[46:47]
	s_cbranch_vccz .LBB70_262
; %bb.241:
	s_cmp_gt_i32 s50, 22
	s_mov_b64 s[46:47], -1
	s_cbranch_scc0 .LBB70_254
; %bb.242:
	s_cmp_lt_i32 s50, 24
	s_mov_b64 s[44:45], -1
	s_cbranch_scc1 .LBB70_251
; %bb.243:
	s_cmp_gt_i32 s50, 24
	s_cbranch_scc0 .LBB70_248
; %bb.244:
	s_andn2_b64 vcc, exec, s[20:21]
	s_movk_i32 s44, 0x80
	s_cbranch_vccnz .LBB70_247
; %bb.245:
	s_or_b64 s[44:45], s[18:19], s[22:23]
	s_andn2_b64 vcc, exec, s[44:45]
	s_mov_b32 s44, 0
	s_cbranch_vccnz .LBB70_247
; %bb.246:
	s_and_b64 s[44:45], s[18:19], exec
	s_cselect_b32 s44, s60, s62
	s_or_b32 s44, s44, s53
.LBB70_247:
	v_mov_b32_e32 v17, s44
	s_mov_b64 s[44:45], 0
	global_store_byte v[8:9], v17, off
.LBB70_248:
	s_and_b64 vcc, exec, s[44:45]
	s_cbranch_vccz .LBB70_250
; %bb.249:
	s_and_b64 s[44:45], s[16:17], exec
	s_cselect_b32 s46, s59, s58
	s_and_b64 s[44:45], s[14:15], exec
	s_cselect_b32 s44, s61, s46
	s_or_b32 s44, s44, s53
	v_mov_b32_e32 v17, s44
	global_store_byte v[8:9], v17, off
.LBB70_250:
	s_mov_b64 s[44:45], 0
.LBB70_251:
	s_andn2_b64 vcc, exec, s[44:45]
	s_cbranch_vccnz .LBB70_253
; %bb.252:
	s_and_b64 s[44:45], s[12:13], exec
	s_cselect_b32 s46, s56, s55
	s_and_b64 s[44:45], s[10:11], exec
	s_cselect_b32 s44, s57, s46
	s_or_b32 s44, s44, s53
	v_mov_b32_e32 v17, s44
	global_store_byte v[8:9], v17, off
.LBB70_253:
	s_mov_b64 s[46:47], 0
	s_mov_b64 s[44:45], -1
.LBB70_254:
	s_andn2_b64 vcc, exec, s[46:47]
	s_cbranch_vccnz .LBB70_262
; %bb.255:
	s_cmp_gt_i32 s50, 14
	s_mov_b64 s[46:47], -1
	s_cbranch_scc0 .LBB70_259
; %bb.256:
	s_cmp_eq_u32 s50, 15
	s_mov_b64 s[42:43], -1
	s_cbranch_scc0 .LBB70_258
; %bb.257:
	v_mov_b32_e32 v17, s54
	global_store_short v[8:9], v17, off
	s_mov_b64 s[44:45], -1
	s_mov_b64 s[42:43], 0
.LBB70_258:
	s_mov_b64 s[46:47], 0
.LBB70_259:
	s_and_b64 vcc, exec, s[46:47]
	s_cbranch_vccz .LBB70_262
; %bb.260:
	s_cmp_eq_u32 s50, 11
	s_mov_b64 s[42:43], -1
	s_cbranch_scc0 .LBB70_262
; %bb.261:
	s_mov_b64 s[44:45], -1
	s_mov_b64 s[42:43], 0
	global_store_byte v[8:9], v13, off
.LBB70_262:
	s_mov_b64 s[46:47], 0
.LBB70_263:
	s_and_b64 vcc, exec, s[46:47]
	s_cbranch_vccz .LBB70_302
; %bb.264:
	s_and_b32 s46, 0xffff, s49
	s_cmp_lt_i32 s46, 5
	s_mov_b64 s[44:45], -1
	s_cbranch_scc1 .LBB70_285
; %bb.265:
	s_cmp_lt_i32 s46, 8
	s_cbranch_scc1 .LBB70_275
; %bb.266:
	s_cmp_lt_i32 s46, 9
	s_cbranch_scc1 .LBB70_272
; %bb.267:
	s_cmp_gt_i32 s46, 9
	s_cbranch_scc0 .LBB70_269
; %bb.268:
	s_mov_b64 s[44:45], 0
	global_store_dwordx4 v[8:9], v[0:3], off
.LBB70_269:
	s_andn2_b64 vcc, exec, s[44:45]
	s_cbranch_vccnz .LBB70_271
; %bb.270:
	v_mov_b32_e32 v17, s2
	v_mov_b32_e32 v18, s3
	global_store_dwordx2 v[8:9], v[17:18], off
.LBB70_271:
	s_mov_b64 s[44:45], 0
.LBB70_272:
	s_andn2_b64 vcc, exec, s[44:45]
	s_cbranch_vccnz .LBB70_274
; %bb.273:
	global_store_dword v[8:9], v12, off
.LBB70_274:
	s_mov_b64 s[44:45], 0
.LBB70_275:
	s_andn2_b64 vcc, exec, s[44:45]
	s_cbranch_vccnz .LBB70_284
; %bb.276:
	s_cmp_lt_i32 s46, 6
	s_mov_b64 s[44:45], -1
	s_cbranch_scc1 .LBB70_282
; %bb.277:
	s_cmp_gt_i32 s46, 6
	s_cbranch_scc0 .LBB70_279
; %bb.278:
	s_mov_b64 s[44:45], 0
	global_store_dwordx2 v[8:9], v[0:1], off
.LBB70_279:
	s_andn2_b64 vcc, exec, s[44:45]
	s_cbranch_vccnz .LBB70_281
; %bb.280:
	v_mov_b32_e32 v17, s2
	global_store_dword v[8:9], v17, off
.LBB70_281:
	s_mov_b64 s[44:45], 0
.LBB70_282:
	s_andn2_b64 vcc, exec, s[44:45]
	s_cbranch_vccnz .LBB70_284
; %bb.283:
	global_store_short v[8:9], v11, off
.LBB70_284:
	s_mov_b64 s[44:45], 0
.LBB70_285:
	s_andn2_b64 vcc, exec, s[44:45]
	s_cbranch_vccnz .LBB70_301
; %bb.286:
	s_cmp_lt_i32 s46, 2
	s_mov_b64 s[44:45], -1
	s_cbranch_scc1 .LBB70_296
; %bb.287:
	s_cmp_lt_i32 s46, 3
	s_cbranch_scc1 .LBB70_293
; %bb.288:
	s_cmp_gt_i32 s46, 3
	s_cbranch_scc0 .LBB70_290
; %bb.289:
	s_mov_b64 s[44:45], 0
	global_store_dwordx2 v[8:9], v[4:5], off
.LBB70_290:
	s_andn2_b64 vcc, exec, s[44:45]
	s_cbranch_vccnz .LBB70_292
; %bb.291:
	global_store_dword v[8:9], v10, off
.LBB70_292:
	s_mov_b64 s[44:45], 0
.LBB70_293:
	s_andn2_b64 vcc, exec, s[44:45]
	s_cbranch_vccnz .LBB70_295
; %bb.294:
	global_store_short v[8:9], v10, off
.LBB70_295:
	s_mov_b64 s[44:45], 0
.LBB70_296:
	s_andn2_b64 vcc, exec, s[44:45]
	s_cbranch_vccnz .LBB70_301
; %bb.297:
	s_cmp_gt_i32 s46, 0
	s_mov_b64 s[44:45], -1
	s_cbranch_scc0 .LBB70_299
; %bb.298:
	s_mov_b64 s[44:45], 0
	global_store_byte v[8:9], v10, off
.LBB70_299:
	s_andn2_b64 vcc, exec, s[44:45]
	s_cbranch_vccnz .LBB70_301
; %bb.300:
	global_store_byte v[8:9], v4, off
.LBB70_301:
	s_mov_b64 s[44:45], -1
.LBB70_302:
	s_andn2_b64 vcc, exec, s[44:45]
	s_cbranch_vccnz .LBB70_304
; %bb.303:
	v_add_u32_e32 v16, 0x80, v16
	s_mov_b64 s[44:45], -1
	s_branch .LBB70_305
.LBB70_304:
	s_mov_b64 s[44:45], 0
                                        ; implicit-def: $vgpr16
.LBB70_305:
	s_andn2_b64 s[46:47], s[36:37], exec
	s_and_b64 s[42:43], s[42:43], exec
	s_or_b64 s[42:43], s[46:47], s[42:43]
	s_orn2_b64 s[46:47], s[44:45], exec
.LBB70_306:
	s_or_b64 exec, exec, s[40:41]
	s_mov_b64 s[44:45], 0
	s_mov_b64 s[50:51], 0
                                        ; implicit-def: $sgpr66
                                        ; implicit-def: $vgpr8_vgpr9
	s_and_saveexec_b64 s[40:41], s[46:47]
	s_cbranch_execz .LBB70_362
; %bb.307:
	v_cmp_gt_i32_e32 vcc, s48, v16
	s_mov_b64 s[48:49], 0
	s_mov_b64 s[46:47], s[42:43]
                                        ; implicit-def: $sgpr66
                                        ; implicit-def: $vgpr8_vgpr9
	s_and_saveexec_b64 s[44:45], vcc
	s_cbranch_execz .LBB70_361
; %bb.308:
	v_mul_lo_u32 v8, v16, s33
	v_mov_b32_e32 v9, s9
	s_and_b32 s66, s52, 0xff
	s_cmp_lt_i32 s66, 11
	v_ashrrev_i32_e32 v16, 31, v8
	v_add_co_u32_e32 v8, vcc, s8, v8
	v_addc_co_u32_e32 v9, vcc, v9, v16, vcc
	s_cbranch_scc1 .LBB70_358
; %bb.309:
	s_and_b32 s50, 0xffff, s66
	s_mov_b64 s[48:49], -1
	s_cmp_gt_i32 s50, 25
	s_mov_b64 s[46:47], s[42:43]
	s_cbranch_scc0 .LBB70_337
; %bb.310:
	s_cmp_gt_i32 s50, 28
	s_mov_b64 s[46:47], s[42:43]
	s_cbranch_scc0 .LBB70_324
; %bb.311:
	;; [unrolled: 4-line block ×4, first 2 shown]
	s_cmp_eq_u32 s50, 46
	s_mov_b64 s[46:47], -1
	s_cbranch_scc0 .LBB70_315
; %bb.314:
	v_mov_b32_e32 v16, s65
	global_store_dword v[8:9], v16, off
	s_mov_b64 s[46:47], 0
.LBB70_315:
	s_mov_b64 s[48:49], 0
.LBB70_316:
	s_and_b64 vcc, exec, s[48:49]
	s_cbranch_vccz .LBB70_319
; %bb.317:
	s_cmp_eq_u32 s50, 44
	s_mov_b64 s[46:47], -1
	s_cbranch_scc0 .LBB70_319
; %bb.318:
	v_mov_b32_e32 v16, 0xffff
	v_cndmask_b32_e64 v15, v15, v16, s[0:1]
	global_store_byte v[8:9], v15, off
	s_mov_b64 s[46:47], 0
.LBB70_319:
	s_mov_b64 s[48:49], 0
.LBB70_320:
	s_and_b64 vcc, exec, s[48:49]
	s_cbranch_vccz .LBB70_323
; %bb.321:
	s_cmp_eq_u32 s50, 29
	s_mov_b64 s[46:47], -1
	s_cbranch_scc0 .LBB70_323
; %bb.322:
	global_store_dwordx2 v[8:9], v[6:7], off
	s_mov_b64 s[46:47], 0
.LBB70_323:
	s_mov_b64 s[48:49], 0
.LBB70_324:
	s_and_b64 vcc, exec, s[48:49]
	s_cbranch_vccz .LBB70_336
; %bb.325:
	s_cmp_lt_i32 s50, 27
	s_mov_b64 s[0:1], -1
	s_cbranch_scc1 .LBB70_331
; %bb.326:
	s_cmp_gt_i32 s50, 27
	s_cbranch_scc0 .LBB70_328
; %bb.327:
	s_mov_b64 s[0:1], 0
	global_store_dword v[8:9], v14, off
.LBB70_328:
	s_andn2_b64 vcc, exec, s[0:1]
	s_cbranch_vccnz .LBB70_330
; %bb.329:
	global_store_short v[8:9], v14, off
.LBB70_330:
	s_mov_b64 s[0:1], 0
.LBB70_331:
	s_andn2_b64 vcc, exec, s[0:1]
	s_cbranch_vccnz .LBB70_336
; %bb.332:
	s_andn2_b64 vcc, exec, s[26:27]
	s_movk_i32 s0, 0x80
	s_cbranch_vccnz .LBB70_335
; %bb.333:
	s_or_b64 s[0:1], s[24:25], s[28:29]
	s_andn2_b64 vcc, exec, s[0:1]
	s_mov_b32 s0, 0
	s_cbranch_vccnz .LBB70_335
; %bb.334:
	s_and_b64 s[0:1], s[24:25], exec
	s_cselect_b32 s0, s63, s64
	s_or_b32 s0, s0, s53
.LBB70_335:
	v_mov_b32_e32 v6, s0
	global_store_byte v[8:9], v6, off
.LBB70_336:
	s_mov_b64 s[48:49], 0
.LBB70_337:
	s_mov_b64 s[0:1], 0
	s_and_b64 vcc, exec, s[48:49]
	s_cbranch_vccz .LBB70_359
; %bb.338:
	s_cmp_gt_i32 s50, 22
	s_mov_b64 s[24:25], -1
	s_cbranch_scc0 .LBB70_351
; %bb.339:
	s_cmp_lt_i32 s50, 24
	s_cbranch_scc1 .LBB70_348
; %bb.340:
	s_cmp_gt_i32 s50, 24
	s_cbranch_scc0 .LBB70_345
; %bb.341:
	s_andn2_b64 vcc, exec, s[20:21]
	s_movk_i32 s20, 0x80
	s_cbranch_vccnz .LBB70_344
; %bb.342:
	s_or_b64 s[20:21], s[18:19], s[22:23]
	s_andn2_b64 vcc, exec, s[20:21]
	s_mov_b32 s20, 0
	s_cbranch_vccnz .LBB70_344
; %bb.343:
	s_and_b64 s[18:19], s[18:19], exec
	s_cselect_b32 s18, s60, s62
	s_or_b32 s20, s18, s53
.LBB70_344:
	v_mov_b32_e32 v6, s20
	s_mov_b64 s[24:25], 0
	global_store_byte v[8:9], v6, off
.LBB70_345:
	s_and_b64 vcc, exec, s[24:25]
	s_cbranch_vccz .LBB70_347
; %bb.346:
	s_and_b64 s[16:17], s[16:17], exec
	s_cselect_b32 s16, s59, s58
	s_and_b64 s[14:15], s[14:15], exec
	s_cselect_b32 s14, s61, s16
	s_or_b32 s14, s14, s53
	v_mov_b32_e32 v6, s14
	global_store_byte v[8:9], v6, off
.LBB70_347:
	s_mov_b64 s[24:25], 0
.LBB70_348:
	s_andn2_b64 vcc, exec, s[24:25]
	s_cbranch_vccnz .LBB70_350
; %bb.349:
	s_and_b64 s[12:13], s[12:13], exec
	s_cselect_b32 s12, s56, s55
	s_and_b64 s[10:11], s[10:11], exec
	s_cselect_b32 s10, s57, s12
	s_or_b32 s10, s10, s53
	v_mov_b32_e32 v6, s10
	global_store_byte v[8:9], v6, off
.LBB70_350:
	s_mov_b64 s[24:25], 0
.LBB70_351:
	s_andn2_b64 vcc, exec, s[24:25]
	s_mov_b64 s[10:11], 0
	s_cbranch_vccnz .LBB70_360
; %bb.352:
	s_cmp_gt_i32 s50, 14
	s_mov_b64 s[12:13], -1
	s_cbranch_scc0 .LBB70_356
; %bb.353:
	s_cmp_eq_u32 s50, 15
	s_mov_b64 s[46:47], -1
	s_cbranch_scc0 .LBB70_355
; %bb.354:
	v_mov_b32_e32 v6, s54
	global_store_short v[8:9], v6, off
	s_mov_b64 s[46:47], 0
.LBB70_355:
	s_mov_b64 s[12:13], 0
.LBB70_356:
	s_and_b64 vcc, exec, s[12:13]
	s_cbranch_vccz .LBB70_360
; %bb.357:
	s_cmp_lg_u32 s50, 11
	s_cselect_b64 s[12:13], -1, 0
	s_andn2_b64 s[14:15], s[46:47], exec
	s_and_b64 s[12:13], s[12:13], exec
	s_mov_b64 s[10:11], -1
	s_or_b64 s[46:47], s[14:15], s[12:13]
	s_branch .LBB70_360
.LBB70_358:
	s_mov_b64 s[10:11], 0
	s_mov_b64 s[0:1], -1
	s_mov_b64 s[46:47], s[42:43]
	s_branch .LBB70_360
.LBB70_359:
	s_mov_b64 s[10:11], 0
.LBB70_360:
	s_and_b64 s[50:51], s[0:1], exec
	s_and_b64 s[48:49], s[10:11], exec
	s_andn2_b64 s[0:1], s[42:43], exec
	s_and_b64 s[10:11], s[46:47], exec
	s_or_b64 s[46:47], s[0:1], s[10:11]
.LBB70_361:
	s_or_b64 exec, exec, s[44:45]
	s_andn2_b64 s[0:1], s[42:43], exec
	s_and_b64 s[10:11], s[46:47], exec
	s_and_b64 s[50:51], s[50:51], exec
	;; [unrolled: 1-line block ×3, first 2 shown]
	s_or_b64 s[42:43], s[0:1], s[10:11]
.LBB70_362:
	s_or_b64 exec, exec, s[40:41]
	s_andn2_b64 s[0:1], s[36:37], exec
	s_and_b64 s[10:11], s[42:43], exec
	s_and_b64 s[40:41], s[50:51], exec
	;; [unrolled: 1-line block ×3, first 2 shown]
	s_or_b64 s[36:37], s[0:1], s[10:11]
.LBB70_363:
	s_or_b64 exec, exec, s[38:39]
	s_andn2_b64 s[0:1], s[30:31], exec
	s_and_b64 s[10:11], s[36:37], exec
	s_and_b64 s[40:41], s[40:41], exec
	;; [unrolled: 1-line block ×3, first 2 shown]
	s_or_b64 s[30:31], s[0:1], s[10:11]
	s_or_b64 exec, exec, s[34:35]
	s_mov_b64 s[0:1], 0
	s_and_saveexec_b64 s[10:11], s[30:31]
	s_cbranch_execz .LBB70_110
.LBB70_364:
	s_mov_b64 s[0:1], exec
	s_andn2_b64 s[38:39], s[38:39], exec
	s_trap 2
	s_or_b64 exec, exec, s[10:11]
	s_and_saveexec_b64 s[10:11], s[38:39]
	s_xor_b64 s[10:11], exec, s[10:11]
	s_cbranch_execnz .LBB70_111
.LBB70_365:
	s_or_b64 exec, exec, s[10:11]
	s_and_saveexec_b64 s[10:11], s[40:41]
	s_xor_b64 s[10:11], exec, s[10:11]
	s_cbranch_execz .LBB70_403
.LBB70_366:
	s_sext_i32_i16 s14, s66
	s_cmp_lt_i32 s14, 5
	s_mov_b64 s[12:13], -1
	s_cbranch_scc1 .LBB70_387
; %bb.367:
	s_cmp_lt_i32 s14, 8
	s_cbranch_scc1 .LBB70_377
; %bb.368:
	s_cmp_lt_i32 s14, 9
	s_cbranch_scc1 .LBB70_374
; %bb.369:
	s_cmp_gt_i32 s14, 9
	s_cbranch_scc0 .LBB70_371
; %bb.370:
	s_mov_b64 s[12:13], 0
	global_store_dwordx4 v[8:9], v[0:3], off
.LBB70_371:
	s_andn2_b64 vcc, exec, s[12:13]
	s_cbranch_vccnz .LBB70_373
; %bb.372:
	v_mov_b32_e32 v2, s2
	v_mov_b32_e32 v3, s3
	global_store_dwordx2 v[8:9], v[2:3], off
.LBB70_373:
	s_mov_b64 s[12:13], 0
.LBB70_374:
	s_andn2_b64 vcc, exec, s[12:13]
	s_cbranch_vccnz .LBB70_376
; %bb.375:
	global_store_dword v[8:9], v12, off
.LBB70_376:
	s_mov_b64 s[12:13], 0
.LBB70_377:
	s_andn2_b64 vcc, exec, s[12:13]
	s_cbranch_vccnz .LBB70_386
; %bb.378:
	s_sext_i32_i16 s14, s66
	s_cmp_lt_i32 s14, 6
	s_mov_b64 s[12:13], -1
	s_cbranch_scc1 .LBB70_384
; %bb.379:
	s_cmp_gt_i32 s14, 6
	s_cbranch_scc0 .LBB70_381
; %bb.380:
	s_mov_b64 s[12:13], 0
	global_store_dwordx2 v[8:9], v[0:1], off
.LBB70_381:
	s_andn2_b64 vcc, exec, s[12:13]
	s_cbranch_vccnz .LBB70_383
; %bb.382:
	v_mov_b32_e32 v0, s2
	global_store_dword v[8:9], v0, off
.LBB70_383:
	s_mov_b64 s[12:13], 0
.LBB70_384:
	s_andn2_b64 vcc, exec, s[12:13]
	s_cbranch_vccnz .LBB70_386
; %bb.385:
	global_store_short v[8:9], v11, off
.LBB70_386:
	s_mov_b64 s[12:13], 0
.LBB70_387:
	s_andn2_b64 vcc, exec, s[12:13]
	s_cbranch_vccnz .LBB70_403
; %bb.388:
	s_sext_i32_i16 s14, s66
	s_cmp_lt_i32 s14, 2
	s_mov_b64 s[12:13], -1
	s_cbranch_scc1 .LBB70_398
; %bb.389:
	s_cmp_lt_i32 s14, 3
	s_cbranch_scc1 .LBB70_395
; %bb.390:
	s_cmp_gt_i32 s14, 3
	s_cbranch_scc0 .LBB70_392
; %bb.391:
	s_mov_b64 s[12:13], 0
	global_store_dwordx2 v[8:9], v[4:5], off
.LBB70_392:
	s_andn2_b64 vcc, exec, s[12:13]
	s_cbranch_vccnz .LBB70_394
; %bb.393:
	global_store_dword v[8:9], v10, off
.LBB70_394:
	s_mov_b64 s[12:13], 0
.LBB70_395:
	s_andn2_b64 vcc, exec, s[12:13]
	s_cbranch_vccnz .LBB70_397
; %bb.396:
	global_store_short v[8:9], v10, off
.LBB70_397:
	s_mov_b64 s[12:13], 0
.LBB70_398:
	s_andn2_b64 vcc, exec, s[12:13]
	s_cbranch_vccnz .LBB70_403
; %bb.399:
	s_sext_i32_i16 s12, s66
	s_cmp_gt_i32 s12, 0
	s_mov_b64 s[12:13], -1
	s_cbranch_scc0 .LBB70_401
; %bb.400:
	s_mov_b64 s[12:13], 0
	global_store_byte v[8:9], v10, off
.LBB70_401:
	s_andn2_b64 vcc, exec, s[12:13]
	s_cbranch_vccnz .LBB70_403
; %bb.402:
	global_store_byte v[8:9], v4, off
.LBB70_403:
	s_or_b64 exec, exec, s[10:11]
	s_and_b64 s[0:1], s[0:1], exec
                                        ; implicit-def: $vgpr16
.LBB70_404:
	s_or_saveexec_b64 s[4:5], s[4:5]
	s_mov_b64 s[12:13], 0
                                        ; implicit-def: $sgpr18
                                        ; implicit-def: $vgpr0_vgpr1
	s_xor_b64 exec, exec, s[4:5]
	s_cbranch_execz .LBB70_433
; %bb.405:
	v_mul_lo_u32 v2, s33, v16
	v_mov_b32_e32 v1, s9
	s_and_b32 s18, s52, 0xff
	s_cmp_lt_i32 s18, 11
	v_ashrrev_i32_e32 v3, 31, v2
	v_add_co_u32_e32 v0, vcc, s8, v2
	v_addc_co_u32_e32 v1, vcc, v1, v3, vcc
	s_cbranch_scc1 .LBB70_436
; %bb.406:
	s_and_b32 s16, 0xffff, s18
	s_mov_b64 s[10:11], -1
	s_cmp_gt_i32 s16, 25
	s_mov_b64 s[14:15], 0
	s_cbranch_scc0 .LBB70_446
; %bb.407:
	s_cmp_gt_i32 s16, 28
	s_cbranch_scc0 .LBB70_422
; %bb.408:
	s_cmp_gt_i32 s16, 43
	;; [unrolled: 3-line block ×3, first 2 shown]
	s_cbranch_scc0 .LBB70_412
; %bb.410:
	s_mov_b64 s[6:7], -1
	s_mov_b64 s[10:11], 0
	s_cmp_eq_u32 s16, 46
	s_cbranch_scc0 .LBB70_412
; %bb.411:
	s_bfe_u32 s6, s2, 0x10010
	s_add_i32 s6, s2, s6
	s_addk_i32 s6, 0x7fff
	s_lshr_b32 s14, s6, 16
	s_bfe_u32 s6, s3, 0x10010
	s_add_i32 s6, s3, s6
	s_addk_i32 s6, 0x7fff
	s_and_b32 s15, s6, 0xffff0000
	v_cmp_o_f32_e64 s[6:7], s3, s3
	s_and_b64 s[6:7], s[6:7], exec
	v_cmp_o_f32_e64 s[6:7], s2, s2
	s_cselect_b32 s15, s15, 0x7fc00000
	s_and_b64 s[6:7], s[6:7], exec
	s_cselect_b32 s6, s14, 0x7fc0
	s_or_b32 s6, s15, s6
	v_mov_b32_e32 v3, s6
	global_store_dword v[0:1], v3, off
	s_mov_b64 s[6:7], 0
	s_mov_b64 s[14:15], -1
.LBB70_412:
	s_and_b64 vcc, exec, s[10:11]
	s_cbranch_vccz .LBB70_417
; %bb.413:
	s_cmp_eq_u32 s16, 44
	s_mov_b64 s[6:7], -1
	s_cbranch_scc0 .LBB70_417
; %bb.414:
	s_bfe_u32 s6, s2, 0x80017
	s_cmpk_eq_i32 s6, 0xff
	v_mov_b32_e32 v3, 0xff
	s_cbranch_scc1 .LBB70_416
; %bb.415:
	s_lshr_b32 s14, s2, 23
	s_bitcmp1_b32 s2, 22
	s_cselect_b64 s[10:11], -1, 0
	s_and_b32 s7, s2, 0x3fffff
	s_or_b32 s6, s6, s7
	s_cmp_lg_u32 s6, 0
	s_cselect_b64 s[6:7], -1, 0
	s_and_b64 s[6:7], s[10:11], s[6:7]
	v_cndmask_b32_e64 v3, 0, 1, s[6:7]
	v_add_u32_e32 v3, s14, v3
.LBB70_416:
	s_mov_b64 s[6:7], 0
	s_mov_b64 s[14:15], -1
	global_store_byte v[0:1], v3, off
.LBB70_417:
	s_mov_b64 s[10:11], 0
.LBB70_418:
	s_and_b64 vcc, exec, s[10:11]
	s_cbranch_vccz .LBB70_421
; %bb.419:
	s_cmp_eq_u32 s16, 29
	s_mov_b64 s[6:7], -1
	s_cbranch_scc0 .LBB70_421
; %bb.420:
	v_trunc_f32_e32 v3, s2
	v_mul_f32_e32 v4, 0x2f800000, v3
	v_floor_f32_e32 v5, v4
	v_fmac_f32_e32 v3, 0xcf800000, v5
	v_cvt_u32_f32_e32 v4, v5
	v_cvt_u32_f32_e32 v3, v3
	s_mov_b64 s[6:7], 0
	s_mov_b64 s[14:15], -1
	global_store_dwordx2 v[0:1], v[3:4], off
.LBB70_421:
	s_mov_b64 s[10:11], 0
.LBB70_422:
	s_and_b64 vcc, exec, s[10:11]
	s_cbranch_vccz .LBB70_445
; %bb.423:
	s_cmp_lt_i32 s16, 27
	s_mov_b64 s[10:11], -1
	s_cbranch_scc1 .LBB70_429
; %bb.424:
	s_cmp_gt_i32 s16, 27
	s_cbranch_scc0 .LBB70_426
; %bb.425:
	v_cvt_u32_f32_e32 v3, s2
	s_mov_b64 s[10:11], 0
	global_store_dword v[0:1], v3, off
.LBB70_426:
	s_andn2_b64 vcc, exec, s[10:11]
	s_cbranch_vccnz .LBB70_428
; %bb.427:
	v_cvt_u32_f32_e32 v3, s2
	global_store_short v[0:1], v3, off
.LBB70_428:
	s_mov_b64 s[10:11], 0
.LBB70_429:
	s_andn2_b64 vcc, exec, s[10:11]
	s_cbranch_vccnz .LBB70_444
; %bb.430:
	s_and_b32 s10, s2, 0x7fffffff
	s_cmp_gt_u32 s10, 0x437fffff
	v_mov_b32_e32 v4, 0x80
	s_cbranch_scc1 .LBB70_443
; %bb.431:
	s_cmp_gt_u32 s10, 0x3bffffff
	s_cbranch_scc0 .LBB70_438
; %bb.432:
	s_bfe_u32 s10, s2, 0x10014
	s_add_i32 s10, s2, s10
	s_add_i32 s10, s10, 0x487ffff
	s_lshr_b32 s17, s10, 20
	s_mov_b64 s[14:15], 0
	s_mov_b64 s[10:11], -1
	s_branch .LBB70_439
.LBB70_433:
	s_or_b64 exec, exec, s[4:5]
	s_and_saveexec_b64 s[4:5], s[0:1]
	s_cbranch_execz .LBB70_834
.LBB70_434:
	; divergent unreachable
	s_or_b64 exec, exec, s[4:5]
	s_and_saveexec_b64 s[0:1], s[6:7]
	s_xor_b64 s[0:1], exec, s[0:1]
	s_cbranch_execnz .LBB70_835
.LBB70_435:
	s_or_b64 exec, exec, s[0:1]
	s_and_saveexec_b64 s[0:1], s[12:13]
	s_cbranch_execnz .LBB70_836
	s_branch .LBB70_873
.LBB70_436:
	s_mov_b64 s[14:15], 0
	s_mov_b64 s[10:11], s[0:1]
	s_cbranch_execnz .LBB70_496
.LBB70_437:
	s_andn2_b64 vcc, exec, s[14:15]
	s_cbranch_vccz .LBB70_534
	s_branch .LBB70_832
.LBB70_438:
	s_mov_b64 s[14:15], -1
	s_mov_b64 s[10:11], 0
                                        ; implicit-def: $sgpr17
.LBB70_439:
	s_andn2_b64 vcc, exec, s[14:15]
	v_mov_b32_e32 v3, s17
	s_cbranch_vccnz .LBB70_441
; %bb.440:
	v_mov_b32_e32 v3, 0x46000000
	v_add_f32_e64 v3, |s2|, v3
	v_and_b32_e32 v3, 0xff, v3
	v_cmp_ne_u32_e64 s[10:11], 0, v3
.LBB70_441:
	s_andn2_b64 vcc, exec, s[10:11]
	v_mov_b32_e32 v4, 0
	s_cbranch_vccnz .LBB70_443
; %bb.442:
	s_lshr_b32 s10, s2, 24
	s_and_b32 s10, s10, 0x80
	v_or_b32_e32 v4, s10, v3
.LBB70_443:
	global_store_byte v[0:1], v4, off
.LBB70_444:
	s_mov_b64 s[14:15], -1
.LBB70_445:
	s_mov_b64 s[10:11], 0
.LBB70_446:
	s_and_b64 vcc, exec, s[10:11]
	s_cbranch_vccz .LBB70_492
; %bb.447:
	s_cmp_gt_i32 s16, 22
	s_mov_b64 s[10:11], -1
	s_cbranch_scc0 .LBB70_485
; %bb.448:
	s_cmp_lt_i32 s16, 24
	s_cbranch_scc1 .LBB70_472
; %bb.449:
	s_cmp_gt_i32 s16, 24
	s_cbranch_scc0 .LBB70_459
; %bb.450:
	s_and_b32 s10, s2, 0x7fffffff
	s_cmp_gt_u32 s10, 0x477fffff
	v_mov_b32_e32 v4, 0x80
	s_cbranch_scc1 .LBB70_458
; %bb.451:
	s_cmp_gt_u32 s10, 0x37ffffff
	s_cbranch_scc0 .LBB70_453
; %bb.452:
	s_bfe_u32 s10, s2, 0x10015
	s_add_i32 s10, s2, s10
	s_add_i32 s10, s10, 0x88fffff
	s_lshr_b32 s14, s10, 21
	s_mov_b64 s[10:11], -1
	s_branch .LBB70_454
.LBB70_453:
	s_mov_b64 s[12:13], -1
	s_mov_b64 s[10:11], 0
                                        ; implicit-def: $sgpr14
.LBB70_454:
	s_andn2_b64 vcc, exec, s[12:13]
	v_mov_b32_e32 v3, s14
	s_cbranch_vccnz .LBB70_456
; %bb.455:
	v_mov_b32_e32 v3, 0x42800000
	v_add_f32_e64 v3, |s2|, v3
	v_and_b32_e32 v3, 0xff, v3
	v_cmp_ne_u32_e64 s[10:11], 0, v3
.LBB70_456:
	s_andn2_b64 vcc, exec, s[10:11]
	v_mov_b32_e32 v4, 0
	s_cbranch_vccnz .LBB70_458
; %bb.457:
	s_lshr_b32 s10, s2, 24
	s_and_b32 s10, s10, 0x80
	v_or_b32_e32 v4, s10, v3
.LBB70_458:
	s_mov_b64 s[10:11], 0
	global_store_byte v[0:1], v4, off
.LBB70_459:
	s_and_b64 vcc, exec, s[10:11]
	s_cbranch_vccz .LBB70_471
; %bb.460:
	s_and_b32 s12, s2, 0x7fffffff
	s_cmp_lt_u32 s12, 0x43f00000
	s_cbranch_scc0 .LBB70_463
; %bb.461:
	s_cmp_gt_u32 s12, 0x3c7fffff
	s_cbranch_scc0 .LBB70_464
; %bb.462:
	s_bfe_u32 s10, s2, 0x10014
	s_add_i32 s10, s2, s10
	s_add_i32 s10, s10, 0x407ffff
	s_lshr_b32 s11, s10, 20
	s_and_b32 s10, s10, 0xff00000
	s_cmp_lg_u32 s10, 0x7f00000
	s_cselect_b32 s13, s11, 0x7e
	s_mov_b64 s[10:11], 0
	s_branch .LBB70_465
.LBB70_463:
	s_mov_b64 s[10:11], -1
                                        ; implicit-def: $vgpr3
	s_branch .LBB70_468
.LBB70_464:
	s_mov_b64 s[10:11], -1
                                        ; implicit-def: $sgpr13
.LBB70_465:
	s_andn2_b64 vcc, exec, s[10:11]
	v_mov_b32_e32 v3, s13
	s_cbranch_vccnz .LBB70_467
; %bb.466:
	v_mov_b32_e32 v3, 0x46800000
	v_add_f32_e64 v3, |s2|, v3
.LBB70_467:
	s_mov_b64 s[10:11], 0
.LBB70_468:
	s_andn2_b64 vcc, exec, s[10:11]
	s_cbranch_vccnz .LBB70_470
; %bb.469:
	s_cmp_gt_u32 s12, 0x7f800000
	s_movk_i32 s10, 0x7f
	s_cselect_b32 s10, s10, 0x7e
	v_mov_b32_e32 v3, s10
.LBB70_470:
	s_lshr_b32 s10, s2, 24
	s_and_b32 s10, s10, 0x80
	v_or_b32_e32 v3, s10, v3
	global_store_byte v[0:1], v3, off
.LBB70_471:
	s_mov_b64 s[10:11], 0
.LBB70_472:
	s_andn2_b64 vcc, exec, s[10:11]
	s_cbranch_vccnz .LBB70_484
; %bb.473:
	s_and_b32 s12, s2, 0x7fffffff
	s_cmp_lt_u32 s12, 0x47800000
	s_cbranch_scc0 .LBB70_476
; %bb.474:
	s_cmp_gt_u32 s12, 0x387fffff
	s_cbranch_scc0 .LBB70_477
; %bb.475:
	s_bfe_u32 s10, s2, 0x10015
	s_add_i32 s10, s2, s10
	s_add_i32 s10, s10, 0x80fffff
	s_lshr_b32 s13, s10, 21
	s_mov_b64 s[10:11], 0
	s_branch .LBB70_478
.LBB70_476:
	s_mov_b64 s[10:11], -1
                                        ; implicit-def: $vgpr3
	s_branch .LBB70_481
.LBB70_477:
	s_mov_b64 s[10:11], -1
                                        ; implicit-def: $sgpr13
.LBB70_478:
	s_andn2_b64 vcc, exec, s[10:11]
	v_mov_b32_e32 v3, s13
	s_cbranch_vccnz .LBB70_480
; %bb.479:
	v_mov_b32_e32 v3, 0x43000000
	v_add_f32_e64 v3, |s2|, v3
.LBB70_480:
	s_mov_b64 s[10:11], 0
.LBB70_481:
	s_andn2_b64 vcc, exec, s[10:11]
	s_cbranch_vccnz .LBB70_483
; %bb.482:
	s_cmp_gt_u32 s12, 0x7f800000
	s_movk_i32 s10, 0x7f
	s_cselect_b32 s10, s10, 0x7c
	v_mov_b32_e32 v3, s10
.LBB70_483:
	s_lshr_b32 s10, s2, 24
	s_and_b32 s10, s10, 0x80
	v_or_b32_e32 v3, s10, v3
	global_store_byte v[0:1], v3, off
.LBB70_484:
	s_mov_b64 s[10:11], 0
	s_mov_b64 s[14:15], -1
.LBB70_485:
	s_andn2_b64 vcc, exec, s[10:11]
	s_mov_b64 s[12:13], 0
	s_cbranch_vccnz .LBB70_492
; %bb.486:
	s_cmp_gt_i32 s16, 14
	s_mov_b64 s[10:11], -1
	s_cbranch_scc0 .LBB70_490
; %bb.487:
	s_cmp_eq_u32 s16, 15
	s_mov_b64 s[6:7], -1
	s_cbranch_scc0 .LBB70_489
; %bb.488:
	s_bfe_u32 s6, s2, 0x10010
	s_add_i32 s6, s2, s6
	s_addk_i32 s6, 0x7fff
	s_lshr_b32 s10, s6, 16
	v_cmp_o_f32_e64 s[6:7], s2, s2
	s_and_b64 s[6:7], s[6:7], exec
	s_cselect_b32 s6, s10, 0x7fc0
	v_mov_b32_e32 v3, s6
	global_store_short v[0:1], v3, off
	s_mov_b64 s[6:7], 0
	s_mov_b64 s[14:15], -1
.LBB70_489:
	s_mov_b64 s[10:11], 0
.LBB70_490:
	s_and_b64 vcc, exec, s[10:11]
	s_cbranch_vccz .LBB70_492
; %bb.491:
	s_cmp_lg_u32 s16, 11
	s_mov_b64 s[12:13], -1
	s_cselect_b64 s[6:7], -1, 0
.LBB70_492:
	s_and_b64 vcc, exec, s[6:7]
	s_mov_b64 s[10:11], s[0:1]
	s_cbranch_vccnz .LBB70_564
; %bb.493:
	s_andn2_b64 vcc, exec, s[12:13]
	s_cbranch_vccnz .LBB70_495
.LBB70_494:
	s_or_b32 s6, s2, s3
	s_bitset0_b32 s6, 31
	s_cmp_lg_u32 s6, 0
	s_cselect_b64 s[6:7], -1, 0
	v_cndmask_b32_e64 v3, 0, 1, s[6:7]
	s_mov_b64 s[14:15], -1
	global_store_byte v[0:1], v3, off
.LBB70_495:
	s_branch .LBB70_437
.LBB70_496:
	s_and_b32 s12, 0xffff, s18
	s_cmp_lt_i32 s12, 5
	s_mov_b64 s[6:7], -1
	s_cbranch_scc1 .LBB70_517
; %bb.497:
	s_cmp_lt_i32 s12, 8
	s_cbranch_scc1 .LBB70_507
; %bb.498:
	s_cmp_lt_i32 s12, 9
	s_cbranch_scc1 .LBB70_504
; %bb.499:
	s_cmp_gt_i32 s12, 9
	s_cbranch_scc0 .LBB70_501
; %bb.500:
	v_cvt_f64_f32_e32 v[3:4], s2
	v_cvt_f64_f32_e32 v[5:6], s3
	s_mov_b64 s[6:7], 0
	global_store_dwordx4 v[0:1], v[3:6], off
.LBB70_501:
	s_andn2_b64 vcc, exec, s[6:7]
	s_cbranch_vccnz .LBB70_503
; %bb.502:
	v_mov_b32_e32 v3, s2
	v_mov_b32_e32 v4, s3
	global_store_dwordx2 v[0:1], v[3:4], off
.LBB70_503:
	s_mov_b64 s[6:7], 0
.LBB70_504:
	s_andn2_b64 vcc, exec, s[6:7]
	s_cbranch_vccnz .LBB70_506
; %bb.505:
	v_cvt_f16_f32_e32 v3, s2
	v_cvt_f16_f32_sdwa v4, s3 dst_sel:WORD_1 dst_unused:UNUSED_PAD src0_sel:DWORD
	v_or_b32_e32 v3, v4, v3
	global_store_dword v[0:1], v3, off
.LBB70_506:
	s_mov_b64 s[6:7], 0
.LBB70_507:
	s_andn2_b64 vcc, exec, s[6:7]
	s_cbranch_vccnz .LBB70_516
; %bb.508:
	s_cmp_lt_i32 s12, 6
	s_mov_b64 s[6:7], -1
	s_cbranch_scc1 .LBB70_514
; %bb.509:
	s_cmp_gt_i32 s12, 6
	s_cbranch_scc0 .LBB70_511
; %bb.510:
	v_cvt_f64_f32_e32 v[3:4], s2
	s_mov_b64 s[6:7], 0
	global_store_dwordx2 v[0:1], v[3:4], off
.LBB70_511:
	s_andn2_b64 vcc, exec, s[6:7]
	s_cbranch_vccnz .LBB70_513
; %bb.512:
	v_mov_b32_e32 v3, s2
	global_store_dword v[0:1], v3, off
.LBB70_513:
	s_mov_b64 s[6:7], 0
.LBB70_514:
	s_andn2_b64 vcc, exec, s[6:7]
	s_cbranch_vccnz .LBB70_516
; %bb.515:
	v_cvt_f16_f32_e32 v3, s2
	global_store_short v[0:1], v3, off
.LBB70_516:
	s_mov_b64 s[6:7], 0
.LBB70_517:
	s_andn2_b64 vcc, exec, s[6:7]
	s_cbranch_vccnz .LBB70_533
; %bb.518:
	s_cmp_lt_i32 s12, 2
	s_mov_b64 s[6:7], -1
	s_cbranch_scc1 .LBB70_528
; %bb.519:
	s_cmp_lt_i32 s12, 3
	s_cbranch_scc1 .LBB70_525
; %bb.520:
	s_cmp_gt_i32 s12, 3
	s_cbranch_scc0 .LBB70_522
; %bb.521:
	v_trunc_f32_e32 v3, s2
	s_mov_b32 s6, 0x2f800000
	v_mul_f32_e64 v4, |v3|, s6
	v_floor_f32_e32 v4, v4
	s_mov_b32 s6, 0xcf800000
	v_fma_f32 v5, v4, s6, |v3|
	v_cvt_u32_f32_e32 v5, v5
	v_cvt_u32_f32_e32 v4, v4
	v_ashrrev_i32_e32 v6, 31, v3
	s_mov_b64 s[6:7], 0
	v_xor_b32_e32 v3, v5, v6
	v_xor_b32_e32 v4, v4, v6
	v_sub_co_u32_e32 v3, vcc, v3, v6
	v_subb_co_u32_e32 v4, vcc, v4, v6, vcc
	global_store_dwordx2 v[0:1], v[3:4], off
.LBB70_522:
	s_andn2_b64 vcc, exec, s[6:7]
	s_cbranch_vccnz .LBB70_524
; %bb.523:
	v_cvt_i32_f32_e32 v3, s2
	global_store_dword v[0:1], v3, off
.LBB70_524:
	s_mov_b64 s[6:7], 0
.LBB70_525:
	s_andn2_b64 vcc, exec, s[6:7]
	s_cbranch_vccnz .LBB70_527
; %bb.526:
	v_cvt_i32_f32_e32 v3, s2
	global_store_short v[0:1], v3, off
.LBB70_527:
	s_mov_b64 s[6:7], 0
.LBB70_528:
	s_andn2_b64 vcc, exec, s[6:7]
	s_cbranch_vccnz .LBB70_533
; %bb.529:
	s_cmp_gt_i32 s12, 0
	s_mov_b64 s[6:7], -1
	s_cbranch_scc0 .LBB70_531
; %bb.530:
	v_cvt_i32_f32_e32 v3, s2
	s_mov_b64 s[6:7], 0
	global_store_byte v[0:1], v3, off
.LBB70_531:
	s_andn2_b64 vcc, exec, s[6:7]
	s_cbranch_vccnz .LBB70_533
; %bb.532:
	v_trunc_f32_e32 v3, s2
	s_mov_b32 s6, 0x2f800000
	v_mul_f32_e64 v4, |v3|, s6
	v_floor_f32_e32 v4, v4
	s_mov_b32 s6, 0xcf800000
	v_fma_f32 v4, v4, s6, |v3|
	v_cvt_u32_f32_e32 v4, v4
	v_ashrrev_i32_e32 v3, 31, v3
	v_xor_b32_e32 v4, v4, v3
	v_sub_u32_e32 v3, v4, v3
	global_store_byte v[0:1], v3, off
.LBB70_533:
.LBB70_534:
	s_lshl_b32 s19, s33, 7
	v_add_u32_e32 v2, s19, v2
	v_ashrrev_i32_e32 v1, 31, v2
	v_mov_b32_e32 v3, s9
	v_add_co_u32_e32 v0, vcc, s8, v2
	s_cmp_lt_i32 s18, 11
	v_addc_co_u32_e32 v1, vcc, v3, v1, vcc
	s_cbranch_scc1 .LBB70_562
; %bb.535:
	s_and_b32 s20, 0xffff, s18
	s_mov_b64 s[16:17], -1
	s_mov_b64 s[12:13], 0
	s_cmp_gt_i32 s20, 25
	s_mov_b64 s[14:15], 0
	s_mov_b64 s[6:7], 0
	s_cbranch_scc0 .LBB70_573
; %bb.536:
	s_cmp_gt_i32 s20, 28
	s_cbranch_scc0 .LBB70_551
; %bb.537:
	s_cmp_gt_i32 s20, 43
	;; [unrolled: 3-line block ×3, first 2 shown]
	s_cbranch_scc0 .LBB70_541
; %bb.539:
	s_mov_b64 s[6:7], -1
	s_mov_b64 s[16:17], 0
	s_cmp_eq_u32 s20, 46
	s_cbranch_scc0 .LBB70_541
; %bb.540:
	s_bfe_u32 s6, s2, 0x10010
	s_add_i32 s6, s2, s6
	s_addk_i32 s6, 0x7fff
	s_lshr_b32 s14, s6, 16
	s_bfe_u32 s6, s3, 0x10010
	s_add_i32 s6, s3, s6
	s_addk_i32 s6, 0x7fff
	s_and_b32 s15, s6, 0xffff0000
	v_cmp_o_f32_e64 s[6:7], s3, s3
	s_and_b64 s[6:7], s[6:7], exec
	v_cmp_o_f32_e64 s[6:7], s2, s2
	s_cselect_b32 s15, s15, 0x7fc00000
	s_and_b64 s[6:7], s[6:7], exec
	s_cselect_b32 s6, s14, 0x7fc0
	s_or_b32 s6, s15, s6
	v_mov_b32_e32 v3, s6
	global_store_dword v[0:1], v3, off
	s_mov_b64 s[6:7], 0
	s_mov_b64 s[14:15], -1
.LBB70_541:
	s_and_b64 vcc, exec, s[16:17]
	s_cbranch_vccz .LBB70_546
; %bb.542:
	s_cmp_eq_u32 s20, 44
	s_mov_b64 s[6:7], -1
	s_cbranch_scc0 .LBB70_546
; %bb.543:
	s_bfe_u32 s6, s2, 0x80017
	s_cmpk_eq_i32 s6, 0xff
	v_mov_b32_e32 v3, 0xff
	s_cbranch_scc1 .LBB70_545
; %bb.544:
	s_lshr_b32 s16, s2, 23
	s_bitcmp1_b32 s2, 22
	s_cselect_b64 s[14:15], -1, 0
	s_and_b32 s7, s2, 0x3fffff
	s_or_b32 s6, s6, s7
	s_cmp_lg_u32 s6, 0
	s_cselect_b64 s[6:7], -1, 0
	s_and_b64 s[6:7], s[14:15], s[6:7]
	v_cndmask_b32_e64 v3, 0, 1, s[6:7]
	v_add_u32_e32 v3, s16, v3
.LBB70_545:
	s_mov_b64 s[6:7], 0
	s_mov_b64 s[14:15], -1
	global_store_byte v[0:1], v3, off
.LBB70_546:
	s_mov_b64 s[16:17], 0
.LBB70_547:
	s_and_b64 vcc, exec, s[16:17]
	s_cbranch_vccz .LBB70_550
; %bb.548:
	s_cmp_eq_u32 s20, 29
	s_mov_b64 s[6:7], -1
	s_cbranch_scc0 .LBB70_550
; %bb.549:
	v_trunc_f32_e32 v3, s2
	v_mul_f32_e32 v4, 0x2f800000, v3
	v_floor_f32_e32 v5, v4
	v_fmac_f32_e32 v3, 0xcf800000, v5
	v_cvt_u32_f32_e32 v4, v5
	v_cvt_u32_f32_e32 v3, v3
	s_mov_b64 s[6:7], 0
	s_mov_b64 s[14:15], -1
	global_store_dwordx2 v[0:1], v[3:4], off
.LBB70_550:
	s_mov_b64 s[16:17], 0
.LBB70_551:
	s_and_b64 vcc, exec, s[16:17]
	s_cbranch_vccz .LBB70_572
; %bb.552:
	s_cmp_lt_i32 s20, 27
	s_mov_b64 s[14:15], -1
	s_cbranch_scc1 .LBB70_558
; %bb.553:
	s_cmp_gt_i32 s20, 27
	s_cbranch_scc0 .LBB70_555
; %bb.554:
	v_cvt_u32_f32_e32 v3, s2
	s_mov_b64 s[14:15], 0
	global_store_dword v[0:1], v3, off
.LBB70_555:
	s_andn2_b64 vcc, exec, s[14:15]
	s_cbranch_vccnz .LBB70_557
; %bb.556:
	v_cvt_u32_f32_e32 v3, s2
	global_store_short v[0:1], v3, off
.LBB70_557:
	s_mov_b64 s[14:15], 0
.LBB70_558:
	s_andn2_b64 vcc, exec, s[14:15]
	s_cbranch_vccnz .LBB70_571
; %bb.559:
	s_and_b32 s14, s2, 0x7fffffff
	s_cmp_gt_u32 s14, 0x437fffff
	v_mov_b32_e32 v4, 0x80
	s_cbranch_scc1 .LBB70_570
; %bb.560:
	s_cmp_gt_u32 s14, 0x3bffffff
	s_cbranch_scc0 .LBB70_565
; %bb.561:
	s_bfe_u32 s14, s2, 0x10014
	s_add_i32 s14, s2, s14
	s_add_i32 s14, s14, 0x487ffff
	s_lshr_b32 s21, s14, 20
	s_mov_b64 s[16:17], 0
	s_mov_b64 s[14:15], -1
	s_branch .LBB70_566
.LBB70_562:
	s_mov_b64 s[14:15], 0
	s_cbranch_execnz .LBB70_623
.LBB70_563:
	s_andn2_b64 vcc, exec, s[14:15]
	s_cbranch_vccz .LBB70_661
	s_branch .LBB70_832
.LBB70_564:
	s_or_b64 s[10:11], s[0:1], exec
	s_trap 2
	s_cbranch_execz .LBB70_494
	s_branch .LBB70_495
.LBB70_565:
	s_mov_b64 s[16:17], -1
	s_mov_b64 s[14:15], 0
                                        ; implicit-def: $sgpr21
.LBB70_566:
	s_andn2_b64 vcc, exec, s[16:17]
	v_mov_b32_e32 v3, s21
	s_cbranch_vccnz .LBB70_568
; %bb.567:
	v_mov_b32_e32 v3, 0x46000000
	v_add_f32_e64 v3, |s2|, v3
	v_and_b32_e32 v3, 0xff, v3
	v_cmp_ne_u32_e64 s[14:15], 0, v3
.LBB70_568:
	s_andn2_b64 vcc, exec, s[14:15]
	v_mov_b32_e32 v4, 0
	s_cbranch_vccnz .LBB70_570
; %bb.569:
	s_lshr_b32 s14, s2, 24
	s_and_b32 s14, s14, 0x80
	v_or_b32_e32 v4, s14, v3
.LBB70_570:
	global_store_byte v[0:1], v4, off
.LBB70_571:
	s_mov_b64 s[14:15], -1
.LBB70_572:
	s_mov_b64 s[16:17], 0
.LBB70_573:
	s_and_b64 vcc, exec, s[16:17]
	s_cbranch_vccz .LBB70_619
; %bb.574:
	s_cmp_gt_i32 s20, 22
	s_mov_b64 s[12:13], -1
	s_cbranch_scc0 .LBB70_612
; %bb.575:
	s_cmp_lt_i32 s20, 24
	s_cbranch_scc1 .LBB70_599
; %bb.576:
	s_cmp_gt_i32 s20, 24
	s_cbranch_scc0 .LBB70_586
; %bb.577:
	s_and_b32 s12, s2, 0x7fffffff
	s_cmp_gt_u32 s12, 0x477fffff
	v_mov_b32_e32 v4, 0x80
	s_cbranch_scc1 .LBB70_585
; %bb.578:
	s_cmp_gt_u32 s12, 0x37ffffff
	s_cbranch_scc0 .LBB70_580
; %bb.579:
	s_bfe_u32 s12, s2, 0x10015
	s_add_i32 s12, s2, s12
	s_add_i32 s12, s12, 0x88fffff
	s_lshr_b32 s16, s12, 21
	s_mov_b64 s[14:15], 0
	s_mov_b64 s[12:13], -1
	s_branch .LBB70_581
.LBB70_580:
	s_mov_b64 s[14:15], -1
	s_mov_b64 s[12:13], 0
                                        ; implicit-def: $sgpr16
.LBB70_581:
	s_andn2_b64 vcc, exec, s[14:15]
	v_mov_b32_e32 v3, s16
	s_cbranch_vccnz .LBB70_583
; %bb.582:
	v_mov_b32_e32 v3, 0x42800000
	v_add_f32_e64 v3, |s2|, v3
	v_and_b32_e32 v3, 0xff, v3
	v_cmp_ne_u32_e64 s[12:13], 0, v3
.LBB70_583:
	s_andn2_b64 vcc, exec, s[12:13]
	v_mov_b32_e32 v4, 0
	s_cbranch_vccnz .LBB70_585
; %bb.584:
	s_lshr_b32 s12, s2, 24
	s_and_b32 s12, s12, 0x80
	v_or_b32_e32 v4, s12, v3
.LBB70_585:
	s_mov_b64 s[12:13], 0
	global_store_byte v[0:1], v4, off
.LBB70_586:
	s_and_b64 vcc, exec, s[12:13]
	s_cbranch_vccz .LBB70_598
; %bb.587:
	s_and_b32 s14, s2, 0x7fffffff
	s_cmp_lt_u32 s14, 0x43f00000
	s_cbranch_scc0 .LBB70_590
; %bb.588:
	s_cmp_gt_u32 s14, 0x3c7fffff
	s_cbranch_scc0 .LBB70_591
; %bb.589:
	s_bfe_u32 s12, s2, 0x10014
	s_add_i32 s12, s2, s12
	s_add_i32 s12, s12, 0x407ffff
	s_lshr_b32 s13, s12, 20
	s_and_b32 s12, s12, 0xff00000
	s_cmp_lg_u32 s12, 0x7f00000
	s_cselect_b32 s15, s13, 0x7e
	s_mov_b64 s[12:13], 0
	s_branch .LBB70_592
.LBB70_590:
	s_mov_b64 s[12:13], -1
                                        ; implicit-def: $vgpr3
	s_branch .LBB70_595
.LBB70_591:
	s_mov_b64 s[12:13], -1
                                        ; implicit-def: $sgpr15
.LBB70_592:
	s_andn2_b64 vcc, exec, s[12:13]
	v_mov_b32_e32 v3, s15
	s_cbranch_vccnz .LBB70_594
; %bb.593:
	v_mov_b32_e32 v3, 0x46800000
	v_add_f32_e64 v3, |s2|, v3
.LBB70_594:
	s_mov_b64 s[12:13], 0
.LBB70_595:
	s_andn2_b64 vcc, exec, s[12:13]
	s_cbranch_vccnz .LBB70_597
; %bb.596:
	s_cmp_gt_u32 s14, 0x7f800000
	s_movk_i32 s12, 0x7f
	s_cselect_b32 s12, s12, 0x7e
	v_mov_b32_e32 v3, s12
.LBB70_597:
	s_lshr_b32 s12, s2, 24
	s_and_b32 s12, s12, 0x80
	v_or_b32_e32 v3, s12, v3
	global_store_byte v[0:1], v3, off
.LBB70_598:
	s_mov_b64 s[12:13], 0
.LBB70_599:
	s_andn2_b64 vcc, exec, s[12:13]
	s_cbranch_vccnz .LBB70_611
; %bb.600:
	s_and_b32 s14, s2, 0x7fffffff
	s_cmp_lt_u32 s14, 0x47800000
	s_cbranch_scc0 .LBB70_603
; %bb.601:
	s_cmp_gt_u32 s14, 0x387fffff
	s_cbranch_scc0 .LBB70_604
; %bb.602:
	s_bfe_u32 s12, s2, 0x10015
	s_add_i32 s12, s2, s12
	s_add_i32 s12, s12, 0x80fffff
	s_lshr_b32 s15, s12, 21
	s_mov_b64 s[12:13], 0
	s_branch .LBB70_605
.LBB70_603:
	s_mov_b64 s[12:13], -1
                                        ; implicit-def: $vgpr3
	s_branch .LBB70_608
.LBB70_604:
	s_mov_b64 s[12:13], -1
                                        ; implicit-def: $sgpr15
.LBB70_605:
	s_andn2_b64 vcc, exec, s[12:13]
	v_mov_b32_e32 v3, s15
	s_cbranch_vccnz .LBB70_607
; %bb.606:
	v_mov_b32_e32 v3, 0x43000000
	v_add_f32_e64 v3, |s2|, v3
.LBB70_607:
	s_mov_b64 s[12:13], 0
.LBB70_608:
	s_andn2_b64 vcc, exec, s[12:13]
	s_cbranch_vccnz .LBB70_610
; %bb.609:
	s_cmp_gt_u32 s14, 0x7f800000
	s_movk_i32 s12, 0x7f
	s_cselect_b32 s12, s12, 0x7c
	v_mov_b32_e32 v3, s12
.LBB70_610:
	s_lshr_b32 s12, s2, 24
	s_and_b32 s12, s12, 0x80
	v_or_b32_e32 v3, s12, v3
	global_store_byte v[0:1], v3, off
.LBB70_611:
	s_mov_b64 s[12:13], 0
	s_mov_b64 s[14:15], -1
.LBB70_612:
	s_andn2_b64 vcc, exec, s[12:13]
	s_mov_b64 s[12:13], 0
	s_cbranch_vccnz .LBB70_619
; %bb.613:
	s_cmp_gt_i32 s20, 14
	s_mov_b64 s[16:17], -1
	s_cbranch_scc0 .LBB70_617
; %bb.614:
	s_cmp_eq_u32 s20, 15
	s_mov_b64 s[6:7], -1
	s_cbranch_scc0 .LBB70_616
; %bb.615:
	s_bfe_u32 s6, s2, 0x10010
	s_add_i32 s6, s2, s6
	s_addk_i32 s6, 0x7fff
	s_lshr_b32 s12, s6, 16
	v_cmp_o_f32_e64 s[6:7], s2, s2
	s_and_b64 s[6:7], s[6:7], exec
	s_cselect_b32 s6, s12, 0x7fc0
	v_mov_b32_e32 v3, s6
	global_store_short v[0:1], v3, off
	s_mov_b64 s[6:7], 0
	s_mov_b64 s[14:15], -1
.LBB70_616:
	s_mov_b64 s[16:17], 0
.LBB70_617:
	s_mov_b64 s[12:13], 0
	s_and_b64 vcc, exec, s[16:17]
	s_cbranch_vccz .LBB70_619
; %bb.618:
	s_cmp_lg_u32 s20, 11
	s_mov_b64 s[12:13], -1
	s_cselect_b64 s[6:7], -1, 0
.LBB70_619:
	s_and_b64 vcc, exec, s[6:7]
	s_cbranch_vccnz .LBB70_721
; %bb.620:
	s_andn2_b64 vcc, exec, s[12:13]
	s_cbranch_vccnz .LBB70_622
.LBB70_621:
	s_or_b32 s6, s2, s3
	s_bitset0_b32 s6, 31
	s_cmp_lg_u32 s6, 0
	s_cselect_b64 s[6:7], -1, 0
	v_cndmask_b32_e64 v3, 0, 1, s[6:7]
	s_mov_b64 s[14:15], -1
	global_store_byte v[0:1], v3, off
.LBB70_622:
	s_branch .LBB70_563
.LBB70_623:
	s_and_b32 s12, 0xffff, s18
	s_cmp_lt_i32 s12, 5
	s_mov_b64 s[6:7], -1
	s_cbranch_scc1 .LBB70_644
; %bb.624:
	s_cmp_lt_i32 s12, 8
	s_cbranch_scc1 .LBB70_634
; %bb.625:
	s_cmp_lt_i32 s12, 9
	s_cbranch_scc1 .LBB70_631
; %bb.626:
	s_cmp_gt_i32 s12, 9
	s_cbranch_scc0 .LBB70_628
; %bb.627:
	v_cvt_f64_f32_e32 v[3:4], s2
	v_cvt_f64_f32_e32 v[5:6], s3
	s_mov_b64 s[6:7], 0
	global_store_dwordx4 v[0:1], v[3:6], off
.LBB70_628:
	s_andn2_b64 vcc, exec, s[6:7]
	s_cbranch_vccnz .LBB70_630
; %bb.629:
	v_mov_b32_e32 v3, s2
	v_mov_b32_e32 v4, s3
	global_store_dwordx2 v[0:1], v[3:4], off
.LBB70_630:
	s_mov_b64 s[6:7], 0
.LBB70_631:
	s_andn2_b64 vcc, exec, s[6:7]
	s_cbranch_vccnz .LBB70_633
; %bb.632:
	v_cvt_f16_f32_e32 v3, s2
	v_cvt_f16_f32_sdwa v4, s3 dst_sel:WORD_1 dst_unused:UNUSED_PAD src0_sel:DWORD
	v_or_b32_e32 v3, v4, v3
	global_store_dword v[0:1], v3, off
.LBB70_633:
	s_mov_b64 s[6:7], 0
.LBB70_634:
	s_andn2_b64 vcc, exec, s[6:7]
	s_cbranch_vccnz .LBB70_643
; %bb.635:
	s_cmp_lt_i32 s12, 6
	s_mov_b64 s[6:7], -1
	s_cbranch_scc1 .LBB70_641
; %bb.636:
	s_cmp_gt_i32 s12, 6
	s_cbranch_scc0 .LBB70_638
; %bb.637:
	v_cvt_f64_f32_e32 v[3:4], s2
	s_mov_b64 s[6:7], 0
	global_store_dwordx2 v[0:1], v[3:4], off
.LBB70_638:
	s_andn2_b64 vcc, exec, s[6:7]
	s_cbranch_vccnz .LBB70_640
; %bb.639:
	v_mov_b32_e32 v3, s2
	global_store_dword v[0:1], v3, off
.LBB70_640:
	s_mov_b64 s[6:7], 0
.LBB70_641:
	s_andn2_b64 vcc, exec, s[6:7]
	s_cbranch_vccnz .LBB70_643
; %bb.642:
	v_cvt_f16_f32_e32 v3, s2
	global_store_short v[0:1], v3, off
.LBB70_643:
	s_mov_b64 s[6:7], 0
.LBB70_644:
	s_andn2_b64 vcc, exec, s[6:7]
	s_cbranch_vccnz .LBB70_660
; %bb.645:
	s_cmp_lt_i32 s12, 2
	s_mov_b64 s[6:7], -1
	s_cbranch_scc1 .LBB70_655
; %bb.646:
	s_cmp_lt_i32 s12, 3
	s_cbranch_scc1 .LBB70_652
; %bb.647:
	s_cmp_gt_i32 s12, 3
	s_cbranch_scc0 .LBB70_649
; %bb.648:
	v_trunc_f32_e32 v3, s2
	s_mov_b32 s6, 0x2f800000
	v_mul_f32_e64 v4, |v3|, s6
	v_floor_f32_e32 v4, v4
	s_mov_b32 s6, 0xcf800000
	v_fma_f32 v5, v4, s6, |v3|
	v_cvt_u32_f32_e32 v5, v5
	v_cvt_u32_f32_e32 v4, v4
	v_ashrrev_i32_e32 v6, 31, v3
	s_mov_b64 s[6:7], 0
	v_xor_b32_e32 v3, v5, v6
	v_xor_b32_e32 v4, v4, v6
	v_sub_co_u32_e32 v3, vcc, v3, v6
	v_subb_co_u32_e32 v4, vcc, v4, v6, vcc
	global_store_dwordx2 v[0:1], v[3:4], off
.LBB70_649:
	s_andn2_b64 vcc, exec, s[6:7]
	s_cbranch_vccnz .LBB70_651
; %bb.650:
	v_cvt_i32_f32_e32 v3, s2
	global_store_dword v[0:1], v3, off
.LBB70_651:
	s_mov_b64 s[6:7], 0
.LBB70_652:
	s_andn2_b64 vcc, exec, s[6:7]
	s_cbranch_vccnz .LBB70_654
; %bb.653:
	v_cvt_i32_f32_e32 v3, s2
	global_store_short v[0:1], v3, off
.LBB70_654:
	s_mov_b64 s[6:7], 0
.LBB70_655:
	s_andn2_b64 vcc, exec, s[6:7]
	s_cbranch_vccnz .LBB70_660
; %bb.656:
	s_cmp_gt_i32 s12, 0
	s_mov_b64 s[6:7], -1
	s_cbranch_scc0 .LBB70_658
; %bb.657:
	v_cvt_i32_f32_e32 v3, s2
	s_mov_b64 s[6:7], 0
	global_store_byte v[0:1], v3, off
.LBB70_658:
	s_andn2_b64 vcc, exec, s[6:7]
	s_cbranch_vccnz .LBB70_660
; %bb.659:
	v_trunc_f32_e32 v3, s2
	s_mov_b32 s6, 0x2f800000
	v_mul_f32_e64 v4, |v3|, s6
	v_floor_f32_e32 v4, v4
	s_mov_b32 s6, 0xcf800000
	v_fma_f32 v4, v4, s6, |v3|
	v_cvt_u32_f32_e32 v4, v4
	v_ashrrev_i32_e32 v3, 31, v3
	v_xor_b32_e32 v4, v4, v3
	v_sub_u32_e32 v3, v4, v3
	global_store_byte v[0:1], v3, off
.LBB70_660:
.LBB70_661:
	v_add_u32_e32 v2, s19, v2
	v_ashrrev_i32_e32 v1, 31, v2
	v_mov_b32_e32 v3, s9
	v_add_co_u32_e32 v0, vcc, s8, v2
	s_cmp_lt_i32 s18, 11
	v_addc_co_u32_e32 v1, vcc, v3, v1, vcc
	s_cbranch_scc1 .LBB70_689
; %bb.662:
	s_and_b32 s20, 0xffff, s18
	s_mov_b64 s[16:17], -1
	s_mov_b64 s[12:13], 0
	s_cmp_gt_i32 s20, 25
	s_mov_b64 s[14:15], 0
	s_mov_b64 s[6:7], 0
	s_cbranch_scc0 .LBB70_730
; %bb.663:
	s_cmp_gt_i32 s20, 28
	s_cbranch_scc0 .LBB70_678
; %bb.664:
	s_cmp_gt_i32 s20, 43
	;; [unrolled: 3-line block ×3, first 2 shown]
	s_cbranch_scc0 .LBB70_668
; %bb.666:
	s_mov_b64 s[6:7], -1
	s_mov_b64 s[16:17], 0
	s_cmp_eq_u32 s20, 46
	s_cbranch_scc0 .LBB70_668
; %bb.667:
	s_bfe_u32 s6, s2, 0x10010
	s_add_i32 s6, s2, s6
	s_addk_i32 s6, 0x7fff
	s_lshr_b32 s14, s6, 16
	s_bfe_u32 s6, s3, 0x10010
	s_add_i32 s6, s3, s6
	s_addk_i32 s6, 0x7fff
	s_and_b32 s15, s6, 0xffff0000
	v_cmp_o_f32_e64 s[6:7], s3, s3
	s_and_b64 s[6:7], s[6:7], exec
	v_cmp_o_f32_e64 s[6:7], s2, s2
	s_cselect_b32 s15, s15, 0x7fc00000
	s_and_b64 s[6:7], s[6:7], exec
	s_cselect_b32 s6, s14, 0x7fc0
	s_or_b32 s6, s15, s6
	v_mov_b32_e32 v3, s6
	global_store_dword v[0:1], v3, off
	s_mov_b64 s[6:7], 0
	s_mov_b64 s[14:15], -1
.LBB70_668:
	s_and_b64 vcc, exec, s[16:17]
	s_cbranch_vccz .LBB70_673
; %bb.669:
	s_cmp_eq_u32 s20, 44
	s_mov_b64 s[6:7], -1
	s_cbranch_scc0 .LBB70_673
; %bb.670:
	s_bfe_u32 s6, s2, 0x80017
	s_cmpk_eq_i32 s6, 0xff
	v_mov_b32_e32 v3, 0xff
	s_cbranch_scc1 .LBB70_672
; %bb.671:
	s_lshr_b32 s16, s2, 23
	s_bitcmp1_b32 s2, 22
	s_cselect_b64 s[14:15], -1, 0
	s_and_b32 s7, s2, 0x3fffff
	s_or_b32 s6, s6, s7
	s_cmp_lg_u32 s6, 0
	s_cselect_b64 s[6:7], -1, 0
	s_and_b64 s[6:7], s[14:15], s[6:7]
	v_cndmask_b32_e64 v3, 0, 1, s[6:7]
	v_add_u32_e32 v3, s16, v3
.LBB70_672:
	s_mov_b64 s[6:7], 0
	s_mov_b64 s[14:15], -1
	global_store_byte v[0:1], v3, off
.LBB70_673:
	s_mov_b64 s[16:17], 0
.LBB70_674:
	s_and_b64 vcc, exec, s[16:17]
	s_cbranch_vccz .LBB70_677
; %bb.675:
	s_cmp_eq_u32 s20, 29
	s_mov_b64 s[6:7], -1
	s_cbranch_scc0 .LBB70_677
; %bb.676:
	v_trunc_f32_e32 v3, s2
	v_mul_f32_e32 v4, 0x2f800000, v3
	v_floor_f32_e32 v5, v4
	v_fmac_f32_e32 v3, 0xcf800000, v5
	v_cvt_u32_f32_e32 v4, v5
	v_cvt_u32_f32_e32 v3, v3
	s_mov_b64 s[6:7], 0
	s_mov_b64 s[14:15], -1
	global_store_dwordx2 v[0:1], v[3:4], off
.LBB70_677:
	s_mov_b64 s[16:17], 0
.LBB70_678:
	s_and_b64 vcc, exec, s[16:17]
	s_cbranch_vccz .LBB70_729
; %bb.679:
	s_cmp_lt_i32 s20, 27
	s_mov_b64 s[14:15], -1
	s_cbranch_scc1 .LBB70_685
; %bb.680:
	s_cmp_gt_i32 s20, 27
	s_cbranch_scc0 .LBB70_682
; %bb.681:
	v_cvt_u32_f32_e32 v3, s2
	s_mov_b64 s[14:15], 0
	global_store_dword v[0:1], v3, off
.LBB70_682:
	s_andn2_b64 vcc, exec, s[14:15]
	s_cbranch_vccnz .LBB70_684
; %bb.683:
	v_cvt_u32_f32_e32 v3, s2
	global_store_short v[0:1], v3, off
.LBB70_684:
	s_mov_b64 s[14:15], 0
.LBB70_685:
	s_andn2_b64 vcc, exec, s[14:15]
	s_cbranch_vccnz .LBB70_728
; %bb.686:
	s_and_b32 s14, s2, 0x7fffffff
	s_cmp_gt_u32 s14, 0x437fffff
	v_mov_b32_e32 v4, 0x80
	s_cbranch_scc1 .LBB70_727
; %bb.687:
	s_cmp_gt_u32 s14, 0x3bffffff
	s_cbranch_scc0 .LBB70_722
; %bb.688:
	s_bfe_u32 s14, s2, 0x10014
	s_add_i32 s14, s2, s14
	s_add_i32 s14, s14, 0x487ffff
	s_lshr_b32 s21, s14, 20
	s_mov_b64 s[16:17], 0
	s_mov_b64 s[14:15], -1
	s_branch .LBB70_723
.LBB70_689:
	s_mov_b64 s[14:15], 0
	s_cbranch_execnz .LBB70_794
.LBB70_690:
	s_andn2_b64 vcc, exec, s[14:15]
	s_cbranch_vccnz .LBB70_832
.LBB70_691:
	v_add_u32_e32 v0, s19, v2
	v_ashrrev_i32_e32 v1, 31, v0
	v_mov_b32_e32 v2, s9
	v_add_co_u32_e32 v0, vcc, s8, v0
	s_cmp_lt_i32 s18, 11
	v_addc_co_u32_e32 v1, vcc, v2, v1, vcc
	s_cbranch_scc1 .LBB70_720
; %bb.692:
	s_and_b32 s16, 0xffff, s18
	s_mov_b64 s[12:13], -1
	s_mov_b64 s[8:9], 0
	s_cmp_gt_i32 s16, 25
	s_mov_b64 s[6:7], 0
	s_cbranch_scc0 .LBB70_744
; %bb.693:
	s_cmp_gt_i32 s16, 28
	s_cbranch_scc0 .LBB70_709
; %bb.694:
	s_cmp_gt_i32 s16, 43
	;; [unrolled: 3-line block ×3, first 2 shown]
	s_cbranch_scc0 .LBB70_699
; %bb.696:
	s_cmp_eq_u32 s16, 46
	s_mov_b64 s[6:7], -1
	s_cbranch_scc0 .LBB70_698
; %bb.697:
	s_bfe_u32 s6, s2, 0x10010
	s_add_i32 s6, s2, s6
	s_addk_i32 s6, 0x7fff
	s_lshr_b32 s12, s6, 16
	s_bfe_u32 s6, s3, 0x10010
	s_add_i32 s6, s3, s6
	s_addk_i32 s6, 0x7fff
	s_and_b32 s13, s6, 0xffff0000
	v_cmp_o_f32_e64 s[6:7], s3, s3
	s_and_b64 s[6:7], s[6:7], exec
	v_cmp_o_f32_e64 s[6:7], s2, s2
	s_cselect_b32 s13, s13, 0x7fc00000
	s_and_b64 s[6:7], s[6:7], exec
	s_cselect_b32 s6, s12, 0x7fc0
	s_or_b32 s6, s13, s6
	v_mov_b32_e32 v2, s6
	global_store_dword v[0:1], v2, off
	s_mov_b64 s[6:7], 0
.LBB70_698:
	s_mov_b64 s[12:13], 0
.LBB70_699:
	s_and_b64 vcc, exec, s[12:13]
	s_cbranch_vccz .LBB70_704
; %bb.700:
	s_cmp_eq_u32 s16, 44
	s_mov_b64 s[6:7], -1
	s_cbranch_scc0 .LBB70_704
; %bb.701:
	s_bfe_u32 s6, s2, 0x80017
	s_cmpk_eq_i32 s6, 0xff
	v_mov_b32_e32 v2, 0xff
	s_cbranch_scc1 .LBB70_703
; %bb.702:
	s_lshr_b32 s14, s2, 23
	s_bitcmp1_b32 s2, 22
	s_cselect_b64 s[12:13], -1, 0
	s_and_b32 s7, s2, 0x3fffff
	s_or_b32 s6, s6, s7
	s_cmp_lg_u32 s6, 0
	s_cselect_b64 s[6:7], -1, 0
	s_and_b64 s[6:7], s[12:13], s[6:7]
	v_cndmask_b32_e64 v2, 0, 1, s[6:7]
	v_add_u32_e32 v2, s14, v2
.LBB70_703:
	s_mov_b64 s[6:7], 0
	global_store_byte v[0:1], v2, off
.LBB70_704:
	s_mov_b64 s[12:13], 0
.LBB70_705:
	s_and_b64 vcc, exec, s[12:13]
	s_cbranch_vccz .LBB70_708
; %bb.706:
	s_cmp_eq_u32 s16, 29
	s_mov_b64 s[6:7], -1
	s_cbranch_scc0 .LBB70_708
; %bb.707:
	v_trunc_f32_e32 v2, s2
	v_mul_f32_e32 v3, 0x2f800000, v2
	v_floor_f32_e32 v4, v3
	v_fmac_f32_e32 v2, 0xcf800000, v4
	v_cvt_u32_f32_e32 v3, v4
	v_cvt_u32_f32_e32 v2, v2
	s_mov_b64 s[6:7], 0
	global_store_dwordx2 v[0:1], v[2:3], off
.LBB70_708:
	s_mov_b64 s[12:13], 0
.LBB70_709:
	s_and_b64 vcc, exec, s[12:13]
	s_cbranch_vccz .LBB70_743
; %bb.710:
	s_cmp_lt_i32 s16, 27
	s_mov_b64 s[12:13], -1
	s_cbranch_scc1 .LBB70_716
; %bb.711:
	v_cvt_u32_f32_e32 v2, s2
	s_cmp_gt_i32 s16, 27
	s_cbranch_scc0 .LBB70_713
; %bb.712:
	global_store_dword v[0:1], v2, off
	s_mov_b64 s[12:13], 0
.LBB70_713:
	s_andn2_b64 vcc, exec, s[12:13]
	s_cbranch_vccnz .LBB70_715
; %bb.714:
	global_store_short v[0:1], v2, off
.LBB70_715:
	s_mov_b64 s[12:13], 0
.LBB70_716:
	s_andn2_b64 vcc, exec, s[12:13]
	s_cbranch_vccnz .LBB70_743
; %bb.717:
	s_and_b32 s12, s2, 0x7fffffff
	s_cmp_gt_u32 s12, 0x437fffff
	v_mov_b32_e32 v3, 0x80
	s_cbranch_scc1 .LBB70_742
; %bb.718:
	s_cmp_gt_u32 s12, 0x3bffffff
	s_cbranch_scc0 .LBB70_737
; %bb.719:
	s_bfe_u32 s12, s2, 0x10014
	s_add_i32 s12, s2, s12
	s_add_i32 s12, s12, 0x487ffff
	s_lshr_b32 s17, s12, 20
	s_mov_b64 s[14:15], 0
	s_mov_b64 s[12:13], -1
	s_branch .LBB70_738
.LBB70_720:
	s_mov_b64 s[8:9], 0
	s_mov_b64 s[6:7], -1
	s_branch .LBB70_833
.LBB70_721:
	s_trap 2
	s_or_b64 s[10:11], s[10:11], exec
	s_cbranch_execz .LBB70_621
	s_branch .LBB70_622
.LBB70_722:
	s_mov_b64 s[16:17], -1
	s_mov_b64 s[14:15], 0
                                        ; implicit-def: $sgpr21
.LBB70_723:
	s_andn2_b64 vcc, exec, s[16:17]
	v_mov_b32_e32 v3, s21
	s_cbranch_vccnz .LBB70_725
; %bb.724:
	v_mov_b32_e32 v3, 0x46000000
	v_add_f32_e64 v3, |s2|, v3
	v_and_b32_e32 v3, 0xff, v3
	v_cmp_ne_u32_e64 s[14:15], 0, v3
.LBB70_725:
	s_andn2_b64 vcc, exec, s[14:15]
	v_mov_b32_e32 v4, 0
	s_cbranch_vccnz .LBB70_727
; %bb.726:
	s_lshr_b32 s14, s2, 24
	s_and_b32 s14, s14, 0x80
	v_or_b32_e32 v4, s14, v3
.LBB70_727:
	global_store_byte v[0:1], v4, off
.LBB70_728:
	s_mov_b64 s[14:15], -1
.LBB70_729:
	s_mov_b64 s[16:17], 0
.LBB70_730:
	s_and_b64 vcc, exec, s[16:17]
	s_cbranch_vccz .LBB70_790
; %bb.731:
	s_cmp_gt_i32 s20, 22
	s_mov_b64 s[12:13], -1
	s_cbranch_scc0 .LBB70_783
; %bb.732:
	s_cmp_lt_i32 s20, 24
	s_cbranch_scc1 .LBB70_770
; %bb.733:
	s_cmp_gt_i32 s20, 24
	s_cbranch_scc0 .LBB70_757
; %bb.734:
	s_and_b32 s12, s2, 0x7fffffff
	s_cmp_gt_u32 s12, 0x477fffff
	v_mov_b32_e32 v4, 0x80
	s_cbranch_scc1 .LBB70_756
; %bb.735:
	s_cmp_gt_u32 s12, 0x37ffffff
	s_cbranch_scc0 .LBB70_751
; %bb.736:
	s_bfe_u32 s12, s2, 0x10015
	s_add_i32 s12, s2, s12
	s_add_i32 s12, s12, 0x88fffff
	s_lshr_b32 s16, s12, 21
	s_mov_b64 s[14:15], 0
	s_mov_b64 s[12:13], -1
	s_branch .LBB70_752
.LBB70_737:
	s_mov_b64 s[14:15], -1
	s_mov_b64 s[12:13], 0
                                        ; implicit-def: $sgpr17
.LBB70_738:
	s_andn2_b64 vcc, exec, s[14:15]
	v_mov_b32_e32 v2, s17
	s_cbranch_vccnz .LBB70_740
; %bb.739:
	v_mov_b32_e32 v2, 0x46000000
	v_add_f32_e64 v2, |s2|, v2
	v_and_b32_e32 v2, 0xff, v2
	v_cmp_ne_u32_e64 s[12:13], 0, v2
.LBB70_740:
	s_andn2_b64 vcc, exec, s[12:13]
	v_mov_b32_e32 v3, 0
	s_cbranch_vccnz .LBB70_742
; %bb.741:
	s_lshr_b32 s12, s2, 24
	s_and_b32 s12, s12, 0x80
	v_or_b32_e32 v3, s12, v2
.LBB70_742:
	global_store_byte v[0:1], v3, off
.LBB70_743:
	s_mov_b64 s[12:13], 0
.LBB70_744:
	s_and_b64 vcc, exec, s[12:13]
	s_cbranch_vccz .LBB70_914
; %bb.745:
	s_cmp_gt_i32 s16, 22
	s_mov_b64 s[8:9], -1
	s_cbranch_scc0 .LBB70_907
; %bb.746:
	s_cmp_lt_i32 s16, 24
	s_cbranch_scc1 .LBB70_894
; %bb.747:
	s_cmp_gt_i32 s16, 24
	s_cbranch_scc0 .LBB70_881
; %bb.748:
	s_and_b32 s8, s2, 0x7fffffff
	s_cmp_gt_u32 s8, 0x477fffff
	v_mov_b32_e32 v3, 0x80
	s_cbranch_scc1 .LBB70_880
; %bb.749:
	s_cmp_gt_u32 s8, 0x37ffffff
	s_cbranch_scc0 .LBB70_875
; %bb.750:
	s_bfe_u32 s8, s2, 0x10015
	s_add_i32 s8, s2, s8
	s_add_i32 s8, s8, 0x88fffff
	s_lshr_b32 s14, s8, 21
	s_mov_b64 s[12:13], 0
	s_mov_b64 s[8:9], -1
	s_branch .LBB70_876
.LBB70_751:
	s_mov_b64 s[14:15], -1
	s_mov_b64 s[12:13], 0
                                        ; implicit-def: $sgpr16
.LBB70_752:
	s_andn2_b64 vcc, exec, s[14:15]
	v_mov_b32_e32 v3, s16
	s_cbranch_vccnz .LBB70_754
; %bb.753:
	v_mov_b32_e32 v3, 0x42800000
	v_add_f32_e64 v3, |s2|, v3
	v_and_b32_e32 v3, 0xff, v3
	v_cmp_ne_u32_e64 s[12:13], 0, v3
.LBB70_754:
	s_andn2_b64 vcc, exec, s[12:13]
	v_mov_b32_e32 v4, 0
	s_cbranch_vccnz .LBB70_756
; %bb.755:
	s_lshr_b32 s12, s2, 24
	s_and_b32 s12, s12, 0x80
	v_or_b32_e32 v4, s12, v3
.LBB70_756:
	s_mov_b64 s[12:13], 0
	global_store_byte v[0:1], v4, off
.LBB70_757:
	s_and_b64 vcc, exec, s[12:13]
	s_cbranch_vccz .LBB70_769
; %bb.758:
	s_and_b32 s14, s2, 0x7fffffff
	s_cmp_lt_u32 s14, 0x43f00000
	s_cbranch_scc0 .LBB70_761
; %bb.759:
	s_cmp_gt_u32 s14, 0x3c7fffff
	s_cbranch_scc0 .LBB70_762
; %bb.760:
	s_bfe_u32 s12, s2, 0x10014
	s_add_i32 s12, s2, s12
	s_add_i32 s12, s12, 0x407ffff
	s_lshr_b32 s13, s12, 20
	s_and_b32 s12, s12, 0xff00000
	s_cmp_lg_u32 s12, 0x7f00000
	s_cselect_b32 s15, s13, 0x7e
	s_mov_b64 s[12:13], 0
	s_branch .LBB70_763
.LBB70_761:
	s_mov_b64 s[12:13], -1
                                        ; implicit-def: $vgpr3
	s_branch .LBB70_766
.LBB70_762:
	s_mov_b64 s[12:13], -1
                                        ; implicit-def: $sgpr15
.LBB70_763:
	s_andn2_b64 vcc, exec, s[12:13]
	v_mov_b32_e32 v3, s15
	s_cbranch_vccnz .LBB70_765
; %bb.764:
	v_mov_b32_e32 v3, 0x46800000
	v_add_f32_e64 v3, |s2|, v3
.LBB70_765:
	s_mov_b64 s[12:13], 0
.LBB70_766:
	s_andn2_b64 vcc, exec, s[12:13]
	s_cbranch_vccnz .LBB70_768
; %bb.767:
	s_cmp_gt_u32 s14, 0x7f800000
	s_movk_i32 s12, 0x7f
	s_cselect_b32 s12, s12, 0x7e
	v_mov_b32_e32 v3, s12
.LBB70_768:
	s_lshr_b32 s12, s2, 24
	s_and_b32 s12, s12, 0x80
	v_or_b32_e32 v3, s12, v3
	global_store_byte v[0:1], v3, off
.LBB70_769:
	s_mov_b64 s[12:13], 0
.LBB70_770:
	s_andn2_b64 vcc, exec, s[12:13]
	s_cbranch_vccnz .LBB70_782
; %bb.771:
	s_and_b32 s14, s2, 0x7fffffff
	s_cmp_lt_u32 s14, 0x47800000
	s_cbranch_scc0 .LBB70_774
; %bb.772:
	s_cmp_gt_u32 s14, 0x387fffff
	s_cbranch_scc0 .LBB70_775
; %bb.773:
	s_bfe_u32 s12, s2, 0x10015
	s_add_i32 s12, s2, s12
	s_add_i32 s12, s12, 0x80fffff
	s_lshr_b32 s15, s12, 21
	s_mov_b64 s[12:13], 0
	s_branch .LBB70_776
.LBB70_774:
	s_mov_b64 s[12:13], -1
                                        ; implicit-def: $vgpr3
	s_branch .LBB70_779
.LBB70_775:
	s_mov_b64 s[12:13], -1
                                        ; implicit-def: $sgpr15
.LBB70_776:
	s_andn2_b64 vcc, exec, s[12:13]
	v_mov_b32_e32 v3, s15
	s_cbranch_vccnz .LBB70_778
; %bb.777:
	v_mov_b32_e32 v3, 0x43000000
	v_add_f32_e64 v3, |s2|, v3
.LBB70_778:
	s_mov_b64 s[12:13], 0
.LBB70_779:
	s_andn2_b64 vcc, exec, s[12:13]
	s_cbranch_vccnz .LBB70_781
; %bb.780:
	s_cmp_gt_u32 s14, 0x7f800000
	s_movk_i32 s12, 0x7f
	s_cselect_b32 s12, s12, 0x7c
	v_mov_b32_e32 v3, s12
.LBB70_781:
	s_lshr_b32 s12, s2, 24
	s_and_b32 s12, s12, 0x80
	v_or_b32_e32 v3, s12, v3
	global_store_byte v[0:1], v3, off
.LBB70_782:
	s_mov_b64 s[12:13], 0
	s_mov_b64 s[14:15], -1
.LBB70_783:
	s_andn2_b64 vcc, exec, s[12:13]
	s_mov_b64 s[12:13], 0
	s_cbranch_vccnz .LBB70_790
; %bb.784:
	s_cmp_gt_i32 s20, 14
	s_mov_b64 s[16:17], -1
	s_cbranch_scc0 .LBB70_788
; %bb.785:
	s_cmp_eq_u32 s20, 15
	s_mov_b64 s[6:7], -1
	s_cbranch_scc0 .LBB70_787
; %bb.786:
	s_bfe_u32 s6, s2, 0x10010
	s_add_i32 s6, s2, s6
	s_addk_i32 s6, 0x7fff
	s_lshr_b32 s12, s6, 16
	v_cmp_o_f32_e64 s[6:7], s2, s2
	s_and_b64 s[6:7], s[6:7], exec
	s_cselect_b32 s6, s12, 0x7fc0
	v_mov_b32_e32 v3, s6
	global_store_short v[0:1], v3, off
	s_mov_b64 s[6:7], 0
	s_mov_b64 s[14:15], -1
.LBB70_787:
	s_mov_b64 s[16:17], 0
.LBB70_788:
	s_mov_b64 s[12:13], 0
	s_and_b64 vcc, exec, s[16:17]
	s_cbranch_vccz .LBB70_790
; %bb.789:
	s_cmp_lg_u32 s20, 11
	s_mov_b64 s[12:13], -1
	s_cselect_b64 s[6:7], -1, 0
.LBB70_790:
	s_and_b64 vcc, exec, s[6:7]
	s_cbranch_vccnz .LBB70_874
; %bb.791:
	s_andn2_b64 vcc, exec, s[12:13]
	s_cbranch_vccnz .LBB70_793
.LBB70_792:
	s_or_b32 s6, s2, s3
	s_bitset0_b32 s6, 31
	s_cmp_lg_u32 s6, 0
	s_cselect_b64 s[6:7], -1, 0
	v_cndmask_b32_e64 v3, 0, 1, s[6:7]
	s_mov_b64 s[14:15], -1
	global_store_byte v[0:1], v3, off
.LBB70_793:
	s_branch .LBB70_690
.LBB70_794:
	s_and_b32 s12, 0xffff, s18
	s_cmp_lt_i32 s12, 5
	s_mov_b64 s[6:7], -1
	s_cbranch_scc1 .LBB70_815
; %bb.795:
	s_cmp_lt_i32 s12, 8
	s_cbranch_scc1 .LBB70_805
; %bb.796:
	s_cmp_lt_i32 s12, 9
	s_cbranch_scc1 .LBB70_802
; %bb.797:
	s_cmp_gt_i32 s12, 9
	s_cbranch_scc0 .LBB70_799
; %bb.798:
	v_cvt_f64_f32_e32 v[3:4], s2
	v_cvt_f64_f32_e32 v[5:6], s3
	s_mov_b64 s[6:7], 0
	global_store_dwordx4 v[0:1], v[3:6], off
.LBB70_799:
	s_andn2_b64 vcc, exec, s[6:7]
	s_cbranch_vccnz .LBB70_801
; %bb.800:
	v_mov_b32_e32 v3, s2
	v_mov_b32_e32 v4, s3
	global_store_dwordx2 v[0:1], v[3:4], off
.LBB70_801:
	s_mov_b64 s[6:7], 0
.LBB70_802:
	s_andn2_b64 vcc, exec, s[6:7]
	s_cbranch_vccnz .LBB70_804
; %bb.803:
	v_cvt_f16_f32_e32 v3, s2
	v_cvt_f16_f32_sdwa v4, s3 dst_sel:WORD_1 dst_unused:UNUSED_PAD src0_sel:DWORD
	v_or_b32_e32 v3, v4, v3
	global_store_dword v[0:1], v3, off
.LBB70_804:
	s_mov_b64 s[6:7], 0
.LBB70_805:
	s_andn2_b64 vcc, exec, s[6:7]
	s_cbranch_vccnz .LBB70_814
; %bb.806:
	s_cmp_lt_i32 s12, 6
	s_mov_b64 s[6:7], -1
	s_cbranch_scc1 .LBB70_812
; %bb.807:
	s_cmp_gt_i32 s12, 6
	s_cbranch_scc0 .LBB70_809
; %bb.808:
	v_cvt_f64_f32_e32 v[3:4], s2
	s_mov_b64 s[6:7], 0
	global_store_dwordx2 v[0:1], v[3:4], off
.LBB70_809:
	s_andn2_b64 vcc, exec, s[6:7]
	s_cbranch_vccnz .LBB70_811
; %bb.810:
	v_mov_b32_e32 v3, s2
	global_store_dword v[0:1], v3, off
.LBB70_811:
	s_mov_b64 s[6:7], 0
.LBB70_812:
	s_andn2_b64 vcc, exec, s[6:7]
	s_cbranch_vccnz .LBB70_814
; %bb.813:
	v_cvt_f16_f32_e32 v3, s2
	global_store_short v[0:1], v3, off
.LBB70_814:
	s_mov_b64 s[6:7], 0
.LBB70_815:
	s_andn2_b64 vcc, exec, s[6:7]
	s_cbranch_vccnz .LBB70_831
; %bb.816:
	s_cmp_lt_i32 s12, 2
	s_mov_b64 s[6:7], -1
	s_cbranch_scc1 .LBB70_826
; %bb.817:
	s_cmp_lt_i32 s12, 3
	s_cbranch_scc1 .LBB70_823
; %bb.818:
	s_cmp_gt_i32 s12, 3
	s_cbranch_scc0 .LBB70_820
; %bb.819:
	v_trunc_f32_e32 v3, s2
	s_mov_b32 s6, 0x2f800000
	v_mul_f32_e64 v4, |v3|, s6
	v_floor_f32_e32 v4, v4
	s_mov_b32 s6, 0xcf800000
	v_fma_f32 v5, v4, s6, |v3|
	v_cvt_u32_f32_e32 v5, v5
	v_cvt_u32_f32_e32 v4, v4
	v_ashrrev_i32_e32 v6, 31, v3
	s_mov_b64 s[6:7], 0
	v_xor_b32_e32 v3, v5, v6
	v_xor_b32_e32 v4, v4, v6
	v_sub_co_u32_e32 v3, vcc, v3, v6
	v_subb_co_u32_e32 v4, vcc, v4, v6, vcc
	global_store_dwordx2 v[0:1], v[3:4], off
.LBB70_820:
	s_andn2_b64 vcc, exec, s[6:7]
	s_cbranch_vccnz .LBB70_822
; %bb.821:
	v_cvt_i32_f32_e32 v3, s2
	global_store_dword v[0:1], v3, off
.LBB70_822:
	s_mov_b64 s[6:7], 0
.LBB70_823:
	s_andn2_b64 vcc, exec, s[6:7]
	s_cbranch_vccnz .LBB70_825
; %bb.824:
	v_cvt_i32_f32_e32 v3, s2
	global_store_short v[0:1], v3, off
.LBB70_825:
	s_mov_b64 s[6:7], 0
.LBB70_826:
	s_andn2_b64 vcc, exec, s[6:7]
	s_cbranch_vccnz .LBB70_831
; %bb.827:
	s_cmp_gt_i32 s12, 0
	s_mov_b64 s[6:7], -1
	s_cbranch_scc0 .LBB70_829
; %bb.828:
	v_cvt_i32_f32_e32 v3, s2
	s_mov_b64 s[6:7], 0
	global_store_byte v[0:1], v3, off
.LBB70_829:
	s_andn2_b64 vcc, exec, s[6:7]
	s_cbranch_vccnz .LBB70_831
; %bb.830:
	v_trunc_f32_e32 v3, s2
	s_mov_b32 s6, 0x2f800000
	v_mul_f32_e64 v4, |v3|, s6
	v_floor_f32_e32 v4, v4
	s_mov_b32 s6, 0xcf800000
	v_fma_f32 v4, v4, s6, |v3|
	v_cvt_u32_f32_e32 v4, v4
	v_ashrrev_i32_e32 v3, 31, v3
	v_xor_b32_e32 v4, v4, v3
	v_sub_u32_e32 v3, v4, v3
	global_store_byte v[0:1], v3, off
.LBB70_831:
	s_branch .LBB70_691
.LBB70_832:
	s_mov_b64 s[6:7], 0
	s_mov_b64 s[8:9], 0
                                        ; implicit-def: $sgpr18
                                        ; implicit-def: $vgpr0_vgpr1
.LBB70_833:
	s_and_b64 s[12:13], s[6:7], exec
	s_and_b64 s[6:7], s[8:9], exec
	s_andn2_b64 s[0:1], s[0:1], exec
	s_and_b64 s[8:9], s[10:11], exec
	s_or_b64 s[0:1], s[0:1], s[8:9]
	s_or_b64 exec, exec, s[4:5]
	s_and_saveexec_b64 s[4:5], s[0:1]
	s_cbranch_execnz .LBB70_434
.LBB70_834:
	s_or_b64 exec, exec, s[4:5]
	s_and_saveexec_b64 s[0:1], s[6:7]
	s_xor_b64 s[0:1], exec, s[0:1]
	s_cbranch_execz .LBB70_435
.LBB70_835:
	s_or_b32 s4, s2, s3
	s_bitset0_b32 s4, 31
	s_cmp_lg_u32 s4, 0
	s_cselect_b64 s[4:5], -1, 0
	v_cndmask_b32_e64 v2, 0, 1, s[4:5]
	global_store_byte v[0:1], v2, off
	s_or_b64 exec, exec, s[0:1]
	s_and_saveexec_b64 s[0:1], s[12:13]
	s_cbranch_execz .LBB70_873
.LBB70_836:
	s_sext_i32_i16 s4, s18
	s_cmp_lt_i32 s4, 5
	s_mov_b64 s[0:1], -1
	s_cbranch_scc1 .LBB70_857
; %bb.837:
	s_cmp_lt_i32 s4, 8
	s_cbranch_scc1 .LBB70_847
; %bb.838:
	s_cmp_lt_i32 s4, 9
	s_cbranch_scc1 .LBB70_844
; %bb.839:
	s_cmp_gt_i32 s4, 9
	s_cbranch_scc0 .LBB70_841
; %bb.840:
	v_cvt_f64_f32_e32 v[2:3], s2
	v_cvt_f64_f32_e32 v[4:5], s3
	s_mov_b64 s[0:1], 0
	global_store_dwordx4 v[0:1], v[2:5], off
.LBB70_841:
	s_andn2_b64 vcc, exec, s[0:1]
	s_cbranch_vccnz .LBB70_843
; %bb.842:
	v_mov_b32_e32 v2, s2
	v_mov_b32_e32 v3, s3
	global_store_dwordx2 v[0:1], v[2:3], off
.LBB70_843:
	s_mov_b64 s[0:1], 0
.LBB70_844:
	s_andn2_b64 vcc, exec, s[0:1]
	s_cbranch_vccnz .LBB70_846
; %bb.845:
	v_cvt_f16_f32_e32 v2, s2
	v_cvt_f16_f32_sdwa v3, s3 dst_sel:WORD_1 dst_unused:UNUSED_PAD src0_sel:DWORD
	v_or_b32_e32 v2, v3, v2
	global_store_dword v[0:1], v2, off
.LBB70_846:
	s_mov_b64 s[0:1], 0
.LBB70_847:
	s_andn2_b64 vcc, exec, s[0:1]
	s_cbranch_vccnz .LBB70_856
; %bb.848:
	s_sext_i32_i16 s3, s18
	s_cmp_lt_i32 s3, 6
	s_mov_b64 s[0:1], -1
	s_cbranch_scc1 .LBB70_854
; %bb.849:
	s_cmp_gt_i32 s3, 6
	s_cbranch_scc0 .LBB70_851
; %bb.850:
	v_cvt_f64_f32_e32 v[2:3], s2
	s_mov_b64 s[0:1], 0
	global_store_dwordx2 v[0:1], v[2:3], off
.LBB70_851:
	s_andn2_b64 vcc, exec, s[0:1]
	s_cbranch_vccnz .LBB70_853
; %bb.852:
	v_mov_b32_e32 v2, s2
	global_store_dword v[0:1], v2, off
.LBB70_853:
	s_mov_b64 s[0:1], 0
.LBB70_854:
	s_andn2_b64 vcc, exec, s[0:1]
	s_cbranch_vccnz .LBB70_856
; %bb.855:
	v_cvt_f16_f32_e32 v2, s2
	global_store_short v[0:1], v2, off
.LBB70_856:
	s_mov_b64 s[0:1], 0
.LBB70_857:
	s_andn2_b64 vcc, exec, s[0:1]
	s_cbranch_vccnz .LBB70_873
; %bb.858:
	s_sext_i32_i16 s3, s18
	s_cmp_lt_i32 s3, 2
	s_mov_b64 s[0:1], -1
	s_cbranch_scc1 .LBB70_868
; %bb.859:
	s_cmp_lt_i32 s3, 3
	s_cbranch_scc1 .LBB70_865
; %bb.860:
	s_cmp_gt_i32 s3, 3
	s_cbranch_scc0 .LBB70_862
; %bb.861:
	v_trunc_f32_e32 v2, s2
	s_mov_b32 s0, 0x2f800000
	v_mul_f32_e64 v3, |v2|, s0
	v_floor_f32_e32 v3, v3
	s_mov_b32 s0, 0xcf800000
	v_fma_f32 v4, v3, s0, |v2|
	v_cvt_u32_f32_e32 v4, v4
	v_cvt_u32_f32_e32 v3, v3
	v_ashrrev_i32_e32 v5, 31, v2
	s_mov_b64 s[0:1], 0
	v_xor_b32_e32 v2, v4, v5
	v_xor_b32_e32 v3, v3, v5
	v_sub_co_u32_e32 v2, vcc, v2, v5
	v_subb_co_u32_e32 v3, vcc, v3, v5, vcc
	global_store_dwordx2 v[0:1], v[2:3], off
.LBB70_862:
	s_andn2_b64 vcc, exec, s[0:1]
	s_cbranch_vccnz .LBB70_864
; %bb.863:
	v_cvt_i32_f32_e32 v2, s2
	global_store_dword v[0:1], v2, off
.LBB70_864:
	s_mov_b64 s[0:1], 0
.LBB70_865:
	s_andn2_b64 vcc, exec, s[0:1]
	s_cbranch_vccnz .LBB70_867
; %bb.866:
	v_cvt_i32_f32_e32 v2, s2
	global_store_short v[0:1], v2, off
.LBB70_867:
	s_mov_b64 s[0:1], 0
.LBB70_868:
	s_andn2_b64 vcc, exec, s[0:1]
	s_cbranch_vccnz .LBB70_873
; %bb.869:
	s_sext_i32_i16 s0, s18
	s_cmp_gt_i32 s0, 0
	s_mov_b64 s[0:1], -1
	s_cbranch_scc0 .LBB70_871
; %bb.870:
	v_cvt_i32_f32_e32 v2, s2
	s_mov_b64 s[0:1], 0
	global_store_byte v[0:1], v2, off
.LBB70_871:
	s_andn2_b64 vcc, exec, s[0:1]
	s_cbranch_vccnz .LBB70_873
; %bb.872:
	v_trunc_f32_e32 v2, s2
	s_mov_b32 s0, 0x2f800000
	v_mul_f32_e64 v3, |v2|, s0
	v_floor_f32_e32 v3, v3
	s_mov_b32 s0, 0xcf800000
	v_fma_f32 v3, v3, s0, |v2|
	v_cvt_u32_f32_e32 v3, v3
	v_ashrrev_i32_e32 v2, 31, v2
	v_xor_b32_e32 v3, v3, v2
	v_sub_u32_e32 v2, v3, v2
	global_store_byte v[0:1], v2, off
	s_endpgm
.LBB70_873:
	s_endpgm
.LBB70_874:
	s_trap 2
	s_or_b64 s[10:11], s[10:11], exec
	s_cbranch_execz .LBB70_792
	s_branch .LBB70_793
.LBB70_875:
	s_mov_b64 s[12:13], -1
	s_mov_b64 s[8:9], 0
                                        ; implicit-def: $sgpr14
.LBB70_876:
	s_andn2_b64 vcc, exec, s[12:13]
	v_mov_b32_e32 v2, s14
	s_cbranch_vccnz .LBB70_878
; %bb.877:
	v_mov_b32_e32 v2, 0x42800000
	v_add_f32_e64 v2, |s2|, v2
	v_and_b32_e32 v2, 0xff, v2
	v_cmp_ne_u32_e64 s[8:9], 0, v2
.LBB70_878:
	s_andn2_b64 vcc, exec, s[8:9]
	v_mov_b32_e32 v3, 0
	s_cbranch_vccnz .LBB70_880
; %bb.879:
	s_lshr_b32 s8, s2, 24
	s_and_b32 s8, s8, 0x80
	v_or_b32_e32 v3, s8, v2
.LBB70_880:
	s_mov_b64 s[8:9], 0
	global_store_byte v[0:1], v3, off
.LBB70_881:
	s_and_b64 vcc, exec, s[8:9]
	s_cbranch_vccz .LBB70_893
; %bb.882:
	s_and_b32 s12, s2, 0x7fffffff
	s_cmp_lt_u32 s12, 0x43f00000
	s_cbranch_scc0 .LBB70_885
; %bb.883:
	s_cmp_gt_u32 s12, 0x3c7fffff
	s_cbranch_scc0 .LBB70_886
; %bb.884:
	s_bfe_u32 s8, s2, 0x10014
	s_add_i32 s8, s2, s8
	s_add_i32 s8, s8, 0x407ffff
	s_lshr_b32 s9, s8, 20
	s_and_b32 s8, s8, 0xff00000
	s_cmp_lg_u32 s8, 0x7f00000
	s_cselect_b32 s13, s9, 0x7e
	s_mov_b64 s[8:9], 0
	s_branch .LBB70_887
.LBB70_885:
	s_mov_b64 s[8:9], -1
                                        ; implicit-def: $vgpr2
	s_branch .LBB70_890
.LBB70_886:
	s_mov_b64 s[8:9], -1
                                        ; implicit-def: $sgpr13
.LBB70_887:
	s_andn2_b64 vcc, exec, s[8:9]
	v_mov_b32_e32 v2, s13
	s_cbranch_vccnz .LBB70_889
; %bb.888:
	v_mov_b32_e32 v2, 0x46800000
	v_add_f32_e64 v2, |s2|, v2
.LBB70_889:
	s_mov_b64 s[8:9], 0
.LBB70_890:
	s_andn2_b64 vcc, exec, s[8:9]
	s_cbranch_vccnz .LBB70_892
; %bb.891:
	s_cmp_gt_u32 s12, 0x7f800000
	s_movk_i32 s8, 0x7f
	s_cselect_b32 s8, s8, 0x7e
	v_mov_b32_e32 v2, s8
.LBB70_892:
	s_lshr_b32 s8, s2, 24
	s_and_b32 s8, s8, 0x80
	v_or_b32_e32 v2, s8, v2
	global_store_byte v[0:1], v2, off
.LBB70_893:
	s_mov_b64 s[8:9], 0
.LBB70_894:
	s_andn2_b64 vcc, exec, s[8:9]
	s_cbranch_vccnz .LBB70_906
; %bb.895:
	s_and_b32 s12, s2, 0x7fffffff
	s_cmp_lt_u32 s12, 0x47800000
	s_cbranch_scc0 .LBB70_898
; %bb.896:
	s_cmp_gt_u32 s12, 0x387fffff
	s_cbranch_scc0 .LBB70_899
; %bb.897:
	s_bfe_u32 s8, s2, 0x10015
	s_add_i32 s8, s2, s8
	s_add_i32 s8, s8, 0x80fffff
	s_lshr_b32 s13, s8, 21
	s_mov_b64 s[8:9], 0
	s_branch .LBB70_900
.LBB70_898:
	s_mov_b64 s[8:9], -1
                                        ; implicit-def: $vgpr2
	s_branch .LBB70_903
.LBB70_899:
	s_mov_b64 s[8:9], -1
                                        ; implicit-def: $sgpr13
.LBB70_900:
	s_andn2_b64 vcc, exec, s[8:9]
	v_mov_b32_e32 v2, s13
	s_cbranch_vccnz .LBB70_902
; %bb.901:
	v_mov_b32_e32 v2, 0x43000000
	v_add_f32_e64 v2, |s2|, v2
.LBB70_902:
	s_mov_b64 s[8:9], 0
.LBB70_903:
	s_andn2_b64 vcc, exec, s[8:9]
	s_cbranch_vccnz .LBB70_905
; %bb.904:
	s_cmp_gt_u32 s12, 0x7f800000
	s_movk_i32 s8, 0x7f
	s_cselect_b32 s8, s8, 0x7c
	v_mov_b32_e32 v2, s8
.LBB70_905:
	s_lshr_b32 s8, s2, 24
	s_and_b32 s8, s8, 0x80
	v_or_b32_e32 v2, s8, v2
	global_store_byte v[0:1], v2, off
.LBB70_906:
	s_mov_b64 s[8:9], 0
.LBB70_907:
	s_andn2_b64 vcc, exec, s[8:9]
	s_mov_b64 s[8:9], 0
	s_cbranch_vccnz .LBB70_914
; %bb.908:
	s_cmp_gt_i32 s16, 14
	s_mov_b64 s[12:13], -1
	s_cbranch_scc0 .LBB70_912
; %bb.909:
	s_cmp_eq_u32 s16, 15
	s_mov_b64 s[6:7], -1
	s_cbranch_scc0 .LBB70_911
; %bb.910:
	s_bfe_u32 s6, s2, 0x10010
	s_add_i32 s6, s2, s6
	s_addk_i32 s6, 0x7fff
	s_lshr_b32 s8, s6, 16
	v_cmp_o_f32_e64 s[6:7], s2, s2
	s_and_b64 s[6:7], s[6:7], exec
	s_cselect_b32 s6, s8, 0x7fc0
	v_mov_b32_e32 v2, s6
	global_store_short v[0:1], v2, off
	s_mov_b64 s[6:7], 0
.LBB70_911:
	s_mov_b64 s[12:13], 0
.LBB70_912:
	s_mov_b64 s[8:9], 0
	s_and_b64 vcc, exec, s[12:13]
	s_cbranch_vccz .LBB70_914
; %bb.913:
	s_cmp_lg_u32 s16, 11
	s_mov_b64 s[8:9], -1
	s_cselect_b64 s[6:7], -1, 0
.LBB70_914:
	s_and_b64 vcc, exec, s[6:7]
	s_cbranch_vccnz .LBB70_916
.LBB70_915:
	s_mov_b64 s[6:7], 0
	s_branch .LBB70_833
.LBB70_916:
	s_mov_b64 s[8:9], 0
	s_or_b64 s[10:11], s[10:11], exec
	s_trap 2
	s_branch .LBB70_915
	.section	.rodata,"a",@progbits
	.p2align	6, 0x0
	.amdhsa_kernel _ZN2at6native32elementwise_kernel_manual_unrollILi128ELi4EZNS0_15gpu_kernel_implINS0_11FillFunctorIN3c107complexIfEEEEEEvRNS_18TensorIteratorBaseERKT_EUlibE_EEviT1_
		.amdhsa_group_segment_fixed_size 0
		.amdhsa_private_segment_fixed_size 0
		.amdhsa_kernarg_size 40
		.amdhsa_user_sgpr_count 6
		.amdhsa_user_sgpr_private_segment_buffer 1
		.amdhsa_user_sgpr_dispatch_ptr 0
		.amdhsa_user_sgpr_queue_ptr 0
		.amdhsa_user_sgpr_kernarg_segment_ptr 1
		.amdhsa_user_sgpr_dispatch_id 0
		.amdhsa_user_sgpr_flat_scratch_init 0
		.amdhsa_user_sgpr_private_segment_size 0
		.amdhsa_uses_dynamic_stack 0
		.amdhsa_system_sgpr_private_segment_wavefront_offset 0
		.amdhsa_system_sgpr_workgroup_id_x 1
		.amdhsa_system_sgpr_workgroup_id_y 0
		.amdhsa_system_sgpr_workgroup_id_z 0
		.amdhsa_system_sgpr_workgroup_info 0
		.amdhsa_system_vgpr_workitem_id 0
		.amdhsa_next_free_vgpr 19
		.amdhsa_next_free_sgpr 67
		.amdhsa_reserve_vcc 1
		.amdhsa_reserve_flat_scratch 0
		.amdhsa_float_round_mode_32 0
		.amdhsa_float_round_mode_16_64 0
		.amdhsa_float_denorm_mode_32 3
		.amdhsa_float_denorm_mode_16_64 3
		.amdhsa_dx10_clamp 1
		.amdhsa_ieee_mode 1
		.amdhsa_fp16_overflow 0
		.amdhsa_exception_fp_ieee_invalid_op 0
		.amdhsa_exception_fp_denorm_src 0
		.amdhsa_exception_fp_ieee_div_zero 0
		.amdhsa_exception_fp_ieee_overflow 0
		.amdhsa_exception_fp_ieee_underflow 0
		.amdhsa_exception_fp_ieee_inexact 0
		.amdhsa_exception_int_div_zero 0
	.end_amdhsa_kernel
	.section	.text._ZN2at6native32elementwise_kernel_manual_unrollILi128ELi4EZNS0_15gpu_kernel_implINS0_11FillFunctorIN3c107complexIfEEEEEEvRNS_18TensorIteratorBaseERKT_EUlibE_EEviT1_,"axG",@progbits,_ZN2at6native32elementwise_kernel_manual_unrollILi128ELi4EZNS0_15gpu_kernel_implINS0_11FillFunctorIN3c107complexIfEEEEEEvRNS_18TensorIteratorBaseERKT_EUlibE_EEviT1_,comdat
.Lfunc_end70:
	.size	_ZN2at6native32elementwise_kernel_manual_unrollILi128ELi4EZNS0_15gpu_kernel_implINS0_11FillFunctorIN3c107complexIfEEEEEEvRNS_18TensorIteratorBaseERKT_EUlibE_EEviT1_, .Lfunc_end70-_ZN2at6native32elementwise_kernel_manual_unrollILi128ELi4EZNS0_15gpu_kernel_implINS0_11FillFunctorIN3c107complexIfEEEEEEvRNS_18TensorIteratorBaseERKT_EUlibE_EEviT1_
                                        ; -- End function
	.set _ZN2at6native32elementwise_kernel_manual_unrollILi128ELi4EZNS0_15gpu_kernel_implINS0_11FillFunctorIN3c107complexIfEEEEEEvRNS_18TensorIteratorBaseERKT_EUlibE_EEviT1_.num_vgpr, 19
	.set _ZN2at6native32elementwise_kernel_manual_unrollILi128ELi4EZNS0_15gpu_kernel_implINS0_11FillFunctorIN3c107complexIfEEEEEEvRNS_18TensorIteratorBaseERKT_EUlibE_EEviT1_.num_agpr, 0
	.set _ZN2at6native32elementwise_kernel_manual_unrollILi128ELi4EZNS0_15gpu_kernel_implINS0_11FillFunctorIN3c107complexIfEEEEEEvRNS_18TensorIteratorBaseERKT_EUlibE_EEviT1_.numbered_sgpr, 67
	.set _ZN2at6native32elementwise_kernel_manual_unrollILi128ELi4EZNS0_15gpu_kernel_implINS0_11FillFunctorIN3c107complexIfEEEEEEvRNS_18TensorIteratorBaseERKT_EUlibE_EEviT1_.num_named_barrier, 0
	.set _ZN2at6native32elementwise_kernel_manual_unrollILi128ELi4EZNS0_15gpu_kernel_implINS0_11FillFunctorIN3c107complexIfEEEEEEvRNS_18TensorIteratorBaseERKT_EUlibE_EEviT1_.private_seg_size, 0
	.set _ZN2at6native32elementwise_kernel_manual_unrollILi128ELi4EZNS0_15gpu_kernel_implINS0_11FillFunctorIN3c107complexIfEEEEEEvRNS_18TensorIteratorBaseERKT_EUlibE_EEviT1_.uses_vcc, 1
	.set _ZN2at6native32elementwise_kernel_manual_unrollILi128ELi4EZNS0_15gpu_kernel_implINS0_11FillFunctorIN3c107complexIfEEEEEEvRNS_18TensorIteratorBaseERKT_EUlibE_EEviT1_.uses_flat_scratch, 0
	.set _ZN2at6native32elementwise_kernel_manual_unrollILi128ELi4EZNS0_15gpu_kernel_implINS0_11FillFunctorIN3c107complexIfEEEEEEvRNS_18TensorIteratorBaseERKT_EUlibE_EEviT1_.has_dyn_sized_stack, 0
	.set _ZN2at6native32elementwise_kernel_manual_unrollILi128ELi4EZNS0_15gpu_kernel_implINS0_11FillFunctorIN3c107complexIfEEEEEEvRNS_18TensorIteratorBaseERKT_EUlibE_EEviT1_.has_recursion, 0
	.set _ZN2at6native32elementwise_kernel_manual_unrollILi128ELi4EZNS0_15gpu_kernel_implINS0_11FillFunctorIN3c107complexIfEEEEEEvRNS_18TensorIteratorBaseERKT_EUlibE_EEviT1_.has_indirect_call, 0
	.section	.AMDGPU.csdata,"",@progbits
; Kernel info:
; codeLenInByte = 13036
; TotalNumSgprs: 71
; NumVgprs: 19
; ScratchSize: 0
; MemoryBound: 0
; FloatMode: 240
; IeeeMode: 1
; LDSByteSize: 0 bytes/workgroup (compile time only)
; SGPRBlocks: 8
; VGPRBlocks: 4
; NumSGPRsForWavesPerEU: 71
; NumVGPRsForWavesPerEU: 19
; Occupancy: 10
; WaveLimiterHint : 0
; COMPUTE_PGM_RSRC2:SCRATCH_EN: 0
; COMPUTE_PGM_RSRC2:USER_SGPR: 6
; COMPUTE_PGM_RSRC2:TRAP_HANDLER: 0
; COMPUTE_PGM_RSRC2:TGID_X_EN: 1
; COMPUTE_PGM_RSRC2:TGID_Y_EN: 0
; COMPUTE_PGM_RSRC2:TGID_Z_EN: 0
; COMPUTE_PGM_RSRC2:TIDIG_COMP_CNT: 0
	.section	.text._ZN2at6native32elementwise_kernel_manual_unrollILi128ELi4EZNS0_15gpu_kernel_implINS0_11FillFunctorIN3c107complexIfEEEEEEvRNS_18TensorIteratorBaseERKT_EUlibE0_EEviT1_,"axG",@progbits,_ZN2at6native32elementwise_kernel_manual_unrollILi128ELi4EZNS0_15gpu_kernel_implINS0_11FillFunctorIN3c107complexIfEEEEEEvRNS_18TensorIteratorBaseERKT_EUlibE0_EEviT1_,comdat
	.protected	_ZN2at6native32elementwise_kernel_manual_unrollILi128ELi4EZNS0_15gpu_kernel_implINS0_11FillFunctorIN3c107complexIfEEEEEEvRNS_18TensorIteratorBaseERKT_EUlibE0_EEviT1_ ; -- Begin function _ZN2at6native32elementwise_kernel_manual_unrollILi128ELi4EZNS0_15gpu_kernel_implINS0_11FillFunctorIN3c107complexIfEEEEEEvRNS_18TensorIteratorBaseERKT_EUlibE0_EEviT1_
	.globl	_ZN2at6native32elementwise_kernel_manual_unrollILi128ELi4EZNS0_15gpu_kernel_implINS0_11FillFunctorIN3c107complexIfEEEEEEvRNS_18TensorIteratorBaseERKT_EUlibE0_EEviT1_
	.p2align	8
	.type	_ZN2at6native32elementwise_kernel_manual_unrollILi128ELi4EZNS0_15gpu_kernel_implINS0_11FillFunctorIN3c107complexIfEEEEEEvRNS_18TensorIteratorBaseERKT_EUlibE0_EEviT1_,@function
_ZN2at6native32elementwise_kernel_manual_unrollILi128ELi4EZNS0_15gpu_kernel_implINS0_11FillFunctorIN3c107complexIfEEEEEEvRNS_18TensorIteratorBaseERKT_EUlibE0_EEviT1_: ; @_ZN2at6native32elementwise_kernel_manual_unrollILi128ELi4EZNS0_15gpu_kernel_implINS0_11FillFunctorIN3c107complexIfEEEEEEvRNS_18TensorIteratorBaseERKT_EUlibE0_EEviT1_
; %bb.0:
	s_load_dword s95, s[4:5], 0x0
	s_load_dword s33, s[4:5], 0x8
	s_add_u32 s28, s4, 8
	s_addc_u32 s29, s5, 0
	v_lshl_or_b32 v12, s6, 9, v0
	v_or_b32_e32 v8, 0x180, v12
	s_waitcnt lgkmcnt(0)
	s_add_i32 s80, s33, -1
	s_cmp_gt_u32 s80, 1
	v_cmp_le_i32_e32 vcc, s95, v8
	s_cselect_b64 s[34:35], -1, 0
	s_mov_b64 s[30:31], 0
	s_mov_b64 s[20:21], 0
	s_and_saveexec_b64 s[0:1], vcc
	s_xor_b64 s[2:3], exec, s[0:1]
	s_cbranch_execz .LBB71_466
; %bb.1:
	s_load_dwordx2 s[56:57], s[28:29], 0xc4
	s_load_dwordx4 s[12:15], s[28:29], 0x108
	s_cmp_lg_u32 s33, 0
	s_cselect_b64 s[64:65], -1, 0
	s_add_u32 s60, s28, 0xc4
	s_addc_u32 s61, s29, 0
	s_min_u32 s62, s80, 15
	s_cmp_gt_u32 s33, 1
	s_cselect_b64 s[58:59], -1, 0
	s_waitcnt lgkmcnt(0)
	s_lshr_b32 s10, s14, 23
	s_bfe_u32 s6, s14, 0x80017
	s_cmpk_eq_i32 s6, 0xff
	s_cselect_b64 s[84:85], -1, 0
	s_bitcmp1_b32 s14, 22
	s_cselect_b64 s[4:5], -1, 0
	s_and_b32 s7, s14, 0x3fffff
	s_or_b32 s6, s6, s7
	v_trunc_f32_e32 v4, s14
	s_cmp_lg_u32 s6, 0
	v_mul_f32_e32 v0, 0x2f800000, v4
	s_cselect_b64 s[6:7], -1, 0
	v_floor_f32_e32 v0, v0
	v_mov_b32_e32 v1, v4
	s_and_b64 s[4:5], s[4:5], s[6:7]
	v_cvt_u32_f32_e32 v7, v0
	v_fmac_f32_e32 v1, 0xcf800000, v0
	v_cndmask_b32_e64 v0, 0, 1, s[4:5]
	s_and_b32 s4, s14, 0x7fffffff
	s_cmp_lt_u32 s4, 0x43800000
	s_cselect_b64 s[52:53], -1, 0
	s_cmp_gt_u32 s4, 0x3bffffff
	v_add_u32_e32 v16, s10, v0
	s_cselect_b64 s[50:51], -1, 0
	s_bfe_u32 s5, s14, 0x10014
	v_mov_b32_e32 v0, 0x46000000
	s_add_i32 s5, s14, s5
	v_add_f32_e64 v0, |s14|, v0
	s_add_i32 s6, s5, 0x487ffff
	v_readfirstlane_b32 s92, v0
	s_lshr_b32 s1, s6, 20
	s_and_b32 s6, s92, 0xff
	s_cmp_lg_u32 s6, 0
	s_cselect_b64 s[54:55], -1, 0
	s_lshr_b32 s6, s14, 24
	s_and_b32 s81, s6, 0x80
	s_cmp_gt_u32 s4, 0x477fffff
	s_cselect_b64 s[36:37], -1, 0
	s_cmp_lt_u32 s4, 0x47800000
	s_cselect_b64 s[46:47], -1, 0
	s_cmp_gt_u32 s4, 0x37ffffff
	s_cselect_b64 s[44:45], -1, 0
	s_bfe_u32 s6, s14, 0x10015
	v_mov_b32_e32 v0, 0x42800000
	s_add_i32 s6, s14, s6
	v_add_f32_e64 v0, |s14|, v0
	s_add_i32 s7, s6, 0x88fffff
	v_readfirstlane_b32 s90, v0
	s_lshr_b32 s86, s7, 21
	s_and_b32 s7, s90, 0xff
	s_cmp_lg_u32 s7, 0
	s_cselect_b64 s[48:49], -1, 0
	s_cmp_gt_u32 s4, 0x43efffff
	s_cselect_b64 s[40:41], -1, 0
	s_cmp_lt_u32 s4, 0x3c800000
	s_cselect_b64 s[42:43], -1, 0
	s_add_i32 s5, s5, 0x407ffff
	s_lshr_b32 s7, s5, 20
	s_and_b32 s5, s5, 0xff00000
	s_cmp_lg_u32 s5, 0x7f00000
	s_cselect_b32 s87, s7, 0x7e
	s_cmp_lt_u32 s4, 0x38800000
	s_cselect_b64 s[38:39], -1, 0
	s_add_i32 s6, s6, 0x80fffff
	s_lshr_b32 s83, s6, 21
	s_cmp_gt_u32 s4, 0x7f800000
	s_movk_i32 s4, 0x7f
	s_cselect_b32 s89, s4, 0x7e
	s_movk_i32 s4, 0x7c
	s_cselect_b32 s93, 0x7f, s4
	s_bfe_u32 s4, s14, 0x10010
	s_add_i32 s4, s14, s4
	s_addk_i32 s4, 0x7fff
	s_lshr_b32 s6, s4, 16
	v_cmp_o_f32_e64 s[4:5], s14, s14
	s_mov_b32 s8, 0x2f800000
	s_and_b64 s[4:5], s[4:5], exec
	s_cselect_b32 s82, s6, 0x7fc0
	s_or_b32 s4, s14, s15
	v_mul_f32_e64 v8, |v4|, s8
	s_mov_b32 s9, 0xcf800000
	s_bitset0_b32 s4, 31
	v_floor_f32_e32 v8, v8
	s_cmp_lg_u32 s4, 0
	v_cvt_f16_f32_e32 v11, s14
	v_cvt_f16_f32_sdwa v5, s15 dst_sel:WORD_1 dst_unused:UNUSED_PAD src0_sel:DWORD
	v_fma_f32 v9, v8, s9, |v4|
	v_mov_b32_e32 v0, 0x46800000
	s_cselect_b64 s[4:5], -1, 0
	v_cvt_u32_f32_e32 v9, v9
	v_add_f32_e64 v0, |s14|, v0
	v_cndmask_b32_e64 v14, 0, 1, s[4:5]
	s_bfe_u32 s4, s15, 0x10010
	v_cvt_u32_f32_e32 v8, v8
	v_readfirstlane_b32 s88, v0
	v_mov_b32_e32 v0, 0x43000000
	s_add_i32 s4, s15, s4
	s_load_dword s0, s[28:29], 0x118
	v_add_f32_e64 v0, |s14|, v0
	s_addk_i32 s4, 0x7fff
	v_or_b32_e32 v13, v5, v11
	v_ashrrev_i32_e32 v5, 31, v4
	s_load_dwordx2 s[78:79], s[28:29], 0x14
	s_load_dwordx4 s[24:27], s[28:29], 0x4
	v_cvt_u32_f32_e32 v6, v1
	v_cvt_u32_f32_e32 v15, s14
	v_readfirstlane_b32 s91, v0
	v_cvt_f64_f32_e32 v[0:1], s14
	v_cvt_f64_f32_e32 v[2:3], s15
	s_and_b32 s6, s4, 0xffff0000
	v_cmp_o_f32_e64 s[4:5], s15, s15
	v_xor_b32_e32 v4, v9, v5
	v_cvt_i32_f32_e32 v10, s14
	s_and_b64 s[4:5], s[4:5], exec
	v_xor_b32_e32 v8, v8, v5
	v_sub_co_u32_e32 v4, vcc, v4, v5
	s_cselect_b32 s4, s6, 0x7fc00000
	v_subb_co_u32_e32 v5, vcc, v8, v5, vcc
	s_or_b32 s94, s4, s82
	v_cmp_gt_i32_e32 vcc, s95, v12
	s_mov_b64 s[6:7], -1
	s_mov_b64 s[72:73], 0
	s_mov_b64 s[66:67], 0
	s_and_saveexec_b64 s[68:69], vcc
	s_cbranch_execz .LBB71_115
; %bb.2:
	s_andn2_b64 vcc, exec, s[34:35]
	s_cbranch_vccnz .LBB71_8
; %bb.3:
	s_andn2_b64 vcc, exec, s[64:65]
	s_cbranch_vccnz .LBB71_9
; %bb.4:
	s_add_i32 s74, s62, 1
	s_cmp_eq_u32 s80, 2
	s_cbranch_scc1 .LBB71_10
; %bb.5:
	s_waitcnt lgkmcnt(0)
	s_mov_b64 s[16:17], s[24:25]
	s_mov_b64 s[18:19], s[26:27]
	s_and_b32 s63, s74, 28
	s_mov_b32 s75, 0
	v_mov_b32_e32 v8, 0
	s_mov_b64 s[66:67], s[28:29]
	s_mov_b64 s[70:71], s[60:61]
	v_mov_b32_e32 v9, v12
.LBB71_6:                               ; =>This Inner Loop Header: Depth=1
	s_load_dwordx8 s[4:11], s[66:67], 0x4
	s_load_dwordx4 s[20:23], s[66:67], 0x24
	s_load_dwordx4 s[24:27], s[70:71], 0x0
	s_add_u32 s66, s66, 48
	s_addc_u32 s67, s67, 0
	s_waitcnt lgkmcnt(0)
	v_mul_hi_u32 v17, s5, v9
	s_add_i32 s75, s75, 4
	s_add_u32 s70, s70, 16
	s_addc_u32 s71, s71, 0
	v_add_u32_e32 v17, v9, v17
	v_lshrrev_b32_e32 v17, s6, v17
	v_mul_lo_u32 v18, v17, s4
	v_mul_hi_u32 v19, s8, v17
	s_cmp_lg_u32 s63, s75
	v_sub_u32_e32 v9, v9, v18
	v_add_u32_e32 v18, v17, v19
	v_lshrrev_b32_e32 v18, s9, v18
	v_mul_lo_u32 v19, v9, s24
	v_mul_hi_u32 v9, s11, v18
	v_mul_lo_u32 v21, v18, s7
	v_add_u32_e32 v9, v18, v9
	v_lshrrev_b32_e32 v20, s20, v9
	v_mul_hi_u32 v9, s22, v20
	v_sub_u32_e32 v17, v17, v21
	v_mul_lo_u32 v21, v20, s10
	v_mul_lo_u32 v17, v17, s25
	v_add_u32_e32 v9, v20, v9
	v_lshrrev_b32_e32 v9, s23, v9
	v_mul_lo_u32 v22, v9, s21
	v_sub_u32_e32 v18, v18, v21
	v_mul_lo_u32 v18, v18, s26
	v_add3_u32 v8, v19, v8, v17
	v_sub_u32_e32 v20, v20, v22
	v_mul_lo_u32 v20, v20, s27
	v_add3_u32 v8, v18, v8, v20
	s_cbranch_scc1 .LBB71_6
; %bb.7:
	s_mov_b64 s[26:27], s[18:19]
	s_mov_b64 s[24:25], s[16:17]
	s_branch .LBB71_11
.LBB71_8:
                                        ; implicit-def: $vgpr8
	s_branch .LBB71_15
.LBB71_9:
	v_mov_b32_e32 v8, 0
	s_branch .LBB71_14
.LBB71_10:
	v_mov_b32_e32 v8, 0
	s_mov_b32 s63, 0
	v_mov_b32_e32 v9, v12
.LBB71_11:
	s_and_b32 s8, s74, 3
	s_cmp_eq_u32 s8, 0
	s_cbranch_scc1 .LBB71_14
; %bb.12:
	s_lshl_b32 s4, s63, 2
	s_add_u32 s4, s28, s4
	s_addc_u32 s5, s29, 0
	s_add_u32 s4, s4, 0xc4
	s_addc_u32 s5, s5, 0
	s_mul_i32 s6, s63, 12
	s_add_u32 s6, s28, s6
	s_addc_u32 s7, s29, 0
.LBB71_13:                              ; =>This Inner Loop Header: Depth=1
	s_load_dwordx2 s[10:11], s[6:7], 0x4
	s_load_dword s9, s[6:7], 0xc
	s_add_u32 s6, s6, 12
	s_addc_u32 s7, s7, 0
	s_waitcnt lgkmcnt(0)
	v_mul_hi_u32 v17, s11, v9
	s_load_dword s11, s[4:5], 0x0
	s_add_u32 s4, s4, 4
	s_addc_u32 s5, s5, 0
	v_add_u32_e32 v17, v9, v17
	v_lshrrev_b32_e32 v17, s9, v17
	v_mul_lo_u32 v18, v17, s10
	s_add_i32 s8, s8, -1
	s_cmp_lg_u32 s8, 0
	v_sub_u32_e32 v9, v9, v18
	s_waitcnt lgkmcnt(0)
	v_mad_u64_u32 v[8:9], s[10:11], v9, s11, v[8:9]
	v_mov_b32_e32 v9, v17
	s_cbranch_scc1 .LBB71_13
.LBB71_14:
	s_cbranch_execnz .LBB71_17
.LBB71_15:
	s_waitcnt lgkmcnt(0)
	v_mul_hi_u32 v8, s25, v12
	s_andn2_b64 vcc, exec, s[58:59]
	v_add_u32_e32 v8, v12, v8
	v_lshrrev_b32_e32 v9, s26, v8
	v_mul_lo_u32 v8, v9, s24
	v_sub_u32_e32 v8, v12, v8
	v_mul_lo_u32 v8, v8, s56
	s_cbranch_vccnz .LBB71_17
; %bb.16:
	v_mul_hi_u32 v17, s78, v9
	v_add_u32_e32 v17, v9, v17
	v_lshrrev_b32_e32 v17, s79, v17
	v_mul_lo_u32 v17, v17, s27
	v_sub_u32_e32 v9, v9, v17
	v_mad_u64_u32 v[8:9], s[4:5], v9, s57, v[8:9]
.LBB71_17:
	v_mov_b32_e32 v9, s13
	s_waitcnt lgkmcnt(0)
	s_and_b32 s10, s0, 0xff
	v_add_co_u32_e32 v8, vcc, s12, v8
	s_cmp_lt_i32 s10, 11
	v_addc_co_u32_e32 v9, vcc, 0, v9, vcc
	s_cbranch_scc1 .LBB71_24
; %bb.18:
	s_and_b32 s11, 0xffff, s10
	s_cmp_gt_i32 s11, 25
	s_cbranch_scc0 .LBB71_27
; %bb.19:
	s_cmp_gt_i32 s11, 28
	s_cbranch_scc0 .LBB71_28
; %bb.20:
	s_cmp_gt_i32 s11, 43
	s_cbranch_scc0 .LBB71_29
; %bb.21:
	s_cmp_gt_i32 s11, 45
	s_cbranch_scc0 .LBB71_30
; %bb.22:
	s_mov_b64 s[8:9], 0
	s_mov_b64 s[4:5], -1
	s_cmp_eq_u32 s11, 46
	s_mov_b64 s[6:7], 0
	s_cbranch_scc0 .LBB71_31
; %bb.23:
	v_mov_b32_e32 v17, s94
	global_store_dword v[8:9], v17, off
	s_mov_b64 s[6:7], -1
	s_mov_b64 s[4:5], 0
	s_branch .LBB71_31
.LBB71_24:
	s_mov_b64 s[4:5], 0
	s_mov_b64 s[6:7], 0
	s_cbranch_execnz .LBB71_75
.LBB71_25:
	s_andn2_b64 vcc, exec, s[6:7]
	s_cbranch_vccnz .LBB71_113
.LBB71_26:
	v_add_u32_e32 v12, 0x80, v12
	s_mov_b64 s[6:7], -1
	s_branch .LBB71_114
.LBB71_27:
	s_mov_b64 s[4:5], 0
	s_mov_b64 s[6:7], 0
	s_cbranch_execnz .LBB71_53
	s_branch .LBB71_74
.LBB71_28:
	s_mov_b64 s[8:9], -1
	s_mov_b64 s[4:5], 0
	s_mov_b64 s[6:7], 0
	s_branch .LBB71_39
.LBB71_29:
	s_mov_b64 s[8:9], -1
	s_mov_b64 s[4:5], 0
	s_mov_b64 s[6:7], 0
	s_branch .LBB71_35
.LBB71_30:
	s_mov_b64 s[8:9], -1
	s_mov_b64 s[4:5], 0
	s_mov_b64 s[6:7], 0
.LBB71_31:
	s_and_b64 vcc, exec, s[8:9]
	s_cbranch_vccz .LBB71_34
; %bb.32:
	s_cmp_eq_u32 s11, 44
	s_mov_b64 s[4:5], -1
	s_cbranch_scc0 .LBB71_34
; %bb.33:
	v_mov_b32_e32 v17, 0xffff
	v_cndmask_b32_e64 v17, v16, v17, s[84:85]
	global_store_byte v[8:9], v17, off
	s_mov_b64 s[6:7], -1
	s_mov_b64 s[4:5], 0
.LBB71_34:
	s_mov_b64 s[8:9], 0
.LBB71_35:
	s_and_b64 vcc, exec, s[8:9]
	s_cbranch_vccz .LBB71_38
; %bb.36:
	s_cmp_eq_u32 s11, 29
	s_mov_b64 s[4:5], -1
	s_cbranch_scc0 .LBB71_38
; %bb.37:
	global_store_dwordx2 v[8:9], v[6:7], off
	s_mov_b64 s[6:7], -1
	s_mov_b64 s[4:5], 0
.LBB71_38:
	s_mov_b64 s[8:9], 0
.LBB71_39:
	s_and_b64 vcc, exec, s[8:9]
	s_cbranch_vccz .LBB71_52
; %bb.40:
	s_cmp_lt_i32 s11, 27
	s_mov_b64 s[6:7], -1
	s_cbranch_scc1 .LBB71_46
; %bb.41:
	s_cmp_gt_i32 s11, 27
	s_cbranch_scc0 .LBB71_43
; %bb.42:
	s_mov_b64 s[6:7], 0
	global_store_dword v[8:9], v15, off
.LBB71_43:
	s_andn2_b64 vcc, exec, s[6:7]
	s_cbranch_vccnz .LBB71_45
; %bb.44:
	global_store_short v[8:9], v15, off
.LBB71_45:
	s_mov_b64 s[6:7], 0
.LBB71_46:
	s_andn2_b64 vcc, exec, s[6:7]
	s_cbranch_vccnz .LBB71_51
; %bb.47:
	s_andn2_b64 vcc, exec, s[52:53]
	s_movk_i32 s6, 0x80
	s_cbranch_vccnz .LBB71_50
; %bb.48:
	s_or_b64 s[6:7], s[50:51], s[54:55]
	s_andn2_b64 vcc, exec, s[6:7]
	s_mov_b32 s6, 0
	s_cbranch_vccnz .LBB71_50
; %bb.49:
	s_and_b64 s[6:7], s[50:51], exec
	s_cselect_b32 s6, s1, s92
	s_or_b32 s6, s6, s81
.LBB71_50:
	v_mov_b32_e32 v17, s6
	global_store_byte v[8:9], v17, off
.LBB71_51:
	s_mov_b64 s[6:7], -1
.LBB71_52:
	s_branch .LBB71_74
.LBB71_53:
	s_cmp_gt_i32 s11, 22
	s_mov_b64 s[8:9], -1
	s_cbranch_scc0 .LBB71_66
; %bb.54:
	s_cmp_lt_i32 s11, 24
	s_mov_b64 s[6:7], -1
	s_cbranch_scc1 .LBB71_63
; %bb.55:
	s_cmp_gt_i32 s11, 24
	s_cbranch_scc0 .LBB71_60
; %bb.56:
	s_andn2_b64 vcc, exec, s[46:47]
	s_movk_i32 s6, 0x80
	s_cbranch_vccnz .LBB71_59
; %bb.57:
	s_or_b64 s[6:7], s[44:45], s[48:49]
	s_andn2_b64 vcc, exec, s[6:7]
	s_mov_b32 s6, 0
	s_cbranch_vccnz .LBB71_59
; %bb.58:
	s_and_b64 s[6:7], s[44:45], exec
	s_cselect_b32 s6, s86, s90
	s_or_b32 s6, s6, s81
.LBB71_59:
	v_mov_b32_e32 v17, s6
	s_mov_b64 s[6:7], 0
	global_store_byte v[8:9], v17, off
.LBB71_60:
	s_and_b64 vcc, exec, s[6:7]
	s_cbranch_vccz .LBB71_62
; %bb.61:
	s_and_b64 s[6:7], s[42:43], exec
	s_cselect_b32 s8, s88, s87
	s_and_b64 s[6:7], s[40:41], exec
	s_cselect_b32 s6, s89, s8
	s_or_b32 s6, s6, s81
	v_mov_b32_e32 v17, s6
	global_store_byte v[8:9], v17, off
.LBB71_62:
	s_mov_b64 s[6:7], 0
.LBB71_63:
	s_andn2_b64 vcc, exec, s[6:7]
	s_cbranch_vccnz .LBB71_65
; %bb.64:
	s_and_b64 s[6:7], s[38:39], exec
	s_cselect_b32 s8, s91, s83
	s_and_b64 s[6:7], s[36:37], exec
	s_cselect_b32 s6, s93, s8
	s_or_b32 s6, s6, s81
	v_mov_b32_e32 v17, s6
	global_store_byte v[8:9], v17, off
.LBB71_65:
	s_mov_b64 s[8:9], 0
	s_mov_b64 s[6:7], -1
.LBB71_66:
	s_andn2_b64 vcc, exec, s[8:9]
	s_cbranch_vccnz .LBB71_74
; %bb.67:
	s_cmp_gt_i32 s11, 14
	s_mov_b64 s[8:9], -1
	s_cbranch_scc0 .LBB71_71
; %bb.68:
	s_cmp_eq_u32 s11, 15
	s_mov_b64 s[4:5], -1
	s_cbranch_scc0 .LBB71_70
; %bb.69:
	v_mov_b32_e32 v17, s82
	global_store_short v[8:9], v17, off
	s_mov_b64 s[6:7], -1
	s_mov_b64 s[4:5], 0
.LBB71_70:
	s_mov_b64 s[8:9], 0
.LBB71_71:
	s_and_b64 vcc, exec, s[8:9]
	s_cbranch_vccz .LBB71_74
; %bb.72:
	s_cmp_eq_u32 s11, 11
	s_mov_b64 s[4:5], -1
	s_cbranch_scc0 .LBB71_74
; %bb.73:
	s_mov_b64 s[6:7], -1
	s_mov_b64 s[4:5], 0
	global_store_byte v[8:9], v14, off
.LBB71_74:
	s_branch .LBB71_25
.LBB71_75:
	s_and_b32 s8, 0xffff, s10
	s_cmp_lt_i32 s8, 5
	s_mov_b64 s[6:7], -1
	s_cbranch_scc1 .LBB71_96
; %bb.76:
	s_cmp_lt_i32 s8, 8
	s_cbranch_scc1 .LBB71_86
; %bb.77:
	s_cmp_lt_i32 s8, 9
	s_cbranch_scc1 .LBB71_83
; %bb.78:
	s_cmp_gt_i32 s8, 9
	s_cbranch_scc0 .LBB71_80
; %bb.79:
	global_store_dwordx4 v[8:9], v[0:3], off
	s_mov_b64 s[6:7], 0
.LBB71_80:
	s_andn2_b64 vcc, exec, s[6:7]
	s_cbranch_vccnz .LBB71_82
; %bb.81:
	v_mov_b32_e32 v17, s14
	v_mov_b32_e32 v18, s15
	global_store_dwordx2 v[8:9], v[17:18], off
.LBB71_82:
	s_mov_b64 s[6:7], 0
.LBB71_83:
	s_andn2_b64 vcc, exec, s[6:7]
	s_cbranch_vccnz .LBB71_85
; %bb.84:
	global_store_dword v[8:9], v13, off
.LBB71_85:
	s_mov_b64 s[6:7], 0
.LBB71_86:
	s_andn2_b64 vcc, exec, s[6:7]
	s_cbranch_vccnz .LBB71_95
; %bb.87:
	s_cmp_lt_i32 s8, 6
	s_mov_b64 s[6:7], -1
	s_cbranch_scc1 .LBB71_93
; %bb.88:
	s_cmp_gt_i32 s8, 6
	s_cbranch_scc0 .LBB71_90
; %bb.89:
	global_store_dwordx2 v[8:9], v[0:1], off
	s_mov_b64 s[6:7], 0
.LBB71_90:
	s_andn2_b64 vcc, exec, s[6:7]
	s_cbranch_vccnz .LBB71_92
; %bb.91:
	v_mov_b32_e32 v17, s14
	global_store_dword v[8:9], v17, off
.LBB71_92:
	s_mov_b64 s[6:7], 0
.LBB71_93:
	s_andn2_b64 vcc, exec, s[6:7]
	s_cbranch_vccnz .LBB71_95
; %bb.94:
	global_store_short v[8:9], v11, off
.LBB71_95:
	s_mov_b64 s[6:7], 0
.LBB71_96:
	s_andn2_b64 vcc, exec, s[6:7]
	s_cbranch_vccnz .LBB71_112
; %bb.97:
	s_cmp_lt_i32 s8, 2
	s_mov_b64 s[6:7], -1
	s_cbranch_scc1 .LBB71_107
; %bb.98:
	s_cmp_lt_i32 s8, 3
	s_cbranch_scc1 .LBB71_104
; %bb.99:
	s_cmp_gt_i32 s8, 3
	s_cbranch_scc0 .LBB71_101
; %bb.100:
	global_store_dwordx2 v[8:9], v[4:5], off
	s_mov_b64 s[6:7], 0
.LBB71_101:
	s_andn2_b64 vcc, exec, s[6:7]
	s_cbranch_vccnz .LBB71_103
; %bb.102:
	global_store_dword v[8:9], v10, off
.LBB71_103:
	s_mov_b64 s[6:7], 0
.LBB71_104:
	s_andn2_b64 vcc, exec, s[6:7]
	s_cbranch_vccnz .LBB71_106
; %bb.105:
	global_store_short v[8:9], v10, off
.LBB71_106:
	s_mov_b64 s[6:7], 0
.LBB71_107:
	s_andn2_b64 vcc, exec, s[6:7]
	s_cbranch_vccnz .LBB71_112
; %bb.108:
	s_cmp_gt_i32 s8, 0
	s_mov_b64 s[6:7], -1
	s_cbranch_scc0 .LBB71_110
; %bb.109:
	global_store_byte v[8:9], v10, off
	s_mov_b64 s[6:7], 0
.LBB71_110:
	s_andn2_b64 vcc, exec, s[6:7]
	s_cbranch_vccnz .LBB71_112
; %bb.111:
	global_store_byte v[8:9], v4, off
.LBB71_112:
	s_branch .LBB71_26
.LBB71_113:
	s_mov_b64 s[6:7], 0
                                        ; implicit-def: $vgpr12
.LBB71_114:
	s_and_b64 s[66:67], s[4:5], exec
	s_orn2_b64 s[6:7], s[6:7], exec
.LBB71_115:
	s_or_b64 exec, exec, s[68:69]
	s_mov_b64 s[4:5], 0
                                        ; implicit-def: $sgpr20
                                        ; implicit-def: $vgpr8_vgpr9
	s_and_saveexec_b64 s[68:69], s[6:7]
	s_cbranch_execz .LBB71_123
; %bb.116:
	v_cmp_gt_i32_e32 vcc, s95, v12
	s_mov_b64 s[4:5], -1
	s_mov_b64 s[70:71], s[66:67]
	s_and_saveexec_b64 s[72:73], vcc
	s_cbranch_execz .LBB71_234
; %bb.117:
	s_andn2_b64 vcc, exec, s[34:35]
	s_cbranch_vccnz .LBB71_126
; %bb.118:
	s_andn2_b64 vcc, exec, s[64:65]
	s_cbranch_vccnz .LBB71_127
; %bb.119:
	s_add_i32 s76, s62, 1
	s_cmp_eq_u32 s80, 2
	s_cbranch_scc1 .LBB71_128
; %bb.120:
	s_waitcnt lgkmcnt(0)
	s_mov_b64 s[16:17], s[24:25]
	s_mov_b64 s[18:19], s[26:27]
	s_and_b32 s63, s76, 28
	s_mov_b32 s77, 0
	v_mov_b32_e32 v8, 0
	s_mov_b64 s[70:71], s[28:29]
	s_mov_b64 s[74:75], s[60:61]
	v_mov_b32_e32 v9, v12
.LBB71_121:                             ; =>This Inner Loop Header: Depth=1
	s_load_dwordx8 s[4:11], s[70:71], 0x4
	s_load_dwordx4 s[20:23], s[70:71], 0x24
	s_load_dwordx4 s[24:27], s[74:75], 0x0
	s_add_u32 s70, s70, 48
	s_addc_u32 s71, s71, 0
	s_waitcnt lgkmcnt(0)
	v_mul_hi_u32 v17, s5, v9
	s_add_i32 s77, s77, 4
	s_add_u32 s74, s74, 16
	s_addc_u32 s75, s75, 0
	v_add_u32_e32 v17, v9, v17
	v_lshrrev_b32_e32 v17, s6, v17
	v_mul_lo_u32 v18, v17, s4
	v_mul_hi_u32 v19, s8, v17
	s_cmp_eq_u32 s63, s77
	v_sub_u32_e32 v9, v9, v18
	v_add_u32_e32 v18, v17, v19
	v_lshrrev_b32_e32 v18, s9, v18
	v_mul_lo_u32 v19, v9, s24
	v_mul_hi_u32 v9, s11, v18
	v_mul_lo_u32 v21, v18, s7
	v_add_u32_e32 v9, v18, v9
	v_lshrrev_b32_e32 v20, s20, v9
	v_mul_hi_u32 v9, s22, v20
	v_sub_u32_e32 v17, v17, v21
	v_mul_lo_u32 v21, v20, s10
	v_mul_lo_u32 v17, v17, s25
	v_add_u32_e32 v9, v20, v9
	v_lshrrev_b32_e32 v9, s23, v9
	v_mul_lo_u32 v22, v9, s21
	v_sub_u32_e32 v18, v18, v21
	v_mul_lo_u32 v18, v18, s26
	v_add3_u32 v8, v19, v8, v17
	v_sub_u32_e32 v20, v20, v22
	v_mul_lo_u32 v20, v20, s27
	v_add3_u32 v8, v18, v8, v20
	s_cbranch_scc0 .LBB71_121
; %bb.122:
	s_mov_b64 s[26:27], s[18:19]
	s_mov_b64 s[24:25], s[16:17]
	s_branch .LBB71_129
.LBB71_123:
	s_or_b64 exec, exec, s[68:69]
	s_waitcnt lgkmcnt(0)
	s_mov_b64 s[0:1], 0
	s_and_saveexec_b64 s[6:7], s[66:67]
	s_cbranch_execnz .LBB71_426
.LBB71_124:
	s_or_b64 exec, exec, s[6:7]
	s_and_saveexec_b64 s[6:7], s[72:73]
	s_xor_b64 s[6:7], exec, s[6:7]
	s_cbranch_execz .LBB71_427
.LBB71_125:
	global_store_byte v[8:9], v14, off
	s_or_b64 exec, exec, s[6:7]
	s_and_saveexec_b64 s[6:7], s[4:5]
	s_xor_b64 s[4:5], exec, s[6:7]
	s_cbranch_execz .LBB71_465
	s_branch .LBB71_428
.LBB71_126:
                                        ; implicit-def: $vgpr8
	s_andn2_b64 vcc, exec, s[4:5]
	s_cbranch_vccz .LBB71_133
	s_branch .LBB71_135
.LBB71_127:
	v_mov_b32_e32 v8, 0
	s_branch .LBB71_132
.LBB71_128:
	v_mov_b32_e32 v8, 0
	s_mov_b32 s63, 0
	v_mov_b32_e32 v9, v12
.LBB71_129:
	s_and_b32 s8, s76, 3
	s_cmp_eq_u32 s8, 0
	s_cbranch_scc1 .LBB71_132
; %bb.130:
	s_lshl_b32 s4, s63, 2
	s_add_u32 s4, s28, s4
	s_addc_u32 s5, s29, 0
	s_add_u32 s4, s4, 0xc4
	s_addc_u32 s5, s5, 0
	s_mul_i32 s6, s63, 12
	s_add_u32 s6, s28, s6
	s_addc_u32 s7, s29, 0
.LBB71_131:                             ; =>This Inner Loop Header: Depth=1
	s_load_dwordx2 s[10:11], s[6:7], 0x4
	s_load_dword s9, s[6:7], 0xc
	s_add_u32 s6, s6, 12
	s_addc_u32 s7, s7, 0
	s_waitcnt lgkmcnt(0)
	v_mul_hi_u32 v17, s11, v9
	s_load_dword s11, s[4:5], 0x0
	s_add_u32 s4, s4, 4
	s_addc_u32 s5, s5, 0
	v_add_u32_e32 v17, v9, v17
	v_lshrrev_b32_e32 v17, s9, v17
	v_mul_lo_u32 v18, v17, s10
	s_add_i32 s8, s8, -1
	s_cmp_lg_u32 s8, 0
	v_sub_u32_e32 v9, v9, v18
	s_waitcnt lgkmcnt(0)
	v_mad_u64_u32 v[8:9], s[10:11], v9, s11, v[8:9]
	v_mov_b32_e32 v9, v17
	s_cbranch_scc1 .LBB71_131
.LBB71_132:
	s_cbranch_execnz .LBB71_135
.LBB71_133:
	s_waitcnt lgkmcnt(0)
	v_mul_hi_u32 v8, s25, v12
	s_andn2_b64 vcc, exec, s[58:59]
	v_add_u32_e32 v8, v12, v8
	v_lshrrev_b32_e32 v9, s26, v8
	v_mul_lo_u32 v8, v9, s24
	v_sub_u32_e32 v8, v12, v8
	v_mul_lo_u32 v8, v8, s56
	s_cbranch_vccnz .LBB71_135
; %bb.134:
	v_mul_hi_u32 v17, s78, v9
	v_add_u32_e32 v17, v9, v17
	v_lshrrev_b32_e32 v17, s79, v17
	v_mul_lo_u32 v17, v17, s27
	v_sub_u32_e32 v9, v9, v17
	v_mad_u64_u32 v[8:9], s[4:5], v9, s57, v[8:9]
.LBB71_135:
	v_mov_b32_e32 v9, s13
	s_waitcnt lgkmcnt(0)
	s_and_b32 s10, s0, 0xff
	v_add_co_u32_e32 v8, vcc, s12, v8
	s_cmp_lt_i32 s10, 11
	v_addc_co_u32_e32 v9, vcc, 0, v9, vcc
	s_cbranch_scc1 .LBB71_142
; %bb.136:
	s_and_b32 s11, 0xffff, s10
	s_cmp_gt_i32 s11, 25
	s_cbranch_scc0 .LBB71_145
; %bb.137:
	s_cmp_gt_i32 s11, 28
	s_cbranch_scc0 .LBB71_146
; %bb.138:
	;; [unrolled: 3-line block ×4, first 2 shown]
	s_mov_b64 s[8:9], 0
	s_mov_b64 s[4:5], -1
	s_cmp_eq_u32 s11, 46
	s_mov_b64 s[6:7], 0
	s_cbranch_scc0 .LBB71_149
; %bb.141:
	v_mov_b32_e32 v17, s94
	global_store_dword v[8:9], v17, off
	s_mov_b64 s[6:7], -1
	s_mov_b64 s[4:5], 0
	s_branch .LBB71_149
.LBB71_142:
	s_mov_b64 s[6:7], 0
	s_mov_b64 s[4:5], s[66:67]
	s_cbranch_execnz .LBB71_194
.LBB71_143:
	s_andn2_b64 vcc, exec, s[6:7]
	s_cbranch_vccnz .LBB71_232
.LBB71_144:
	v_add_u32_e32 v12, 0x80, v12
	s_mov_b64 s[6:7], -1
	s_branch .LBB71_233
.LBB71_145:
	s_mov_b64 s[8:9], -1
	s_mov_b64 s[6:7], 0
	s_mov_b64 s[4:5], s[66:67]
	s_branch .LBB71_171
.LBB71_146:
	s_mov_b64 s[8:9], -1
	s_mov_b64 s[6:7], 0
	s_mov_b64 s[4:5], s[66:67]
	s_branch .LBB71_157
.LBB71_147:
	s_mov_b64 s[8:9], -1
	s_mov_b64 s[6:7], 0
	s_mov_b64 s[4:5], s[66:67]
	s_branch .LBB71_153
.LBB71_148:
	s_mov_b64 s[8:9], -1
	s_mov_b64 s[6:7], 0
	s_mov_b64 s[4:5], s[66:67]
.LBB71_149:
	s_and_b64 vcc, exec, s[8:9]
	s_cbranch_vccz .LBB71_152
; %bb.150:
	s_cmp_eq_u32 s11, 44
	s_mov_b64 s[4:5], -1
	s_cbranch_scc0 .LBB71_152
; %bb.151:
	v_mov_b32_e32 v17, 0xffff
	v_cndmask_b32_e64 v17, v16, v17, s[84:85]
	s_mov_b64 s[6:7], -1
	s_mov_b64 s[4:5], 0
	global_store_byte v[8:9], v17, off
.LBB71_152:
	s_mov_b64 s[8:9], 0
.LBB71_153:
	s_and_b64 vcc, exec, s[8:9]
	s_cbranch_vccz .LBB71_156
; %bb.154:
	s_cmp_eq_u32 s11, 29
	s_mov_b64 s[4:5], -1
	s_cbranch_scc0 .LBB71_156
; %bb.155:
	global_store_dwordx2 v[8:9], v[6:7], off
	s_mov_b64 s[6:7], -1
	s_mov_b64 s[4:5], 0
.LBB71_156:
	s_mov_b64 s[8:9], 0
.LBB71_157:
	s_and_b64 vcc, exec, s[8:9]
	s_cbranch_vccz .LBB71_170
; %bb.158:
	s_cmp_lt_i32 s11, 27
	s_mov_b64 s[6:7], -1
	s_cbranch_scc1 .LBB71_164
; %bb.159:
	s_cmp_gt_i32 s11, 27
	s_cbranch_scc0 .LBB71_161
; %bb.160:
	s_mov_b64 s[6:7], 0
	global_store_dword v[8:9], v15, off
.LBB71_161:
	s_andn2_b64 vcc, exec, s[6:7]
	s_cbranch_vccnz .LBB71_163
; %bb.162:
	global_store_short v[8:9], v15, off
.LBB71_163:
	s_mov_b64 s[6:7], 0
.LBB71_164:
	s_andn2_b64 vcc, exec, s[6:7]
	s_cbranch_vccnz .LBB71_169
; %bb.165:
	s_andn2_b64 vcc, exec, s[52:53]
	s_movk_i32 s6, 0x80
	s_cbranch_vccnz .LBB71_168
; %bb.166:
	s_or_b64 s[6:7], s[50:51], s[54:55]
	s_andn2_b64 vcc, exec, s[6:7]
	s_mov_b32 s6, 0
	s_cbranch_vccnz .LBB71_168
; %bb.167:
	s_and_b64 s[6:7], s[50:51], exec
	s_cselect_b32 s6, s1, s92
	s_or_b32 s6, s6, s81
.LBB71_168:
	v_mov_b32_e32 v17, s6
	global_store_byte v[8:9], v17, off
.LBB71_169:
	s_mov_b64 s[6:7], -1
.LBB71_170:
	s_mov_b64 s[8:9], 0
.LBB71_171:
	s_and_b64 vcc, exec, s[8:9]
	s_cbranch_vccz .LBB71_193
; %bb.172:
	s_cmp_gt_i32 s11, 22
	s_mov_b64 s[8:9], -1
	s_cbranch_scc0 .LBB71_185
; %bb.173:
	s_cmp_lt_i32 s11, 24
	s_mov_b64 s[6:7], -1
	s_cbranch_scc1 .LBB71_182
; %bb.174:
	s_cmp_gt_i32 s11, 24
	s_cbranch_scc0 .LBB71_179
; %bb.175:
	s_andn2_b64 vcc, exec, s[46:47]
	s_movk_i32 s6, 0x80
	s_cbranch_vccnz .LBB71_178
; %bb.176:
	s_or_b64 s[6:7], s[44:45], s[48:49]
	s_andn2_b64 vcc, exec, s[6:7]
	s_mov_b32 s6, 0
	s_cbranch_vccnz .LBB71_178
; %bb.177:
	s_and_b64 s[6:7], s[44:45], exec
	s_cselect_b32 s6, s86, s90
	s_or_b32 s6, s6, s81
.LBB71_178:
	v_mov_b32_e32 v17, s6
	s_mov_b64 s[6:7], 0
	global_store_byte v[8:9], v17, off
.LBB71_179:
	s_and_b64 vcc, exec, s[6:7]
	s_cbranch_vccz .LBB71_181
; %bb.180:
	s_and_b64 s[6:7], s[42:43], exec
	s_cselect_b32 s8, s88, s87
	s_and_b64 s[6:7], s[40:41], exec
	s_cselect_b32 s6, s89, s8
	s_or_b32 s6, s6, s81
	v_mov_b32_e32 v17, s6
	global_store_byte v[8:9], v17, off
.LBB71_181:
	s_mov_b64 s[6:7], 0
.LBB71_182:
	s_andn2_b64 vcc, exec, s[6:7]
	s_cbranch_vccnz .LBB71_184
; %bb.183:
	s_and_b64 s[6:7], s[38:39], exec
	s_cselect_b32 s8, s91, s83
	s_and_b64 s[6:7], s[36:37], exec
	s_cselect_b32 s6, s93, s8
	s_or_b32 s6, s6, s81
	v_mov_b32_e32 v17, s6
	global_store_byte v[8:9], v17, off
.LBB71_184:
	s_mov_b64 s[8:9], 0
	s_mov_b64 s[6:7], -1
.LBB71_185:
	s_andn2_b64 vcc, exec, s[8:9]
	s_cbranch_vccnz .LBB71_193
; %bb.186:
	s_cmp_gt_i32 s11, 14
	s_mov_b64 s[8:9], -1
	s_cbranch_scc0 .LBB71_190
; %bb.187:
	s_cmp_eq_u32 s11, 15
	s_mov_b64 s[4:5], -1
	s_cbranch_scc0 .LBB71_189
; %bb.188:
	v_mov_b32_e32 v17, s82
	global_store_short v[8:9], v17, off
	s_mov_b64 s[6:7], -1
	s_mov_b64 s[4:5], 0
.LBB71_189:
	s_mov_b64 s[8:9], 0
.LBB71_190:
	s_and_b64 vcc, exec, s[8:9]
	s_cbranch_vccz .LBB71_193
; %bb.191:
	s_cmp_eq_u32 s11, 11
	s_mov_b64 s[4:5], -1
	s_cbranch_scc0 .LBB71_193
; %bb.192:
	s_mov_b64 s[6:7], -1
	s_mov_b64 s[4:5], 0
	global_store_byte v[8:9], v14, off
.LBB71_193:
	s_branch .LBB71_143
.LBB71_194:
	s_and_b32 s8, 0xffff, s10
	s_cmp_lt_i32 s8, 5
	s_mov_b64 s[6:7], -1
	s_cbranch_scc1 .LBB71_215
; %bb.195:
	s_cmp_lt_i32 s8, 8
	s_cbranch_scc1 .LBB71_205
; %bb.196:
	s_cmp_lt_i32 s8, 9
	s_cbranch_scc1 .LBB71_202
; %bb.197:
	s_cmp_gt_i32 s8, 9
	s_cbranch_scc0 .LBB71_199
; %bb.198:
	s_mov_b64 s[6:7], 0
	global_store_dwordx4 v[8:9], v[0:3], off
.LBB71_199:
	s_andn2_b64 vcc, exec, s[6:7]
	s_cbranch_vccnz .LBB71_201
; %bb.200:
	v_mov_b32_e32 v17, s14
	v_mov_b32_e32 v18, s15
	global_store_dwordx2 v[8:9], v[17:18], off
.LBB71_201:
	s_mov_b64 s[6:7], 0
.LBB71_202:
	s_andn2_b64 vcc, exec, s[6:7]
	s_cbranch_vccnz .LBB71_204
; %bb.203:
	global_store_dword v[8:9], v13, off
.LBB71_204:
	s_mov_b64 s[6:7], 0
.LBB71_205:
	s_andn2_b64 vcc, exec, s[6:7]
	s_cbranch_vccnz .LBB71_214
; %bb.206:
	s_cmp_lt_i32 s8, 6
	s_mov_b64 s[6:7], -1
	s_cbranch_scc1 .LBB71_212
; %bb.207:
	s_cmp_gt_i32 s8, 6
	s_cbranch_scc0 .LBB71_209
; %bb.208:
	s_mov_b64 s[6:7], 0
	global_store_dwordx2 v[8:9], v[0:1], off
.LBB71_209:
	s_andn2_b64 vcc, exec, s[6:7]
	s_cbranch_vccnz .LBB71_211
; %bb.210:
	v_mov_b32_e32 v17, s14
	global_store_dword v[8:9], v17, off
.LBB71_211:
	s_mov_b64 s[6:7], 0
.LBB71_212:
	s_andn2_b64 vcc, exec, s[6:7]
	s_cbranch_vccnz .LBB71_214
; %bb.213:
	global_store_short v[8:9], v11, off
.LBB71_214:
	s_mov_b64 s[6:7], 0
.LBB71_215:
	s_andn2_b64 vcc, exec, s[6:7]
	s_cbranch_vccnz .LBB71_231
; %bb.216:
	s_cmp_lt_i32 s8, 2
	s_mov_b64 s[6:7], -1
	s_cbranch_scc1 .LBB71_226
; %bb.217:
	s_cmp_lt_i32 s8, 3
	s_cbranch_scc1 .LBB71_223
; %bb.218:
	s_cmp_gt_i32 s8, 3
	s_cbranch_scc0 .LBB71_220
; %bb.219:
	s_mov_b64 s[6:7], 0
	global_store_dwordx2 v[8:9], v[4:5], off
.LBB71_220:
	s_andn2_b64 vcc, exec, s[6:7]
	s_cbranch_vccnz .LBB71_222
; %bb.221:
	global_store_dword v[8:9], v10, off
.LBB71_222:
	s_mov_b64 s[6:7], 0
.LBB71_223:
	s_andn2_b64 vcc, exec, s[6:7]
	s_cbranch_vccnz .LBB71_225
; %bb.224:
	global_store_short v[8:9], v10, off
.LBB71_225:
	s_mov_b64 s[6:7], 0
.LBB71_226:
	s_andn2_b64 vcc, exec, s[6:7]
	s_cbranch_vccnz .LBB71_231
; %bb.227:
	s_cmp_gt_i32 s8, 0
	s_mov_b64 s[6:7], -1
	s_cbranch_scc0 .LBB71_229
; %bb.228:
	s_mov_b64 s[6:7], 0
	global_store_byte v[8:9], v10, off
.LBB71_229:
	s_andn2_b64 vcc, exec, s[6:7]
	s_cbranch_vccnz .LBB71_231
; %bb.230:
	global_store_byte v[8:9], v4, off
.LBB71_231:
	s_branch .LBB71_144
.LBB71_232:
	s_mov_b64 s[6:7], 0
                                        ; implicit-def: $vgpr12
.LBB71_233:
	s_andn2_b64 s[8:9], s[66:67], exec
	s_and_b64 s[4:5], s[4:5], exec
	s_or_b64 s[70:71], s[8:9], s[4:5]
	s_orn2_b64 s[4:5], s[6:7], exec
.LBB71_234:
	s_or_b64 exec, exec, s[72:73]
	s_mov_b64 s[6:7], 0
	s_mov_b64 s[8:9], 0
                                        ; implicit-def: $sgpr20
                                        ; implicit-def: $vgpr8_vgpr9
	s_and_saveexec_b64 s[72:73], s[4:5]
	s_cbranch_execz .LBB71_425
; %bb.235:
	v_cmp_gt_i32_e32 vcc, s95, v12
	s_mov_b64 s[6:7], -1
	s_mov_b64 s[76:77], s[70:71]
	s_and_saveexec_b64 s[74:75], vcc
	s_cbranch_execz .LBB71_352
; %bb.236:
	s_andn2_b64 vcc, exec, s[34:35]
	s_cbranch_vccnz .LBB71_242
; %bb.237:
	s_andn2_b64 vcc, exec, s[64:65]
	s_cbranch_vccnz .LBB71_243
; %bb.238:
	s_add_i32 vcc_lo, s62, 1
	s_cmp_eq_u32 s80, 2
	s_cbranch_scc1 .LBB71_244
; %bb.239:
                                        ; implicit-def: $vgpr23 : SGPR spill to VGPR lane
	s_waitcnt lgkmcnt(0)
	s_mov_b64 s[16:17], s[24:25]
	v_writelane_b32 v23, s52, 0
	s_mov_b64 s[18:19], s[26:27]
	v_writelane_b32 v23, s53, 1
	s_mov_b64 s[52:53], s[50:51]
	s_mov_b64 s[50:51], s[84:85]
	s_mov_b32 s0, s93
	s_mov_b32 s93, s91
	;; [unrolled: 1-line block ×4, first 2 shown]
	s_mov_b64 s[84:85], s[38:39]
	s_mov_b64 s[38:39], s[54:55]
	;; [unrolled: 1-line block ×4, first 2 shown]
	s_mov_b32 s46, s88
	s_mov_b32 s89, s87
	;; [unrolled: 1-line block ×3, first 2 shown]
	s_mov_b64 s[86:87], s[42:43]
	s_mov_b64 s[42:43], s[40:41]
	;; [unrolled: 1-line block ×6, first 2 shown]
	s_and_b32 s63, vcc_lo, 28
	s_mov_b32 vcc_hi, 0
	v_mov_b32_e32 v8, 0
	s_mov_b64 s[76:77], s[28:29]
	s_mov_b64 s[78:79], s[60:61]
	v_mov_b32_e32 v9, v12
.LBB71_240:                             ; =>This Inner Loop Header: Depth=1
	s_load_dwordx8 s[4:11], s[76:77], 0x4
	s_load_dwordx4 s[20:23], s[76:77], 0x24
	s_load_dwordx4 s[24:27], s[78:79], 0x0
	s_add_u32 s76, s76, 48
	s_addc_u32 s77, s77, 0
	s_waitcnt lgkmcnt(0)
	v_mul_hi_u32 v17, s5, v9
	s_add_i32 vcc_hi, vcc_hi, 4
	s_add_u32 s78, s78, 16
	s_addc_u32 s79, s79, 0
	v_add_u32_e32 v17, v9, v17
	v_lshrrev_b32_e32 v17, s6, v17
	v_mul_lo_u32 v18, v17, s4
	v_mul_hi_u32 v19, s8, v17
	s_cmp_eq_u32 s63, vcc_hi
	v_sub_u32_e32 v9, v9, v18
	v_add_u32_e32 v18, v17, v19
	v_lshrrev_b32_e32 v18, s9, v18
	v_mul_lo_u32 v19, v9, s24
	v_mul_hi_u32 v9, s11, v18
	v_mul_lo_u32 v21, v18, s7
	v_add_u32_e32 v9, v18, v9
	v_lshrrev_b32_e32 v20, s20, v9
	v_mul_hi_u32 v9, s22, v20
	v_sub_u32_e32 v17, v17, v21
	v_mul_lo_u32 v21, v20, s10
	v_mul_lo_u32 v17, v17, s25
	v_add_u32_e32 v9, v20, v9
	v_lshrrev_b32_e32 v9, s23, v9
	v_mul_lo_u32 v22, v9, s21
	v_sub_u32_e32 v18, v18, v21
	v_mul_lo_u32 v18, v18, s26
	v_add3_u32 v8, v19, v8, v17
	v_sub_u32_e32 v20, v20, v22
	v_mul_lo_u32 v20, v20, s27
	v_add3_u32 v8, v18, v8, v20
	s_cbranch_scc0 .LBB71_240
; %bb.241:
	s_mov_b64 s[78:79], s[56:57]
	s_mov_b64 s[56:57], s[48:49]
	;; [unrolled: 1-line block ×6, first 2 shown]
	s_mov_b32 s87, s89
	s_mov_b32 s89, s83
	;; [unrolled: 1-line block ×5, first 2 shown]
	s_load_dword s0, s[28:29], 0x118
	s_mov_b32 s86, s88
	s_mov_b32 s88, s46
	s_mov_b64 s[46:47], s[36:37]
	s_mov_b64 s[36:37], s[54:55]
	;; [unrolled: 1-line block ×6, first 2 shown]
	v_readlane_b32 s52, v23, 0
	s_mov_b64 s[26:27], s[18:19]
	v_readlane_b32 s53, v23, 1
	s_mov_b64 s[24:25], s[16:17]
	s_branch .LBB71_245
.LBB71_242:
	s_mov_b64 s[4:5], -1
                                        ; implicit-def: $vgpr8
	s_branch .LBB71_249
.LBB71_243:
	v_mov_b32_e32 v8, 0
	s_branch .LBB71_248
.LBB71_244:
	v_mov_b32_e32 v8, 0
	s_mov_b32 s63, 0
	v_mov_b32_e32 v9, v12
.LBB71_245:
	s_and_b32 s8, vcc_lo, 3
	s_cmp_eq_u32 s8, 0
	s_cbranch_scc1 .LBB71_248
; %bb.246:
	s_lshl_b32 s4, s63, 2
	s_add_u32 s4, s28, s4
	s_addc_u32 s5, s29, 0
	s_add_u32 s4, s4, 0xc4
	s_addc_u32 s5, s5, 0
	s_mul_i32 s6, s63, 12
	s_add_u32 s6, s28, s6
	s_addc_u32 s7, s29, 0
.LBB71_247:                             ; =>This Inner Loop Header: Depth=1
	s_load_dwordx2 s[10:11], s[6:7], 0x4
	s_load_dword s9, s[6:7], 0xc
	s_add_u32 s6, s6, 12
	s_addc_u32 s7, s7, 0
	s_waitcnt lgkmcnt(0)
	v_mul_hi_u32 v17, s11, v9
	s_load_dword s11, s[4:5], 0x0
	s_add_u32 s4, s4, 4
	s_addc_u32 s5, s5, 0
	v_add_u32_e32 v17, v9, v17
	v_lshrrev_b32_e32 v17, s9, v17
	v_mul_lo_u32 v18, v17, s10
	s_add_i32 s8, s8, -1
	s_cmp_lg_u32 s8, 0
	v_sub_u32_e32 v9, v9, v18
	s_waitcnt lgkmcnt(0)
	v_mad_u64_u32 v[8:9], s[10:11], v9, s11, v[8:9]
	v_mov_b32_e32 v9, v17
	s_cbranch_scc1 .LBB71_247
.LBB71_248:
	s_mov_b64 s[4:5], 0
.LBB71_249:
	s_andn2_b64 vcc, exec, s[4:5]
	s_cbranch_vccnz .LBB71_252
; %bb.250:
	s_waitcnt lgkmcnt(0)
	v_mul_hi_u32 v8, s25, v12
	s_andn2_b64 vcc, exec, s[58:59]
	v_add_u32_e32 v8, v12, v8
	v_lshrrev_b32_e32 v9, s26, v8
	v_mul_lo_u32 v8, v9, s24
	v_sub_u32_e32 v8, v12, v8
	v_mul_lo_u32 v8, v8, s56
	s_cbranch_vccnz .LBB71_252
; %bb.251:
	v_mul_hi_u32 v17, s78, v9
	v_add_u32_e32 v17, v9, v17
	v_lshrrev_b32_e32 v17, s79, v17
	v_mul_lo_u32 v17, v17, s27
	v_sub_u32_e32 v9, v9, v17
	v_mad_u64_u32 v[8:9], s[4:5], v9, s57, v[8:9]
.LBB71_252:
	v_mov_b32_e32 v9, s13
	s_waitcnt lgkmcnt(0)
	s_and_b32 s10, s0, 0xff
	v_add_co_u32_e32 v8, vcc, s12, v8
	s_cmp_lt_i32 s10, 11
	v_addc_co_u32_e32 v9, vcc, 0, v9, vcc
	s_cbranch_scc1 .LBB71_259
; %bb.253:
	s_and_b32 s11, 0xffff, s10
	s_cmp_gt_i32 s11, 25
	s_cbranch_scc0 .LBB71_260
; %bb.254:
	s_cmp_gt_i32 s11, 28
	s_cbranch_scc0 .LBB71_261
; %bb.255:
	;; [unrolled: 3-line block ×4, first 2 shown]
	s_mov_b64 s[8:9], 0
	s_mov_b64 s[4:5], -1
	s_cmp_eq_u32 s11, 46
	s_mov_b64 s[6:7], 0
	s_cbranch_scc0 .LBB71_264
; %bb.258:
	v_mov_b32_e32 v17, s94
	global_store_dword v[8:9], v17, off
	s_mov_b64 s[6:7], -1
	s_mov_b64 s[4:5], 0
	s_branch .LBB71_264
.LBB71_259:
	s_mov_b64 s[8:9], -1
	s_mov_b64 s[6:7], 0
	s_mov_b64 s[4:5], s[70:71]
	s_branch .LBB71_309
.LBB71_260:
	s_mov_b64 s[8:9], -1
	s_mov_b64 s[6:7], 0
	s_mov_b64 s[4:5], s[70:71]
	s_branch .LBB71_286
.LBB71_261:
	s_mov_b64 s[8:9], -1
	s_mov_b64 s[6:7], 0
	s_mov_b64 s[4:5], s[70:71]
	s_branch .LBB71_272
.LBB71_262:
	s_mov_b64 s[8:9], -1
	s_mov_b64 s[6:7], 0
	s_mov_b64 s[4:5], s[70:71]
	s_branch .LBB71_268
.LBB71_263:
	s_mov_b64 s[8:9], -1
	s_mov_b64 s[6:7], 0
	s_mov_b64 s[4:5], s[70:71]
.LBB71_264:
	s_and_b64 vcc, exec, s[8:9]
	s_cbranch_vccz .LBB71_267
; %bb.265:
	s_cmp_eq_u32 s11, 44
	s_mov_b64 s[4:5], -1
	s_cbranch_scc0 .LBB71_267
; %bb.266:
	v_mov_b32_e32 v17, 0xffff
	v_cndmask_b32_e64 v17, v16, v17, s[84:85]
	s_mov_b64 s[6:7], -1
	s_mov_b64 s[4:5], 0
	global_store_byte v[8:9], v17, off
.LBB71_267:
	s_mov_b64 s[8:9], 0
.LBB71_268:
	s_and_b64 vcc, exec, s[8:9]
	s_cbranch_vccz .LBB71_271
; %bb.269:
	s_cmp_eq_u32 s11, 29
	s_mov_b64 s[4:5], -1
	s_cbranch_scc0 .LBB71_271
; %bb.270:
	global_store_dwordx2 v[8:9], v[6:7], off
	s_mov_b64 s[6:7], -1
	s_mov_b64 s[4:5], 0
.LBB71_271:
	s_mov_b64 s[8:9], 0
.LBB71_272:
	s_and_b64 vcc, exec, s[8:9]
	s_cbranch_vccz .LBB71_285
; %bb.273:
	s_cmp_lt_i32 s11, 27
	s_mov_b64 s[6:7], -1
	s_cbranch_scc1 .LBB71_279
; %bb.274:
	s_cmp_gt_i32 s11, 27
	s_cbranch_scc0 .LBB71_276
; %bb.275:
	s_mov_b64 s[6:7], 0
	global_store_dword v[8:9], v15, off
.LBB71_276:
	s_andn2_b64 vcc, exec, s[6:7]
	s_cbranch_vccnz .LBB71_278
; %bb.277:
	global_store_short v[8:9], v15, off
.LBB71_278:
	s_mov_b64 s[6:7], 0
.LBB71_279:
	s_andn2_b64 vcc, exec, s[6:7]
	s_cbranch_vccnz .LBB71_284
; %bb.280:
	s_andn2_b64 vcc, exec, s[52:53]
	s_movk_i32 s6, 0x80
	s_cbranch_vccnz .LBB71_283
; %bb.281:
	s_or_b64 s[6:7], s[50:51], s[54:55]
	s_andn2_b64 vcc, exec, s[6:7]
	s_mov_b32 s6, 0
	s_cbranch_vccnz .LBB71_283
; %bb.282:
	s_and_b64 s[6:7], s[50:51], exec
	s_cselect_b32 s6, s1, s92
	s_or_b32 s6, s6, s81
.LBB71_283:
	v_mov_b32_e32 v17, s6
	global_store_byte v[8:9], v17, off
.LBB71_284:
	s_mov_b64 s[6:7], -1
.LBB71_285:
	s_mov_b64 s[8:9], 0
.LBB71_286:
	s_and_b64 vcc, exec, s[8:9]
	s_cbranch_vccz .LBB71_308
; %bb.287:
	s_cmp_gt_i32 s11, 22
	s_mov_b64 s[8:9], -1
	s_cbranch_scc0 .LBB71_300
; %bb.288:
	s_cmp_lt_i32 s11, 24
	s_mov_b64 s[6:7], -1
	s_cbranch_scc1 .LBB71_297
; %bb.289:
	s_cmp_gt_i32 s11, 24
	s_cbranch_scc0 .LBB71_294
; %bb.290:
	s_andn2_b64 vcc, exec, s[46:47]
	s_movk_i32 s6, 0x80
	s_cbranch_vccnz .LBB71_293
; %bb.291:
	s_or_b64 s[6:7], s[44:45], s[48:49]
	s_andn2_b64 vcc, exec, s[6:7]
	s_mov_b32 s6, 0
	s_cbranch_vccnz .LBB71_293
; %bb.292:
	s_and_b64 s[6:7], s[44:45], exec
	s_cselect_b32 s6, s86, s90
	s_or_b32 s6, s6, s81
.LBB71_293:
	v_mov_b32_e32 v17, s6
	s_mov_b64 s[6:7], 0
	global_store_byte v[8:9], v17, off
.LBB71_294:
	s_and_b64 vcc, exec, s[6:7]
	s_cbranch_vccz .LBB71_296
; %bb.295:
	s_and_b64 s[6:7], s[42:43], exec
	s_cselect_b32 s8, s88, s87
	s_and_b64 s[6:7], s[40:41], exec
	s_cselect_b32 s6, s89, s8
	s_or_b32 s6, s6, s81
	v_mov_b32_e32 v17, s6
	global_store_byte v[8:9], v17, off
.LBB71_296:
	s_mov_b64 s[6:7], 0
.LBB71_297:
	s_andn2_b64 vcc, exec, s[6:7]
	s_cbranch_vccnz .LBB71_299
; %bb.298:
	s_and_b64 s[6:7], s[38:39], exec
	s_cselect_b32 s8, s91, s83
	s_and_b64 s[6:7], s[36:37], exec
	s_cselect_b32 s6, s93, s8
	s_or_b32 s6, s6, s81
	v_mov_b32_e32 v17, s6
	global_store_byte v[8:9], v17, off
.LBB71_299:
	s_mov_b64 s[8:9], 0
	s_mov_b64 s[6:7], -1
.LBB71_300:
	s_andn2_b64 vcc, exec, s[8:9]
	s_cbranch_vccnz .LBB71_308
; %bb.301:
	s_cmp_gt_i32 s11, 14
	s_mov_b64 s[8:9], -1
	s_cbranch_scc0 .LBB71_305
; %bb.302:
	s_cmp_eq_u32 s11, 15
	s_mov_b64 s[4:5], -1
	s_cbranch_scc0 .LBB71_304
; %bb.303:
	v_mov_b32_e32 v17, s82
	global_store_short v[8:9], v17, off
	s_mov_b64 s[6:7], -1
	s_mov_b64 s[4:5], 0
.LBB71_304:
	s_mov_b64 s[8:9], 0
.LBB71_305:
	s_and_b64 vcc, exec, s[8:9]
	s_cbranch_vccz .LBB71_308
; %bb.306:
	s_cmp_eq_u32 s11, 11
	s_mov_b64 s[4:5], -1
	s_cbranch_scc0 .LBB71_308
; %bb.307:
	s_mov_b64 s[6:7], -1
	s_mov_b64 s[4:5], 0
	global_store_byte v[8:9], v14, off
.LBB71_308:
	s_mov_b64 s[8:9], 0
.LBB71_309:
	s_and_b64 vcc, exec, s[8:9]
	s_cbranch_vccz .LBB71_348
; %bb.310:
	s_and_b32 s8, 0xffff, s10
	s_cmp_lt_i32 s8, 5
	s_mov_b64 s[6:7], -1
	s_cbranch_scc1 .LBB71_331
; %bb.311:
	s_cmp_lt_i32 s8, 8
	s_cbranch_scc1 .LBB71_321
; %bb.312:
	s_cmp_lt_i32 s8, 9
	s_cbranch_scc1 .LBB71_318
; %bb.313:
	s_cmp_gt_i32 s8, 9
	s_cbranch_scc0 .LBB71_315
; %bb.314:
	s_mov_b64 s[6:7], 0
	global_store_dwordx4 v[8:9], v[0:3], off
.LBB71_315:
	s_andn2_b64 vcc, exec, s[6:7]
	s_cbranch_vccnz .LBB71_317
; %bb.316:
	v_mov_b32_e32 v17, s14
	v_mov_b32_e32 v18, s15
	global_store_dwordx2 v[8:9], v[17:18], off
.LBB71_317:
	s_mov_b64 s[6:7], 0
.LBB71_318:
	s_andn2_b64 vcc, exec, s[6:7]
	s_cbranch_vccnz .LBB71_320
; %bb.319:
	global_store_dword v[8:9], v13, off
.LBB71_320:
	s_mov_b64 s[6:7], 0
.LBB71_321:
	s_andn2_b64 vcc, exec, s[6:7]
	s_cbranch_vccnz .LBB71_330
; %bb.322:
	s_cmp_lt_i32 s8, 6
	s_mov_b64 s[6:7], -1
	s_cbranch_scc1 .LBB71_328
; %bb.323:
	s_cmp_gt_i32 s8, 6
	s_cbranch_scc0 .LBB71_325
; %bb.324:
	s_mov_b64 s[6:7], 0
	global_store_dwordx2 v[8:9], v[0:1], off
.LBB71_325:
	s_andn2_b64 vcc, exec, s[6:7]
	s_cbranch_vccnz .LBB71_327
; %bb.326:
	v_mov_b32_e32 v17, s14
	global_store_dword v[8:9], v17, off
.LBB71_327:
	s_mov_b64 s[6:7], 0
.LBB71_328:
	s_andn2_b64 vcc, exec, s[6:7]
	s_cbranch_vccnz .LBB71_330
; %bb.329:
	global_store_short v[8:9], v11, off
.LBB71_330:
	s_mov_b64 s[6:7], 0
.LBB71_331:
	s_andn2_b64 vcc, exec, s[6:7]
	s_cbranch_vccnz .LBB71_347
; %bb.332:
	s_cmp_lt_i32 s8, 2
	s_mov_b64 s[6:7], -1
	s_cbranch_scc1 .LBB71_342
; %bb.333:
	s_cmp_lt_i32 s8, 3
	s_cbranch_scc1 .LBB71_339
; %bb.334:
	s_cmp_gt_i32 s8, 3
	s_cbranch_scc0 .LBB71_336
; %bb.335:
	s_mov_b64 s[6:7], 0
	global_store_dwordx2 v[8:9], v[4:5], off
.LBB71_336:
	s_andn2_b64 vcc, exec, s[6:7]
	s_cbranch_vccnz .LBB71_338
; %bb.337:
	global_store_dword v[8:9], v10, off
.LBB71_338:
	s_mov_b64 s[6:7], 0
.LBB71_339:
	s_andn2_b64 vcc, exec, s[6:7]
	s_cbranch_vccnz .LBB71_341
; %bb.340:
	global_store_short v[8:9], v10, off
.LBB71_341:
	s_mov_b64 s[6:7], 0
.LBB71_342:
	s_andn2_b64 vcc, exec, s[6:7]
	s_cbranch_vccnz .LBB71_347
; %bb.343:
	s_cmp_gt_i32 s8, 0
	s_mov_b64 s[6:7], -1
	s_cbranch_scc0 .LBB71_345
; %bb.344:
	s_mov_b64 s[6:7], 0
	global_store_byte v[8:9], v10, off
.LBB71_345:
	s_andn2_b64 vcc, exec, s[6:7]
	s_cbranch_vccnz .LBB71_347
; %bb.346:
	global_store_byte v[8:9], v4, off
.LBB71_347:
	s_mov_b64 s[6:7], -1
.LBB71_348:
	s_andn2_b64 vcc, exec, s[6:7]
	s_cbranch_vccnz .LBB71_350
; %bb.349:
	v_add_u32_e32 v12, 0x80, v12
	s_mov_b64 s[6:7], -1
	s_branch .LBB71_351
.LBB71_350:
	s_mov_b64 s[6:7], 0
                                        ; implicit-def: $vgpr12
.LBB71_351:
	s_andn2_b64 s[8:9], s[70:71], exec
	s_and_b64 s[4:5], s[4:5], exec
	s_or_b64 s[76:77], s[8:9], s[4:5]
	s_orn2_b64 s[6:7], s[6:7], exec
.LBB71_352:
	s_or_b64 exec, exec, s[74:75]
	s_mov_b64 s[4:5], 0
	s_mov_b64 s[10:11], 0
                                        ; implicit-def: $sgpr20
                                        ; implicit-def: $vgpr8_vgpr9
	s_and_saveexec_b64 s[74:75], s[6:7]
	s_cbranch_execz .LBB71_424
; %bb.353:
	s_waitcnt lgkmcnt(0)
	s_mov_b64 s[16:17], s[78:79]
	v_cmp_gt_i32_e32 vcc, s95, v12
	s_mov_b64 s[6:7], 0
	s_mov_b64 s[8:9], s[76:77]
                                        ; implicit-def: $sgpr20
                                        ; implicit-def: $vgpr8_vgpr9
	s_and_saveexec_b64 s[78:79], vcc
	s_cbranch_execz .LBB71_423
; %bb.354:
	s_andn2_b64 vcc, exec, s[34:35]
	s_cbranch_vccnz .LBB71_360
; %bb.355:
	s_andn2_b64 vcc, exec, s[64:65]
	s_cbranch_vccnz .LBB71_361
; %bb.356:
	s_add_i32 s63, s62, 1
	s_cmp_eq_u32 s80, 2
	s_cbranch_scc1 .LBB71_362
; %bb.357:
	s_and_b32 s62, s63, 28
	s_mov_b32 s95, 0
	v_mov_b32_e32 v8, 0
	s_mov_b64 s[64:65], s[28:29]
	v_mov_b32_e32 v9, v12
.LBB71_358:                             ; =>This Inner Loop Header: Depth=1
	s_load_dwordx8 s[4:11], s[64:65], 0x4
	s_load_dwordx4 s[20:23], s[64:65], 0x24
	s_load_dwordx4 s[24:27], s[60:61], 0x0
	s_add_u32 s64, s64, 48
	s_addc_u32 s65, s65, 0
	s_waitcnt lgkmcnt(0)
	v_mul_hi_u32 v17, s5, v9
	s_add_i32 s95, s95, 4
	s_add_u32 s60, s60, 16
	s_addc_u32 s61, s61, 0
	v_add_u32_e32 v17, v9, v17
	v_lshrrev_b32_e32 v17, s6, v17
	v_mul_lo_u32 v18, v17, s4
	v_mul_hi_u32 v19, s8, v17
	s_cmp_eq_u32 s62, s95
	v_sub_u32_e32 v9, v9, v18
	v_add_u32_e32 v18, v17, v19
	v_lshrrev_b32_e32 v18, s9, v18
	v_mul_lo_u32 v19, v9, s24
	v_mul_hi_u32 v9, s11, v18
	v_mul_lo_u32 v21, v18, s7
	v_add_u32_e32 v9, v18, v9
	v_lshrrev_b32_e32 v20, s20, v9
	v_mul_hi_u32 v9, s22, v20
	v_sub_u32_e32 v17, v17, v21
	v_mul_lo_u32 v21, v20, s10
	v_mul_lo_u32 v17, v17, s25
	v_add_u32_e32 v9, v20, v9
	v_lshrrev_b32_e32 v9, s23, v9
	v_mul_lo_u32 v22, v9, s21
	v_sub_u32_e32 v18, v18, v21
	v_mul_lo_u32 v18, v18, s26
	v_add3_u32 v8, v19, v8, v17
	v_sub_u32_e32 v20, v20, v22
	v_mul_lo_u32 v20, v20, s27
	v_add3_u32 v8, v18, v8, v20
	s_cbranch_scc0 .LBB71_358
; %bb.359:
	s_load_dwordx4 s[24:27], s[28:29], 0x4
	s_branch .LBB71_363
.LBB71_360:
	s_mov_b64 s[4:5], -1
                                        ; implicit-def: $vgpr8
	s_branch .LBB71_367
.LBB71_361:
	v_mov_b32_e32 v8, 0
	s_branch .LBB71_366
.LBB71_362:
	v_mov_b32_e32 v8, 0
	s_mov_b32 s62, 0
	v_mov_b32_e32 v9, v12
.LBB71_363:
	s_and_b32 s8, s63, 3
	s_cmp_eq_u32 s8, 0
	s_cbranch_scc1 .LBB71_366
; %bb.364:
	s_lshl_b32 s4, s62, 2
	s_add_u32 s4, s28, s4
	s_addc_u32 s5, s29, 0
	s_add_u32 s4, s4, 0xc4
	s_addc_u32 s5, s5, 0
	s_mul_i32 s6, s62, 12
	s_add_u32 s6, s28, s6
	s_addc_u32 s7, s29, 0
.LBB71_365:                             ; =>This Inner Loop Header: Depth=1
	s_load_dwordx2 s[10:11], s[6:7], 0x4
	s_load_dword s9, s[6:7], 0xc
	s_add_u32 s6, s6, 12
	s_addc_u32 s7, s7, 0
	s_waitcnt lgkmcnt(0)
	v_mul_hi_u32 v17, s11, v9
	s_load_dword s11, s[4:5], 0x0
	s_add_u32 s4, s4, 4
	s_addc_u32 s5, s5, 0
	v_add_u32_e32 v17, v9, v17
	v_lshrrev_b32_e32 v17, s9, v17
	v_mul_lo_u32 v18, v17, s10
	s_add_i32 s8, s8, -1
	s_cmp_lg_u32 s8, 0
	v_sub_u32_e32 v9, v9, v18
	s_waitcnt lgkmcnt(0)
	v_mad_u64_u32 v[8:9], s[10:11], v9, s11, v[8:9]
	v_mov_b32_e32 v9, v17
	s_cbranch_scc1 .LBB71_365
.LBB71_366:
	s_mov_b64 s[4:5], 0
.LBB71_367:
	s_andn2_b64 vcc, exec, s[4:5]
	s_cbranch_vccnz .LBB71_370
; %bb.368:
	s_waitcnt lgkmcnt(0)
	v_mul_hi_u32 v8, s25, v12
	s_andn2_b64 vcc, exec, s[58:59]
	v_add_u32_e32 v8, v12, v8
	v_lshrrev_b32_e32 v9, s26, v8
	v_mul_lo_u32 v8, v9, s24
	v_sub_u32_e32 v8, v12, v8
	v_mul_lo_u32 v8, v8, s56
	s_cbranch_vccnz .LBB71_370
; %bb.369:
	v_mul_hi_u32 v12, s16, v9
	v_add_u32_e32 v12, v9, v12
	v_lshrrev_b32_e32 v12, s17, v12
	v_mul_lo_u32 v12, v12, s27
	v_sub_u32_e32 v9, v9, v12
	v_mad_u64_u32 v[8:9], s[4:5], v9, s57, v[8:9]
.LBB71_370:
	v_mov_b32_e32 v9, s13
	s_and_b32 s20, s0, 0xff
	v_add_co_u32_e32 v8, vcc, s12, v8
	s_cmp_lt_i32 s20, 11
	v_addc_co_u32_e32 v9, vcc, 0, v9, vcc
	s_cbranch_scc1 .LBB71_420
; %bb.371:
	s_and_b32 s10, 0xffff, s20
	s_mov_b64 s[6:7], -1
	s_cmp_gt_i32 s10, 25
	s_mov_b64 s[4:5], s[76:77]
	s_cbranch_scc0 .LBB71_399
; %bb.372:
	s_cmp_gt_i32 s10, 28
	s_mov_b64 s[4:5], s[76:77]
	s_cbranch_scc0 .LBB71_386
; %bb.373:
	s_cmp_gt_i32 s10, 43
	s_mov_b64 s[4:5], s[76:77]
	s_cbranch_scc0 .LBB71_382
; %bb.374:
	s_cmp_gt_i32 s10, 45
	s_mov_b64 s[4:5], s[76:77]
	s_cbranch_scc0 .LBB71_378
; %bb.375:
	s_cmp_eq_u32 s10, 46
	s_mov_b64 s[4:5], -1
	s_cbranch_scc0 .LBB71_377
; %bb.376:
	v_mov_b32_e32 v12, s94
	global_store_dword v[8:9], v12, off
	s_mov_b64 s[4:5], 0
.LBB71_377:
	s_mov_b64 s[6:7], 0
.LBB71_378:
	s_and_b64 vcc, exec, s[6:7]
	s_cbranch_vccz .LBB71_381
; %bb.379:
	s_cmp_eq_u32 s10, 44
	s_mov_b64 s[4:5], -1
	s_cbranch_scc0 .LBB71_381
; %bb.380:
	v_mov_b32_e32 v12, 0xffff
	v_cndmask_b32_e64 v12, v16, v12, s[84:85]
	global_store_byte v[8:9], v12, off
	s_mov_b64 s[4:5], 0
.LBB71_381:
	s_mov_b64 s[6:7], 0
.LBB71_382:
	s_and_b64 vcc, exec, s[6:7]
	s_cbranch_vccz .LBB71_385
; %bb.383:
	s_cmp_eq_u32 s10, 29
	s_mov_b64 s[4:5], -1
	s_cbranch_scc0 .LBB71_385
; %bb.384:
	global_store_dwordx2 v[8:9], v[6:7], off
	s_mov_b64 s[4:5], 0
.LBB71_385:
	s_mov_b64 s[6:7], 0
.LBB71_386:
	s_and_b64 vcc, exec, s[6:7]
	s_cbranch_vccz .LBB71_398
; %bb.387:
	s_mov_b32 s6, s1
	s_cmp_lt_i32 s10, 27
	s_mov_b64 s[0:1], -1
	s_cbranch_scc1 .LBB71_393
; %bb.388:
	s_cmp_gt_i32 s10, 27
	s_cbranch_scc0 .LBB71_390
; %bb.389:
	s_mov_b64 s[0:1], 0
	global_store_dword v[8:9], v15, off
.LBB71_390:
	s_andn2_b64 vcc, exec, s[0:1]
	s_cbranch_vccnz .LBB71_392
; %bb.391:
	global_store_short v[8:9], v15, off
.LBB71_392:
	s_mov_b64 s[0:1], 0
.LBB71_393:
	s_andn2_b64 vcc, exec, s[0:1]
	s_cbranch_vccnz .LBB71_398
; %bb.394:
	s_andn2_b64 vcc, exec, s[52:53]
	s_movk_i32 s0, 0x80
	s_cbranch_vccnz .LBB71_397
; %bb.395:
	s_or_b64 s[0:1], s[50:51], s[54:55]
	s_andn2_b64 vcc, exec, s[0:1]
	s_mov_b32 s0, 0
	s_cbranch_vccnz .LBB71_397
; %bb.396:
	s_and_b64 s[0:1], s[50:51], exec
	s_cselect_b32 s0, s6, s92
	s_or_b32 s0, s0, s81
.LBB71_397:
	v_mov_b32_e32 v6, s0
	global_store_byte v[8:9], v6, off
.LBB71_398:
	s_mov_b64 s[6:7], 0
.LBB71_399:
	s_mov_b64 s[0:1], 0
	s_and_b64 vcc, exec, s[6:7]
	s_cbranch_vccz .LBB71_421
; %bb.400:
	s_cmp_gt_i32 s10, 22
	s_mov_b64 s[6:7], -1
	s_cbranch_scc0 .LBB71_413
; %bb.401:
	s_cmp_lt_i32 s10, 24
	s_cbranch_scc1 .LBB71_410
; %bb.402:
	s_cmp_gt_i32 s10, 24
	s_cbranch_scc0 .LBB71_407
; %bb.403:
	s_andn2_b64 vcc, exec, s[46:47]
	s_movk_i32 s6, 0x80
	s_cbranch_vccnz .LBB71_406
; %bb.404:
	s_or_b64 s[6:7], s[44:45], s[48:49]
	s_andn2_b64 vcc, exec, s[6:7]
	s_mov_b32 s6, 0
	s_cbranch_vccnz .LBB71_406
; %bb.405:
	s_and_b64 s[6:7], s[44:45], exec
	s_cselect_b32 s6, s86, s90
	s_or_b32 s6, s6, s81
.LBB71_406:
	v_mov_b32_e32 v6, s6
	s_mov_b64 s[6:7], 0
	global_store_byte v[8:9], v6, off
.LBB71_407:
	s_and_b64 vcc, exec, s[6:7]
	s_cbranch_vccz .LBB71_409
; %bb.408:
	s_and_b64 s[6:7], s[42:43], exec
	s_cselect_b32 s8, s88, s87
	s_and_b64 s[6:7], s[40:41], exec
	s_cselect_b32 s6, s89, s8
	s_or_b32 s6, s6, s81
	v_mov_b32_e32 v6, s6
	global_store_byte v[8:9], v6, off
.LBB71_409:
	s_mov_b64 s[6:7], 0
.LBB71_410:
	s_andn2_b64 vcc, exec, s[6:7]
	s_cbranch_vccnz .LBB71_412
; %bb.411:
	s_and_b64 s[6:7], s[38:39], exec
	s_cselect_b32 s8, s91, s83
	s_and_b64 s[6:7], s[36:37], exec
	s_cselect_b32 s6, s93, s8
	s_or_b32 s6, s6, s81
	v_mov_b32_e32 v6, s6
	global_store_byte v[8:9], v6, off
.LBB71_412:
	s_mov_b64 s[6:7], 0
.LBB71_413:
	s_andn2_b64 vcc, exec, s[6:7]
	s_mov_b64 s[6:7], 0
	s_cbranch_vccnz .LBB71_422
; %bb.414:
	s_cmp_gt_i32 s10, 14
	s_mov_b64 s[8:9], -1
	s_cbranch_scc0 .LBB71_418
; %bb.415:
	s_cmp_eq_u32 s10, 15
	s_mov_b64 s[4:5], -1
	s_cbranch_scc0 .LBB71_417
; %bb.416:
	v_mov_b32_e32 v6, s82
	global_store_short v[8:9], v6, off
	s_mov_b64 s[4:5], 0
.LBB71_417:
	s_mov_b64 s[8:9], 0
.LBB71_418:
	s_and_b64 vcc, exec, s[8:9]
	s_cbranch_vccz .LBB71_422
; %bb.419:
	s_cmp_lg_u32 s10, 11
	s_cselect_b64 s[8:9], -1, 0
	s_andn2_b64 s[4:5], s[4:5], exec
	s_and_b64 s[8:9], s[8:9], exec
	s_mov_b64 s[6:7], -1
	s_or_b64 s[4:5], s[4:5], s[8:9]
	s_branch .LBB71_422
.LBB71_420:
	s_mov_b64 s[6:7], 0
	s_mov_b64 s[0:1], -1
	s_mov_b64 s[4:5], s[76:77]
	s_branch .LBB71_422
.LBB71_421:
	s_mov_b64 s[6:7], 0
.LBB71_422:
	s_and_b64 s[10:11], s[0:1], exec
	s_andn2_b64 s[0:1], s[76:77], exec
	s_and_b64 s[4:5], s[4:5], exec
	s_and_b64 s[6:7], s[6:7], exec
	s_or_b64 s[8:9], s[0:1], s[4:5]
.LBB71_423:
	s_or_b64 exec, exec, s[78:79]
	s_and_b64 s[4:5], s[6:7], exec
	s_andn2_b64 s[0:1], s[76:77], exec
	s_and_b64 s[6:7], s[8:9], exec
	s_and_b64 s[10:11], s[10:11], exec
	s_or_b64 s[76:77], s[0:1], s[6:7]
.LBB71_424:
	s_or_b64 exec, exec, s[74:75]
	s_and_b64 s[6:7], s[4:5], exec
	s_waitcnt lgkmcnt(0)
	s_andn2_b64 s[0:1], s[70:71], exec
	s_and_b64 s[4:5], s[76:77], exec
	s_and_b64 s[8:9], s[10:11], exec
	s_or_b64 s[70:71], s[0:1], s[4:5]
.LBB71_425:
	s_or_b64 exec, exec, s[72:73]
	s_and_b64 s[72:73], s[6:7], exec
	s_waitcnt lgkmcnt(0)
	s_andn2_b64 s[0:1], s[66:67], exec
	s_and_b64 s[6:7], s[70:71], exec
	s_and_b64 s[4:5], s[8:9], exec
	s_or_b64 s[66:67], s[0:1], s[6:7]
	s_or_b64 exec, exec, s[68:69]
	s_mov_b64 s[0:1], 0
	s_and_saveexec_b64 s[6:7], s[66:67]
	s_cbranch_execz .LBB71_124
.LBB71_426:
	s_mov_b64 s[0:1], exec
	s_andn2_b64 s[72:73], s[72:73], exec
	s_trap 2
	s_or_b64 exec, exec, s[6:7]
	s_and_saveexec_b64 s[6:7], s[72:73]
	s_xor_b64 s[6:7], exec, s[6:7]
	s_cbranch_execnz .LBB71_125
.LBB71_427:
	s_or_b64 exec, exec, s[6:7]
	s_and_saveexec_b64 s[6:7], s[4:5]
	s_xor_b64 s[4:5], exec, s[6:7]
	s_cbranch_execz .LBB71_465
.LBB71_428:
	s_sext_i32_i16 s8, s20
	s_cmp_lt_i32 s8, 5
	s_mov_b64 s[6:7], -1
	s_cbranch_scc1 .LBB71_449
; %bb.429:
	s_cmp_lt_i32 s8, 8
	s_cbranch_scc1 .LBB71_439
; %bb.430:
	s_cmp_lt_i32 s8, 9
	s_cbranch_scc1 .LBB71_436
; %bb.431:
	s_cmp_gt_i32 s8, 9
	s_cbranch_scc0 .LBB71_433
; %bb.432:
	s_mov_b64 s[6:7], 0
	global_store_dwordx4 v[8:9], v[0:3], off
.LBB71_433:
	s_andn2_b64 vcc, exec, s[6:7]
	s_cbranch_vccnz .LBB71_435
; %bb.434:
	v_mov_b32_e32 v2, s14
	v_mov_b32_e32 v3, s15
	global_store_dwordx2 v[8:9], v[2:3], off
.LBB71_435:
	s_mov_b64 s[6:7], 0
.LBB71_436:
	s_andn2_b64 vcc, exec, s[6:7]
	s_cbranch_vccnz .LBB71_438
; %bb.437:
	global_store_dword v[8:9], v13, off
.LBB71_438:
	s_mov_b64 s[6:7], 0
.LBB71_439:
	s_andn2_b64 vcc, exec, s[6:7]
	s_cbranch_vccnz .LBB71_448
; %bb.440:
	s_sext_i32_i16 s8, s20
	s_cmp_lt_i32 s8, 6
	s_mov_b64 s[6:7], -1
	s_cbranch_scc1 .LBB71_446
; %bb.441:
	s_cmp_gt_i32 s8, 6
	s_cbranch_scc0 .LBB71_443
; %bb.442:
	s_mov_b64 s[6:7], 0
	global_store_dwordx2 v[8:9], v[0:1], off
.LBB71_443:
	s_andn2_b64 vcc, exec, s[6:7]
	s_cbranch_vccnz .LBB71_445
; %bb.444:
	v_mov_b32_e32 v0, s14
	global_store_dword v[8:9], v0, off
.LBB71_445:
	s_mov_b64 s[6:7], 0
.LBB71_446:
	s_andn2_b64 vcc, exec, s[6:7]
	s_cbranch_vccnz .LBB71_448
; %bb.447:
	global_store_short v[8:9], v11, off
.LBB71_448:
	s_mov_b64 s[6:7], 0
.LBB71_449:
	s_andn2_b64 vcc, exec, s[6:7]
	s_cbranch_vccnz .LBB71_465
; %bb.450:
	s_sext_i32_i16 s8, s20
	s_cmp_lt_i32 s8, 2
	s_mov_b64 s[6:7], -1
	s_cbranch_scc1 .LBB71_460
; %bb.451:
	s_cmp_lt_i32 s8, 3
	s_cbranch_scc1 .LBB71_457
; %bb.452:
	s_cmp_gt_i32 s8, 3
	s_cbranch_scc0 .LBB71_454
; %bb.453:
	s_mov_b64 s[6:7], 0
	global_store_dwordx2 v[8:9], v[4:5], off
.LBB71_454:
	s_andn2_b64 vcc, exec, s[6:7]
	s_cbranch_vccnz .LBB71_456
; %bb.455:
	global_store_dword v[8:9], v10, off
.LBB71_456:
	s_mov_b64 s[6:7], 0
.LBB71_457:
	s_andn2_b64 vcc, exec, s[6:7]
	s_cbranch_vccnz .LBB71_459
; %bb.458:
	global_store_short v[8:9], v10, off
.LBB71_459:
	s_mov_b64 s[6:7], 0
.LBB71_460:
	s_andn2_b64 vcc, exec, s[6:7]
	s_cbranch_vccnz .LBB71_465
; %bb.461:
	s_sext_i32_i16 s6, s20
	s_cmp_gt_i32 s6, 0
	s_mov_b64 s[6:7], -1
	s_cbranch_scc0 .LBB71_463
; %bb.462:
	s_mov_b64 s[6:7], 0
	global_store_byte v[8:9], v10, off
.LBB71_463:
	s_andn2_b64 vcc, exec, s[6:7]
	s_cbranch_vccnz .LBB71_465
; %bb.464:
	global_store_byte v[8:9], v4, off
.LBB71_465:
	s_or_b64 exec, exec, s[4:5]
	s_and_b64 s[20:21], s[0:1], exec
                                        ; implicit-def: $vgpr8
                                        ; implicit-def: $vgpr12
.LBB71_466:
	s_or_saveexec_b64 s[22:23], s[2:3]
	s_mov_b64 s[0:1], 0
                                        ; implicit-def: $sgpr14
                                        ; implicit-def: $vgpr0_vgpr1
                                        ; implicit-def: $sgpr3
	s_xor_b64 exec, exec, s[22:23]
	s_cbranch_execz .LBB71_949
; %bb.467:
	v_cndmask_b32_e64 v0, 0, 1, s[34:35]
	v_cmp_ne_u32_e64 s[0:1], 1, v0
	s_andn2_b64 vcc, exec, s[34:35]
	s_cbranch_vccnz .LBB71_473
; %bb.468:
	s_cmp_lg_u32 s33, 0
	s_mov_b32 s26, 0
	s_cbranch_scc0 .LBB71_474
; %bb.469:
	s_min_u32 s27, s80, 15
	s_add_i32 s27, s27, 1
	s_cmp_eq_u32 s80, 2
	s_cbranch_scc1 .LBB71_475
; %bb.470:
	s_and_b32 s26, s27, 28
	s_add_u32 s2, s28, 0xc4
	s_addc_u32 s3, s29, 0
	s_mov_b32 s30, 0
	v_mov_b32_e32 v6, 0
	s_mov_b64 s[24:25], s[28:29]
	v_mov_b32_e32 v0, v12
.LBB71_471:                             ; =>This Inner Loop Header: Depth=1
	s_load_dwordx8 s[4:11], s[24:25], 0x4
	s_load_dwordx4 s[12:15], s[24:25], 0x24
	s_load_dwordx4 s[16:19], s[2:3], 0x0
	s_add_u32 s24, s24, 48
	s_addc_u32 s25, s25, 0
	s_waitcnt lgkmcnt(0)
	v_mul_hi_u32 v1, s5, v0
	s_add_i32 s30, s30, 4
	s_add_u32 s2, s2, 16
	s_addc_u32 s3, s3, 0
	v_add_u32_e32 v1, v0, v1
	v_lshrrev_b32_e32 v1, s6, v1
	v_mul_lo_u32 v2, v1, s4
	v_mul_hi_u32 v3, s8, v1
	s_cmp_lg_u32 s26, s30
	v_sub_u32_e32 v0, v0, v2
	v_add_u32_e32 v2, v1, v3
	v_lshrrev_b32_e32 v2, s9, v2
	v_mul_lo_u32 v3, v0, s16
	v_mul_hi_u32 v0, s11, v2
	v_mul_lo_u32 v5, v2, s7
	v_add_u32_e32 v0, v2, v0
	v_lshrrev_b32_e32 v4, s12, v0
	v_mul_hi_u32 v0, s14, v4
	v_sub_u32_e32 v1, v1, v5
	v_mul_lo_u32 v5, v4, s10
	v_mul_lo_u32 v1, v1, s17
	v_add_u32_e32 v0, v4, v0
	v_lshrrev_b32_e32 v0, s15, v0
	v_mul_lo_u32 v7, v0, s13
	v_sub_u32_e32 v2, v2, v5
	v_mul_lo_u32 v2, v2, s18
	v_add3_u32 v1, v3, v6, v1
	v_sub_u32_e32 v4, v4, v7
	v_mul_lo_u32 v4, v4, s19
	v_add3_u32 v6, v2, v1, v4
	s_cbranch_scc1 .LBB71_471
; %bb.472:
	s_and_b32 s6, s27, 3
	s_cmp_eq_u32 s6, 0
	s_cbranch_scc0 .LBB71_476
	s_branch .LBB71_478
.LBB71_473:
                                        ; implicit-def: $vgpr6
	s_branch .LBB71_479
.LBB71_474:
	v_mov_b32_e32 v6, 0
	s_branch .LBB71_478
.LBB71_475:
	v_mov_b32_e32 v6, 0
	v_mov_b32_e32 v0, v12
	s_and_b32 s6, s27, 3
	s_cmp_eq_u32 s6, 0
	s_cbranch_scc1 .LBB71_478
.LBB71_476:
	s_lshl_b32 s2, s26, 2
	s_add_u32 s2, s28, s2
	s_addc_u32 s3, s29, 0
	s_add_u32 s2, s2, 0xc4
	s_addc_u32 s3, s3, 0
	s_mul_i32 s4, s26, 12
	s_add_u32 s4, s28, s4
	s_addc_u32 s5, s29, 0
.LBB71_477:                             ; =>This Inner Loop Header: Depth=1
	s_load_dwordx2 s[8:9], s[4:5], 0x4
	s_load_dword s7, s[4:5], 0xc
	s_add_u32 s4, s4, 12
	s_addc_u32 s5, s5, 0
	s_waitcnt lgkmcnt(0)
	v_mul_hi_u32 v1, s9, v0
	s_load_dword s9, s[2:3], 0x0
	s_add_u32 s2, s2, 4
	s_addc_u32 s3, s3, 0
	v_add_u32_e32 v1, v0, v1
	v_lshrrev_b32_e32 v1, s7, v1
	v_mul_lo_u32 v2, v1, s8
	s_add_i32 s6, s6, -1
	s_cmp_lg_u32 s6, 0
	v_sub_u32_e32 v0, v0, v2
	s_waitcnt lgkmcnt(0)
	v_mad_u64_u32 v[6:7], s[8:9], v0, s9, v[6:7]
	v_mov_b32_e32 v0, v1
	s_cbranch_scc1 .LBB71_477
.LBB71_478:
	s_cbranch_execnz .LBB71_481
.LBB71_479:
	s_load_dwordx4 s[4:7], s[28:29], 0x4
	s_load_dword s2, s[28:29], 0xc4
	s_cmp_lt_u32 s33, 2
	s_waitcnt lgkmcnt(0)
	v_mul_hi_u32 v0, s5, v12
	v_add_u32_e32 v0, v12, v0
	v_lshrrev_b32_e32 v0, s6, v0
	v_mul_lo_u32 v1, v0, s4
	v_sub_u32_e32 v1, v12, v1
	v_mul_lo_u32 v6, v1, s2
	s_cbranch_scc1 .LBB71_481
; %bb.480:
	s_load_dwordx4 s[4:7], s[28:29], 0x10
	s_load_dword s2, s[28:29], 0xc8
	s_waitcnt lgkmcnt(0)
	v_mul_hi_u32 v1, s5, v0
	v_add_u32_e32 v1, v0, v1
	v_lshrrev_b32_e32 v1, s6, v1
	v_mul_lo_u32 v1, v1, s4
	v_sub_u32_e32 v0, v0, v1
	v_mad_u64_u32 v[6:7], s[2:3], v0, s2, v[6:7]
.LBB71_481:
	s_and_b64 vcc, exec, s[0:1]
	v_add_u32_e32 v0, 0x80, v12
	s_cbranch_vccnz .LBB71_487
; %bb.482:
	s_cmp_lg_u32 s33, 0
	s_mov_b32 s26, 0
	s_cbranch_scc0 .LBB71_488
; %bb.483:
	s_min_u32 s27, s80, 15
	s_add_i32 s27, s27, 1
	s_cmp_eq_u32 s80, 2
	s_cbranch_scc1 .LBB71_489
; %bb.484:
	s_and_b32 s26, s27, 28
	s_add_u32 s2, s28, 0xc4
	s_addc_u32 s3, s29, 0
	s_mov_b32 s30, 0
	v_mov_b32_e32 v4, 0
	s_mov_b64 s[24:25], s[28:29]
	v_mov_b32_e32 v1, v0
.LBB71_485:                             ; =>This Inner Loop Header: Depth=1
	s_load_dwordx8 s[4:11], s[24:25], 0x4
	s_load_dwordx4 s[12:15], s[24:25], 0x24
	s_load_dwordx4 s[16:19], s[2:3], 0x0
	s_add_u32 s24, s24, 48
	s_addc_u32 s25, s25, 0
	s_waitcnt lgkmcnt(0)
	v_mul_hi_u32 v2, s5, v1
	s_add_i32 s30, s30, 4
	s_add_u32 s2, s2, 16
	s_addc_u32 s3, s3, 0
	v_add_u32_e32 v2, v1, v2
	v_lshrrev_b32_e32 v2, s6, v2
	v_mul_lo_u32 v3, v2, s4
	v_mul_hi_u32 v5, s8, v2
	s_cmp_lg_u32 s26, s30
	v_sub_u32_e32 v1, v1, v3
	v_add_u32_e32 v3, v2, v5
	v_lshrrev_b32_e32 v3, s9, v3
	v_mul_lo_u32 v5, v1, s16
	v_mul_hi_u32 v1, s11, v3
	v_mul_lo_u32 v9, v3, s7
	v_add_u32_e32 v1, v3, v1
	v_lshrrev_b32_e32 v7, s12, v1
	v_mul_hi_u32 v1, s14, v7
	v_sub_u32_e32 v2, v2, v9
	v_mul_lo_u32 v9, v7, s10
	v_mul_lo_u32 v2, v2, s17
	v_add_u32_e32 v1, v7, v1
	v_lshrrev_b32_e32 v1, s15, v1
	v_mul_lo_u32 v10, v1, s13
	v_sub_u32_e32 v3, v3, v9
	v_mul_lo_u32 v3, v3, s18
	v_add3_u32 v2, v5, v4, v2
	v_sub_u32_e32 v7, v7, v10
	v_mul_lo_u32 v7, v7, s19
	v_add3_u32 v4, v3, v2, v7
	s_cbranch_scc1 .LBB71_485
; %bb.486:
	s_and_b32 s6, s27, 3
	s_cmp_eq_u32 s6, 0
	s_cbranch_scc0 .LBB71_490
	s_branch .LBB71_492
.LBB71_487:
                                        ; implicit-def: $vgpr4
	s_branch .LBB71_493
.LBB71_488:
	v_mov_b32_e32 v4, 0
	s_branch .LBB71_492
.LBB71_489:
	v_mov_b32_e32 v4, 0
	v_mov_b32_e32 v1, v0
	s_and_b32 s6, s27, 3
	s_cmp_eq_u32 s6, 0
	s_cbranch_scc1 .LBB71_492
.LBB71_490:
	s_lshl_b32 s2, s26, 2
	s_add_u32 s2, s28, s2
	s_addc_u32 s3, s29, 0
	s_add_u32 s2, s2, 0xc4
	s_addc_u32 s3, s3, 0
	s_mul_i32 s4, s26, 12
	s_add_u32 s4, s28, s4
	s_addc_u32 s5, s29, 0
.LBB71_491:                             ; =>This Inner Loop Header: Depth=1
	s_load_dwordx2 s[8:9], s[4:5], 0x4
	s_load_dword s7, s[4:5], 0xc
	s_add_u32 s4, s4, 12
	s_addc_u32 s5, s5, 0
	s_waitcnt lgkmcnt(0)
	v_mul_hi_u32 v2, s9, v1
	s_load_dword s9, s[2:3], 0x0
	s_add_u32 s2, s2, 4
	s_addc_u32 s3, s3, 0
	v_add_u32_e32 v2, v1, v2
	v_lshrrev_b32_e32 v2, s7, v2
	v_mul_lo_u32 v3, v2, s8
	s_add_i32 s6, s6, -1
	s_cmp_lg_u32 s6, 0
	v_sub_u32_e32 v1, v1, v3
	s_waitcnt lgkmcnt(0)
	v_mad_u64_u32 v[4:5], s[8:9], v1, s9, v[4:5]
	v_mov_b32_e32 v1, v2
	s_cbranch_scc1 .LBB71_491
.LBB71_492:
	s_cbranch_execnz .LBB71_495
.LBB71_493:
	s_load_dwordx4 s[4:7], s[28:29], 0x4
	s_load_dword s2, s[28:29], 0xc4
	s_cmp_lt_u32 s33, 2
	s_waitcnt lgkmcnt(0)
	v_mul_hi_u32 v1, s5, v0
	v_add_u32_e32 v1, v0, v1
	v_lshrrev_b32_e32 v1, s6, v1
	v_mul_lo_u32 v2, v1, s4
	v_sub_u32_e32 v0, v0, v2
	v_mul_lo_u32 v4, v0, s2
	s_cbranch_scc1 .LBB71_495
; %bb.494:
	s_load_dwordx4 s[4:7], s[28:29], 0x10
	s_load_dword s2, s[28:29], 0xc8
	s_waitcnt lgkmcnt(0)
	v_mul_hi_u32 v0, s5, v1
	v_add_u32_e32 v0, v1, v0
	v_lshrrev_b32_e32 v0, s6, v0
	v_mul_lo_u32 v0, v0, s4
	v_sub_u32_e32 v0, v1, v0
	v_mad_u64_u32 v[4:5], s[2:3], v0, s2, v[4:5]
.LBB71_495:
	s_and_b64 vcc, exec, s[0:1]
	v_add_u32_e32 v0, 0x100, v12
	s_cbranch_vccnz .LBB71_501
; %bb.496:
	s_cmp_lg_u32 s33, 0
	s_mov_b32 s26, 0
	s_cbranch_scc0 .LBB71_502
; %bb.497:
	s_min_u32 s27, s80, 15
	s_add_i32 s27, s27, 1
	s_cmp_eq_u32 s80, 2
	s_cbranch_scc1 .LBB71_503
; %bb.498:
	s_and_b32 s26, s27, 28
	s_add_u32 s2, s28, 0xc4
	s_addc_u32 s3, s29, 0
	s_mov_b32 s30, 0
	v_mov_b32_e32 v2, 0
	s_mov_b64 s[24:25], s[28:29]
	v_mov_b32_e32 v1, v0
.LBB71_499:                             ; =>This Inner Loop Header: Depth=1
	s_load_dwordx8 s[4:11], s[24:25], 0x4
	s_load_dwordx4 s[12:15], s[24:25], 0x24
	s_load_dwordx4 s[16:19], s[2:3], 0x0
	s_add_u32 s24, s24, 48
	s_addc_u32 s25, s25, 0
	s_waitcnt lgkmcnt(0)
	v_mul_hi_u32 v3, s5, v1
	s_add_i32 s30, s30, 4
	s_add_u32 s2, s2, 16
	s_addc_u32 s3, s3, 0
	v_add_u32_e32 v3, v1, v3
	v_lshrrev_b32_e32 v3, s6, v3
	v_mul_lo_u32 v5, v3, s4
	v_mul_hi_u32 v7, s8, v3
	s_cmp_lg_u32 s26, s30
	v_sub_u32_e32 v1, v1, v5
	v_add_u32_e32 v5, v3, v7
	v_lshrrev_b32_e32 v5, s9, v5
	v_mul_lo_u32 v7, v1, s16
	v_mul_hi_u32 v1, s11, v5
	v_mul_lo_u32 v10, v5, s7
	v_add_u32_e32 v1, v5, v1
	v_lshrrev_b32_e32 v9, s12, v1
	v_mul_hi_u32 v1, s14, v9
	v_sub_u32_e32 v3, v3, v10
	v_mul_lo_u32 v10, v9, s10
	v_mul_lo_u32 v3, v3, s17
	v_add_u32_e32 v1, v9, v1
	v_lshrrev_b32_e32 v1, s15, v1
	v_mul_lo_u32 v11, v1, s13
	v_sub_u32_e32 v5, v5, v10
	v_mul_lo_u32 v5, v5, s18
	v_add3_u32 v2, v7, v2, v3
	v_sub_u32_e32 v9, v9, v11
	v_mul_lo_u32 v9, v9, s19
	v_add3_u32 v2, v5, v2, v9
	s_cbranch_scc1 .LBB71_499
; %bb.500:
	s_and_b32 s6, s27, 3
	s_cmp_eq_u32 s6, 0
	s_cbranch_scc0 .LBB71_504
	s_branch .LBB71_506
.LBB71_501:
                                        ; implicit-def: $vgpr2
	s_branch .LBB71_507
.LBB71_502:
	v_mov_b32_e32 v2, 0
	s_branch .LBB71_506
.LBB71_503:
	v_mov_b32_e32 v2, 0
	v_mov_b32_e32 v1, v0
	s_and_b32 s6, s27, 3
	s_cmp_eq_u32 s6, 0
	s_cbranch_scc1 .LBB71_506
.LBB71_504:
	s_lshl_b32 s2, s26, 2
	s_add_u32 s2, s28, s2
	s_addc_u32 s3, s29, 0
	s_add_u32 s2, s2, 0xc4
	s_addc_u32 s3, s3, 0
	s_mul_i32 s4, s26, 12
	s_add_u32 s4, s28, s4
	s_addc_u32 s5, s29, 0
.LBB71_505:                             ; =>This Inner Loop Header: Depth=1
	s_load_dwordx2 s[8:9], s[4:5], 0x4
	s_load_dword s7, s[4:5], 0xc
	s_add_u32 s4, s4, 12
	s_addc_u32 s5, s5, 0
	s_waitcnt lgkmcnt(0)
	v_mul_hi_u32 v3, s9, v1
	s_load_dword s9, s[2:3], 0x0
	s_add_u32 s2, s2, 4
	s_addc_u32 s3, s3, 0
	v_add_u32_e32 v3, v1, v3
	v_lshrrev_b32_e32 v5, s7, v3
	v_mul_lo_u32 v3, v5, s8
	s_add_i32 s6, s6, -1
	s_cmp_lg_u32 s6, 0
	v_sub_u32_e32 v1, v1, v3
	s_waitcnt lgkmcnt(0)
	v_mad_u64_u32 v[2:3], s[8:9], v1, s9, v[2:3]
	v_mov_b32_e32 v1, v5
	s_cbranch_scc1 .LBB71_505
.LBB71_506:
	s_cbranch_execnz .LBB71_509
.LBB71_507:
	s_load_dwordx4 s[4:7], s[28:29], 0x4
	s_load_dword s2, s[28:29], 0xc4
	s_cmp_lt_u32 s33, 2
	s_waitcnt lgkmcnt(0)
	v_mul_hi_u32 v1, s5, v0
	v_add_u32_e32 v1, v0, v1
	v_lshrrev_b32_e32 v1, s6, v1
	v_mul_lo_u32 v2, v1, s4
	v_sub_u32_e32 v0, v0, v2
	v_mul_lo_u32 v2, v0, s2
	s_cbranch_scc1 .LBB71_509
; %bb.508:
	s_load_dwordx4 s[4:7], s[28:29], 0x10
	s_load_dword s2, s[28:29], 0xc8
	s_waitcnt lgkmcnt(0)
	v_mul_hi_u32 v0, s5, v1
	v_add_u32_e32 v0, v1, v0
	v_lshrrev_b32_e32 v0, s6, v0
	v_mul_lo_u32 v0, v0, s4
	v_sub_u32_e32 v0, v1, v0
	v_mad_u64_u32 v[2:3], s[2:3], v0, s2, v[2:3]
.LBB71_509:
	s_and_b64 vcc, exec, s[0:1]
	s_cbranch_vccnz .LBB71_515
; %bb.510:
	s_cmp_lg_u32 s33, 0
	s_mov_b32 s24, 0
	s_cbranch_scc0 .LBB71_516
; %bb.511:
	s_min_u32 s25, s80, 15
	s_add_i32 s25, s25, 1
	s_cmp_eq_u32 s80, 2
	s_cbranch_scc1 .LBB71_517
; %bb.512:
	s_and_b32 s24, s25, 28
	s_add_u32 s16, s28, 0xc4
	s_addc_u32 s17, s29, 0
	s_mov_b32 s26, 0
	v_mov_b32_e32 v0, 0
	s_mov_b64 s[18:19], s[28:29]
	v_mov_b32_e32 v1, v8
.LBB71_513:                             ; =>This Inner Loop Header: Depth=1
	s_load_dwordx8 s[0:7], s[18:19], 0x4
	s_load_dwordx4 s[8:11], s[18:19], 0x24
	s_load_dwordx4 s[12:15], s[16:17], 0x0
	s_add_u32 s18, s18, 48
	s_addc_u32 s19, s19, 0
	s_waitcnt lgkmcnt(0)
	v_mul_hi_u32 v3, s1, v1
	s_add_i32 s26, s26, 4
	s_add_u32 s16, s16, 16
	s_addc_u32 s17, s17, 0
	v_add_u32_e32 v3, v1, v3
	v_lshrrev_b32_e32 v3, s2, v3
	v_mul_lo_u32 v5, v3, s0
	v_mul_hi_u32 v7, s4, v3
	s_cmp_lg_u32 s24, s26
	v_sub_u32_e32 v1, v1, v5
	v_add_u32_e32 v5, v3, v7
	v_lshrrev_b32_e32 v5, s5, v5
	v_mul_lo_u32 v7, v1, s12
	v_mul_hi_u32 v1, s7, v5
	v_mul_lo_u32 v10, v5, s3
	v_add_u32_e32 v1, v5, v1
	v_lshrrev_b32_e32 v9, s8, v1
	v_mul_hi_u32 v1, s10, v9
	v_sub_u32_e32 v3, v3, v10
	v_mul_lo_u32 v10, v9, s6
	v_mul_lo_u32 v3, v3, s13
	v_add_u32_e32 v1, v9, v1
	v_lshrrev_b32_e32 v1, s11, v1
	v_mul_lo_u32 v11, v1, s9
	v_sub_u32_e32 v5, v5, v10
	v_mul_lo_u32 v5, v5, s14
	v_add3_u32 v0, v7, v0, v3
	v_sub_u32_e32 v9, v9, v11
	v_mul_lo_u32 v9, v9, s15
	v_add3_u32 v0, v5, v0, v9
	s_cbranch_scc1 .LBB71_513
; %bb.514:
	s_and_b32 s4, s25, 3
	s_cmp_eq_u32 s4, 0
	s_cbranch_scc0 .LBB71_518
	s_branch .LBB71_520
.LBB71_515:
                                        ; implicit-def: $vgpr0
	s_branch .LBB71_521
.LBB71_516:
	v_mov_b32_e32 v0, 0
	s_branch .LBB71_520
.LBB71_517:
	v_mov_b32_e32 v0, 0
	v_mov_b32_e32 v1, v8
	s_and_b32 s4, s25, 3
	s_cmp_eq_u32 s4, 0
	s_cbranch_scc1 .LBB71_520
.LBB71_518:
	s_lshl_b32 s0, s24, 2
	s_add_u32 s0, s28, s0
	s_addc_u32 s1, s29, 0
	s_add_u32 s0, s0, 0xc4
	s_addc_u32 s1, s1, 0
	s_mul_i32 s2, s24, 12
	s_add_u32 s2, s28, s2
	s_addc_u32 s3, s29, 0
.LBB71_519:                             ; =>This Inner Loop Header: Depth=1
	s_load_dwordx2 s[6:7], s[2:3], 0x4
	s_load_dword s5, s[2:3], 0xc
	s_add_u32 s2, s2, 12
	s_addc_u32 s3, s3, 0
	s_waitcnt lgkmcnt(0)
	v_mul_hi_u32 v3, s7, v1
	s_load_dword s7, s[0:1], 0x0
	s_add_u32 s0, s0, 4
	s_addc_u32 s1, s1, 0
	v_add_u32_e32 v3, v1, v3
	v_lshrrev_b32_e32 v3, s5, v3
	v_mul_lo_u32 v5, v3, s6
	s_add_i32 s4, s4, -1
	s_cmp_lg_u32 s4, 0
	v_sub_u32_e32 v1, v1, v5
	s_waitcnt lgkmcnt(0)
	v_mad_u64_u32 v[0:1], s[6:7], v1, s7, v[0:1]
	v_mov_b32_e32 v1, v3
	s_cbranch_scc1 .LBB71_519
.LBB71_520:
	s_cbranch_execnz .LBB71_523
.LBB71_521:
	s_load_dwordx4 s[0:3], s[28:29], 0x4
	s_waitcnt lgkmcnt(0)
	s_load_dword s3, s[28:29], 0xc4
	s_cmp_lt_u32 s33, 2
	v_mul_hi_u32 v0, s1, v8
	v_add_u32_e32 v0, v8, v0
	v_lshrrev_b32_e32 v1, s2, v0
	v_mul_lo_u32 v0, v1, s0
	v_sub_u32_e32 v0, v8, v0
	s_waitcnt lgkmcnt(0)
	v_mul_lo_u32 v0, v0, s3
	s_cbranch_scc1 .LBB71_523
; %bb.522:
	s_load_dwordx4 s[0:3], s[28:29], 0x10
	s_waitcnt lgkmcnt(0)
	s_load_dword s3, s[28:29], 0xc8
	v_mul_hi_u32 v3, s1, v1
	v_add_u32_e32 v3, v1, v3
	v_lshrrev_b32_e32 v3, s2, v3
	v_mul_lo_u32 v3, v3, s0
	v_sub_u32_e32 v1, v1, v3
	s_waitcnt lgkmcnt(0)
	v_mad_u64_u32 v[0:1], s[0:1], v1, s3, v[0:1]
.LBB71_523:
	s_load_dwordx4 s[0:3], s[28:29], 0x108
	s_load_dword s4, s[28:29], 0x118
	s_waitcnt lgkmcnt(0)
	v_mov_b32_e32 v1, s1
	s_and_b32 s14, s4, 0xff
	v_add_co_u32_e32 v5, vcc, s0, v6
	s_cmp_lt_i32 s14, 11
	v_addc_co_u32_e32 v6, vcc, 0, v1, vcc
	s_cbranch_scc1 .LBB71_551
; %bb.524:
	s_and_b32 s12, 0xffff, s14
	s_mov_b64 s[10:11], -1
	s_mov_b64 s[6:7], 0
	s_cmp_gt_i32 s12, 25
	s_mov_b64 s[8:9], 0
	s_mov_b64 s[4:5], 0
	s_cbranch_scc0 .LBB71_561
; %bb.525:
	s_cmp_gt_i32 s12, 28
	s_cbranch_scc0 .LBB71_540
; %bb.526:
	s_cmp_gt_i32 s12, 43
	;; [unrolled: 3-line block ×3, first 2 shown]
	s_cbranch_scc0 .LBB71_530
; %bb.528:
	s_mov_b64 s[4:5], -1
	s_mov_b64 s[10:11], 0
	s_cmp_eq_u32 s12, 46
	s_cbranch_scc0 .LBB71_530
; %bb.529:
	s_bfe_u32 s4, s2, 0x10010
	s_add_i32 s4, s2, s4
	s_addk_i32 s4, 0x7fff
	s_lshr_b32 s8, s4, 16
	s_bfe_u32 s4, s3, 0x10010
	s_add_i32 s4, s3, s4
	s_addk_i32 s4, 0x7fff
	s_and_b32 s9, s4, 0xffff0000
	v_cmp_o_f32_e64 s[4:5], s3, s3
	s_and_b64 s[4:5], s[4:5], exec
	v_cmp_o_f32_e64 s[4:5], s2, s2
	s_cselect_b32 s9, s9, 0x7fc00000
	s_and_b64 s[4:5], s[4:5], exec
	s_cselect_b32 s4, s8, 0x7fc0
	s_or_b32 s4, s9, s4
	v_mov_b32_e32 v1, s4
	global_store_dword v[5:6], v1, off
	s_mov_b64 s[4:5], 0
	s_mov_b64 s[8:9], -1
.LBB71_530:
	s_and_b64 vcc, exec, s[10:11]
	s_cbranch_vccz .LBB71_535
; %bb.531:
	s_cmp_eq_u32 s12, 44
	s_mov_b64 s[4:5], -1
	s_cbranch_scc0 .LBB71_535
; %bb.532:
	s_bfe_u32 s4, s2, 0x80017
	s_cmpk_eq_i32 s4, 0xff
	v_mov_b32_e32 v1, 0xff
	s_cbranch_scc1 .LBB71_534
; %bb.533:
	s_lshr_b32 s10, s2, 23
	s_bitcmp1_b32 s2, 22
	s_cselect_b64 s[8:9], -1, 0
	s_and_b32 s5, s2, 0x3fffff
	s_or_b32 s4, s4, s5
	s_cmp_lg_u32 s4, 0
	s_cselect_b64 s[4:5], -1, 0
	s_and_b64 s[4:5], s[8:9], s[4:5]
	v_cndmask_b32_e64 v1, 0, 1, s[4:5]
	v_add_u32_e32 v1, s10, v1
.LBB71_534:
	s_mov_b64 s[4:5], 0
	s_mov_b64 s[8:9], -1
	global_store_byte v[5:6], v1, off
.LBB71_535:
	s_mov_b64 s[10:11], 0
.LBB71_536:
	s_and_b64 vcc, exec, s[10:11]
	s_cbranch_vccz .LBB71_539
; %bb.537:
	s_cmp_eq_u32 s12, 29
	s_mov_b64 s[4:5], -1
	s_cbranch_scc0 .LBB71_539
; %bb.538:
	v_trunc_f32_e32 v1, s2
	v_mul_f32_e32 v3, 0x2f800000, v1
	v_floor_f32_e32 v3, v3
	v_fmac_f32_e32 v1, 0xcf800000, v3
	v_cvt_u32_f32_e32 v8, v3
	v_cvt_u32_f32_e32 v7, v1
	s_mov_b64 s[4:5], 0
	s_mov_b64 s[8:9], -1
	global_store_dwordx2 v[5:6], v[7:8], off
.LBB71_539:
	s_mov_b64 s[10:11], 0
.LBB71_540:
	s_and_b64 vcc, exec, s[10:11]
	s_cbranch_vccz .LBB71_560
; %bb.541:
	s_cmp_lt_i32 s12, 27
	s_mov_b64 s[8:9], -1
	s_cbranch_scc1 .LBB71_547
; %bb.542:
	s_cmp_gt_i32 s12, 27
	s_cbranch_scc0 .LBB71_544
; %bb.543:
	v_cvt_u32_f32_e32 v1, s2
	s_mov_b64 s[8:9], 0
	global_store_dword v[5:6], v1, off
.LBB71_544:
	s_andn2_b64 vcc, exec, s[8:9]
	s_cbranch_vccnz .LBB71_546
; %bb.545:
	v_cvt_u32_f32_e32 v1, s2
	global_store_short v[5:6], v1, off
.LBB71_546:
	s_mov_b64 s[8:9], 0
.LBB71_547:
	s_andn2_b64 vcc, exec, s[8:9]
	s_cbranch_vccnz .LBB71_559
; %bb.548:
	s_and_b32 s8, s2, 0x7fffffff
	s_cmp_gt_u32 s8, 0x437fffff
	v_mov_b32_e32 v3, 0x80
	s_cbranch_scc1 .LBB71_558
; %bb.549:
	s_cmp_gt_u32 s8, 0x3bffffff
	s_cbranch_scc0 .LBB71_553
; %bb.550:
	s_bfe_u32 s8, s2, 0x10014
	s_add_i32 s8, s2, s8
	s_add_i32 s8, s8, 0x487ffff
	s_lshr_b32 s13, s8, 20
	s_mov_b64 s[10:11], 0
	s_mov_b64 s[8:9], -1
	s_branch .LBB71_554
.LBB71_551:
	s_mov_b64 s[8:9], 0
	s_mov_b64 s[4:5], s[20:21]
	s_cbranch_execnz .LBB71_611
.LBB71_552:
	s_andn2_b64 vcc, exec, s[8:9]
	s_cbranch_vccz .LBB71_649
	s_branch .LBB71_947
.LBB71_553:
	s_mov_b64 s[10:11], -1
	s_mov_b64 s[8:9], 0
                                        ; implicit-def: $sgpr13
.LBB71_554:
	s_andn2_b64 vcc, exec, s[10:11]
	v_mov_b32_e32 v1, s13
	s_cbranch_vccnz .LBB71_556
; %bb.555:
	v_mov_b32_e32 v1, 0x46000000
	v_add_f32_e64 v1, |s2|, v1
	v_and_b32_e32 v1, 0xff, v1
	v_cmp_ne_u32_e64 s[8:9], 0, v1
.LBB71_556:
	s_andn2_b64 vcc, exec, s[8:9]
	v_mov_b32_e32 v3, 0
	s_cbranch_vccnz .LBB71_558
; %bb.557:
	s_lshr_b32 s8, s2, 24
	s_and_b32 s8, s8, 0x80
	v_or_b32_e32 v3, s8, v1
.LBB71_558:
	global_store_byte v[5:6], v3, off
.LBB71_559:
	s_mov_b64 s[8:9], -1
.LBB71_560:
	s_mov_b64 s[10:11], 0
.LBB71_561:
	s_and_b64 vcc, exec, s[10:11]
	s_cbranch_vccz .LBB71_607
; %bb.562:
	s_cmp_gt_i32 s12, 22
	s_mov_b64 s[6:7], -1
	s_cbranch_scc0 .LBB71_600
; %bb.563:
	s_cmp_lt_i32 s12, 24
	s_cbranch_scc1 .LBB71_587
; %bb.564:
	s_cmp_gt_i32 s12, 24
	s_cbranch_scc0 .LBB71_574
; %bb.565:
	s_and_b32 s6, s2, 0x7fffffff
	s_cmp_gt_u32 s6, 0x477fffff
	v_mov_b32_e32 v3, 0x80
	s_cbranch_scc1 .LBB71_573
; %bb.566:
	s_cmp_gt_u32 s6, 0x37ffffff
	s_cbranch_scc0 .LBB71_568
; %bb.567:
	s_bfe_u32 s6, s2, 0x10015
	s_add_i32 s6, s2, s6
	s_add_i32 s6, s6, 0x88fffff
	s_lshr_b32 s10, s6, 21
	s_mov_b64 s[8:9], 0
	s_mov_b64 s[6:7], -1
	s_branch .LBB71_569
.LBB71_568:
	s_mov_b64 s[8:9], -1
	s_mov_b64 s[6:7], 0
                                        ; implicit-def: $sgpr10
.LBB71_569:
	s_andn2_b64 vcc, exec, s[8:9]
	v_mov_b32_e32 v1, s10
	s_cbranch_vccnz .LBB71_571
; %bb.570:
	v_mov_b32_e32 v1, 0x42800000
	v_add_f32_e64 v1, |s2|, v1
	v_and_b32_e32 v1, 0xff, v1
	v_cmp_ne_u32_e64 s[6:7], 0, v1
.LBB71_571:
	s_andn2_b64 vcc, exec, s[6:7]
	v_mov_b32_e32 v3, 0
	s_cbranch_vccnz .LBB71_573
; %bb.572:
	s_lshr_b32 s6, s2, 24
	s_and_b32 s6, s6, 0x80
	v_or_b32_e32 v3, s6, v1
.LBB71_573:
	s_mov_b64 s[6:7], 0
	global_store_byte v[5:6], v3, off
.LBB71_574:
	s_and_b64 vcc, exec, s[6:7]
	s_cbranch_vccz .LBB71_586
; %bb.575:
	s_and_b32 s8, s2, 0x7fffffff
	s_cmp_lt_u32 s8, 0x43f00000
	s_cbranch_scc0 .LBB71_578
; %bb.576:
	s_cmp_gt_u32 s8, 0x3c7fffff
	s_cbranch_scc0 .LBB71_579
; %bb.577:
	s_bfe_u32 s6, s2, 0x10014
	s_add_i32 s6, s2, s6
	s_add_i32 s6, s6, 0x407ffff
	s_lshr_b32 s7, s6, 20
	s_and_b32 s6, s6, 0xff00000
	s_cmp_lg_u32 s6, 0x7f00000
	s_cselect_b32 s9, s7, 0x7e
	s_mov_b64 s[6:7], 0
	s_branch .LBB71_580
.LBB71_578:
	s_mov_b64 s[6:7], -1
                                        ; implicit-def: $vgpr1
	s_branch .LBB71_583
.LBB71_579:
	s_mov_b64 s[6:7], -1
                                        ; implicit-def: $sgpr9
.LBB71_580:
	s_andn2_b64 vcc, exec, s[6:7]
	v_mov_b32_e32 v1, s9
	s_cbranch_vccnz .LBB71_582
; %bb.581:
	v_mov_b32_e32 v1, 0x46800000
	v_add_f32_e64 v1, |s2|, v1
.LBB71_582:
	s_mov_b64 s[6:7], 0
.LBB71_583:
	s_andn2_b64 vcc, exec, s[6:7]
	s_cbranch_vccnz .LBB71_585
; %bb.584:
	s_cmp_gt_u32 s8, 0x7f800000
	s_movk_i32 s6, 0x7f
	s_cselect_b32 s6, s6, 0x7e
	v_mov_b32_e32 v1, s6
.LBB71_585:
	s_lshr_b32 s6, s2, 24
	s_and_b32 s6, s6, 0x80
	v_or_b32_e32 v1, s6, v1
	global_store_byte v[5:6], v1, off
.LBB71_586:
	s_mov_b64 s[6:7], 0
.LBB71_587:
	s_andn2_b64 vcc, exec, s[6:7]
	s_cbranch_vccnz .LBB71_599
; %bb.588:
	s_and_b32 s8, s2, 0x7fffffff
	s_cmp_lt_u32 s8, 0x47800000
	s_cbranch_scc0 .LBB71_591
; %bb.589:
	s_cmp_gt_u32 s8, 0x387fffff
	s_cbranch_scc0 .LBB71_592
; %bb.590:
	s_bfe_u32 s6, s2, 0x10015
	s_add_i32 s6, s2, s6
	s_add_i32 s6, s6, 0x80fffff
	s_lshr_b32 s9, s6, 21
	s_mov_b64 s[6:7], 0
	s_branch .LBB71_593
.LBB71_591:
	s_mov_b64 s[6:7], -1
                                        ; implicit-def: $vgpr1
	s_branch .LBB71_596
.LBB71_592:
	s_mov_b64 s[6:7], -1
                                        ; implicit-def: $sgpr9
.LBB71_593:
	s_andn2_b64 vcc, exec, s[6:7]
	v_mov_b32_e32 v1, s9
	s_cbranch_vccnz .LBB71_595
; %bb.594:
	v_mov_b32_e32 v1, 0x43000000
	v_add_f32_e64 v1, |s2|, v1
.LBB71_595:
	s_mov_b64 s[6:7], 0
.LBB71_596:
	s_andn2_b64 vcc, exec, s[6:7]
	s_cbranch_vccnz .LBB71_598
; %bb.597:
	s_cmp_gt_u32 s8, 0x7f800000
	s_movk_i32 s6, 0x7f
	s_cselect_b32 s6, s6, 0x7c
	v_mov_b32_e32 v1, s6
.LBB71_598:
	s_lshr_b32 s6, s2, 24
	s_and_b32 s6, s6, 0x80
	v_or_b32_e32 v1, s6, v1
	global_store_byte v[5:6], v1, off
.LBB71_599:
	s_mov_b64 s[6:7], 0
	s_mov_b64 s[8:9], -1
.LBB71_600:
	s_andn2_b64 vcc, exec, s[6:7]
	s_mov_b64 s[6:7], 0
	s_cbranch_vccnz .LBB71_607
; %bb.601:
	s_cmp_gt_i32 s12, 14
	s_mov_b64 s[10:11], -1
	s_cbranch_scc0 .LBB71_605
; %bb.602:
	s_cmp_eq_u32 s12, 15
	s_mov_b64 s[4:5], -1
	s_cbranch_scc0 .LBB71_604
; %bb.603:
	s_bfe_u32 s4, s2, 0x10010
	s_add_i32 s4, s2, s4
	s_addk_i32 s4, 0x7fff
	s_lshr_b32 s6, s4, 16
	v_cmp_o_f32_e64 s[4:5], s2, s2
	s_and_b64 s[4:5], s[4:5], exec
	s_cselect_b32 s4, s6, 0x7fc0
	v_mov_b32_e32 v1, s4
	global_store_short v[5:6], v1, off
	s_mov_b64 s[4:5], 0
	s_mov_b64 s[8:9], -1
.LBB71_604:
	s_mov_b64 s[10:11], 0
.LBB71_605:
	s_mov_b64 s[6:7], 0
	s_and_b64 vcc, exec, s[10:11]
	s_cbranch_vccz .LBB71_607
; %bb.606:
	s_cmp_lg_u32 s12, 11
	s_mov_b64 s[6:7], -1
	s_cselect_b64 s[4:5], -1, 0
.LBB71_607:
	s_and_b64 vcc, exec, s[4:5]
	s_mov_b64 s[4:5], s[20:21]
	s_cbranch_vccnz .LBB71_679
; %bb.608:
	s_andn2_b64 vcc, exec, s[6:7]
	s_cbranch_vccnz .LBB71_610
.LBB71_609:
	s_or_b32 s6, s2, s3
	s_bitset0_b32 s6, 31
	s_cmp_lg_u32 s6, 0
	s_cselect_b64 s[6:7], -1, 0
	v_cndmask_b32_e64 v1, 0, 1, s[6:7]
	global_store_byte v[5:6], v1, off
	s_mov_b64 s[8:9], -1
.LBB71_610:
	s_branch .LBB71_552
.LBB71_611:
	s_and_b32 s8, 0xffff, s14
	s_cmp_lt_i32 s8, 5
	s_mov_b64 s[6:7], -1
	s_cbranch_scc1 .LBB71_632
; %bb.612:
	s_cmp_lt_i32 s8, 8
	s_cbranch_scc1 .LBB71_622
; %bb.613:
	s_cmp_lt_i32 s8, 9
	s_cbranch_scc1 .LBB71_619
; %bb.614:
	s_cmp_gt_i32 s8, 9
	s_cbranch_scc0 .LBB71_616
; %bb.615:
	v_cvt_f64_f32_e32 v[7:8], s2
	v_cvt_f64_f32_e32 v[9:10], s3
	s_mov_b64 s[6:7], 0
	global_store_dwordx4 v[5:6], v[7:10], off
.LBB71_616:
	s_andn2_b64 vcc, exec, s[6:7]
	s_cbranch_vccnz .LBB71_618
; %bb.617:
	v_mov_b32_e32 v7, s2
	v_mov_b32_e32 v8, s3
	global_store_dwordx2 v[5:6], v[7:8], off
.LBB71_618:
	s_mov_b64 s[6:7], 0
.LBB71_619:
	s_andn2_b64 vcc, exec, s[6:7]
	s_cbranch_vccnz .LBB71_621
; %bb.620:
	v_cvt_f16_f32_e32 v1, s2
	v_cvt_f16_f32_sdwa v3, s3 dst_sel:WORD_1 dst_unused:UNUSED_PAD src0_sel:DWORD
	v_or_b32_e32 v1, v3, v1
	global_store_dword v[5:6], v1, off
.LBB71_621:
	s_mov_b64 s[6:7], 0
.LBB71_622:
	s_andn2_b64 vcc, exec, s[6:7]
	s_cbranch_vccnz .LBB71_631
; %bb.623:
	s_cmp_lt_i32 s8, 6
	s_mov_b64 s[6:7], -1
	s_cbranch_scc1 .LBB71_629
; %bb.624:
	s_cmp_gt_i32 s8, 6
	s_cbranch_scc0 .LBB71_626
; %bb.625:
	v_cvt_f64_f32_e32 v[7:8], s2
	s_mov_b64 s[6:7], 0
	global_store_dwordx2 v[5:6], v[7:8], off
.LBB71_626:
	s_andn2_b64 vcc, exec, s[6:7]
	s_cbranch_vccnz .LBB71_628
; %bb.627:
	v_mov_b32_e32 v1, s2
	global_store_dword v[5:6], v1, off
.LBB71_628:
	s_mov_b64 s[6:7], 0
.LBB71_629:
	s_andn2_b64 vcc, exec, s[6:7]
	s_cbranch_vccnz .LBB71_631
; %bb.630:
	v_cvt_f16_f32_e32 v1, s2
	global_store_short v[5:6], v1, off
.LBB71_631:
	s_mov_b64 s[6:7], 0
.LBB71_632:
	s_andn2_b64 vcc, exec, s[6:7]
	s_cbranch_vccnz .LBB71_648
; %bb.633:
	s_cmp_lt_i32 s8, 2
	s_mov_b64 s[6:7], -1
	s_cbranch_scc1 .LBB71_643
; %bb.634:
	s_cmp_lt_i32 s8, 3
	s_cbranch_scc1 .LBB71_640
; %bb.635:
	s_cmp_gt_i32 s8, 3
	s_cbranch_scc0 .LBB71_637
; %bb.636:
	v_trunc_f32_e32 v1, s2
	s_mov_b32 s6, 0x2f800000
	v_mul_f32_e64 v3, |v1|, s6
	v_floor_f32_e32 v3, v3
	s_mov_b32 s6, 0xcf800000
	v_fma_f32 v7, v3, s6, |v1|
	v_cvt_u32_f32_e32 v7, v7
	v_cvt_u32_f32_e32 v3, v3
	v_ashrrev_i32_e32 v1, 31, v1
	s_mov_b64 s[6:7], 0
	v_xor_b32_e32 v7, v7, v1
	v_xor_b32_e32 v3, v3, v1
	v_sub_co_u32_e32 v7, vcc, v7, v1
	v_subb_co_u32_e32 v8, vcc, v3, v1, vcc
	global_store_dwordx2 v[5:6], v[7:8], off
.LBB71_637:
	s_andn2_b64 vcc, exec, s[6:7]
	s_cbranch_vccnz .LBB71_639
; %bb.638:
	v_cvt_i32_f32_e32 v1, s2
	global_store_dword v[5:6], v1, off
.LBB71_639:
	s_mov_b64 s[6:7], 0
.LBB71_640:
	s_andn2_b64 vcc, exec, s[6:7]
	s_cbranch_vccnz .LBB71_642
; %bb.641:
	v_cvt_i32_f32_e32 v1, s2
	global_store_short v[5:6], v1, off
.LBB71_642:
	s_mov_b64 s[6:7], 0
.LBB71_643:
	s_andn2_b64 vcc, exec, s[6:7]
	s_cbranch_vccnz .LBB71_648
; %bb.644:
	s_cmp_gt_i32 s8, 0
	s_mov_b64 s[6:7], -1
	s_cbranch_scc0 .LBB71_646
; %bb.645:
	v_cvt_i32_f32_e32 v1, s2
	s_mov_b64 s[6:7], 0
	global_store_byte v[5:6], v1, off
.LBB71_646:
	s_andn2_b64 vcc, exec, s[6:7]
	s_cbranch_vccnz .LBB71_648
; %bb.647:
	v_trunc_f32_e32 v1, s2
	s_mov_b32 s6, 0x2f800000
	v_mul_f32_e64 v3, |v1|, s6
	v_floor_f32_e32 v3, v3
	s_mov_b32 s6, 0xcf800000
	v_fma_f32 v3, v3, s6, |v1|
	v_cvt_u32_f32_e32 v3, v3
	v_ashrrev_i32_e32 v1, 31, v1
	v_xor_b32_e32 v3, v3, v1
	v_sub_u32_e32 v1, v3, v1
	global_store_byte v[5:6], v1, off
.LBB71_648:
.LBB71_649:
	v_mov_b32_e32 v1, s1
	s_and_b32 s15, 0xffff, s14
	v_add_co_u32_e32 v3, vcc, s0, v4
	s_cmp_lt_i32 s15, 11
	v_addc_co_u32_e32 v4, vcc, 0, v1, vcc
	s_cbranch_scc1 .LBB71_677
; %bb.650:
	s_mov_b64 s[12:13], -1
	s_mov_b64 s[8:9], 0
	s_cmp_gt_i32 s15, 25
	s_mov_b64 s[10:11], 0
	s_mov_b64 s[6:7], 0
	s_cbranch_scc0 .LBB71_688
; %bb.651:
	s_cmp_gt_i32 s15, 28
	s_cbranch_scc0 .LBB71_666
; %bb.652:
	s_cmp_gt_i32 s15, 43
	;; [unrolled: 3-line block ×3, first 2 shown]
	s_cbranch_scc0 .LBB71_656
; %bb.654:
	s_mov_b64 s[6:7], -1
	s_mov_b64 s[12:13], 0
	s_cmp_eq_u32 s15, 46
	s_cbranch_scc0 .LBB71_656
; %bb.655:
	s_bfe_u32 s6, s2, 0x10010
	s_add_i32 s6, s2, s6
	s_addk_i32 s6, 0x7fff
	s_lshr_b32 s10, s6, 16
	s_bfe_u32 s6, s3, 0x10010
	s_add_i32 s6, s3, s6
	s_addk_i32 s6, 0x7fff
	s_and_b32 s11, s6, 0xffff0000
	v_cmp_o_f32_e64 s[6:7], s3, s3
	s_and_b64 s[6:7], s[6:7], exec
	v_cmp_o_f32_e64 s[6:7], s2, s2
	s_cselect_b32 s11, s11, 0x7fc00000
	s_and_b64 s[6:7], s[6:7], exec
	s_cselect_b32 s6, s10, 0x7fc0
	s_or_b32 s6, s11, s6
	v_mov_b32_e32 v1, s6
	global_store_dword v[3:4], v1, off
	s_mov_b64 s[6:7], 0
	s_mov_b64 s[10:11], -1
.LBB71_656:
	s_and_b64 vcc, exec, s[12:13]
	s_cbranch_vccz .LBB71_661
; %bb.657:
	s_cmp_eq_u32 s15, 44
	s_mov_b64 s[6:7], -1
	s_cbranch_scc0 .LBB71_661
; %bb.658:
	s_bfe_u32 s6, s2, 0x80017
	s_cmpk_eq_i32 s6, 0xff
	v_mov_b32_e32 v1, 0xff
	s_cbranch_scc1 .LBB71_660
; %bb.659:
	s_lshr_b32 s12, s2, 23
	s_bitcmp1_b32 s2, 22
	s_cselect_b64 s[10:11], -1, 0
	s_and_b32 s7, s2, 0x3fffff
	s_or_b32 s6, s6, s7
	s_cmp_lg_u32 s6, 0
	s_cselect_b64 s[6:7], -1, 0
	s_and_b64 s[6:7], s[10:11], s[6:7]
	v_cndmask_b32_e64 v1, 0, 1, s[6:7]
	v_add_u32_e32 v1, s12, v1
.LBB71_660:
	s_mov_b64 s[6:7], 0
	s_mov_b64 s[10:11], -1
	global_store_byte v[3:4], v1, off
.LBB71_661:
	s_mov_b64 s[12:13], 0
.LBB71_662:
	s_and_b64 vcc, exec, s[12:13]
	s_cbranch_vccz .LBB71_665
; %bb.663:
	s_cmp_eq_u32 s15, 29
	s_mov_b64 s[6:7], -1
	s_cbranch_scc0 .LBB71_665
; %bb.664:
	v_trunc_f32_e32 v1, s2
	v_mul_f32_e32 v5, 0x2f800000, v1
	v_floor_f32_e32 v5, v5
	v_fmac_f32_e32 v1, 0xcf800000, v5
	v_cvt_u32_f32_e32 v6, v5
	v_cvt_u32_f32_e32 v5, v1
	s_mov_b64 s[6:7], 0
	s_mov_b64 s[10:11], -1
	global_store_dwordx2 v[3:4], v[5:6], off
.LBB71_665:
	s_mov_b64 s[12:13], 0
.LBB71_666:
	s_and_b64 vcc, exec, s[12:13]
	s_cbranch_vccz .LBB71_687
; %bb.667:
	s_cmp_lt_i32 s15, 27
	s_mov_b64 s[10:11], -1
	s_cbranch_scc1 .LBB71_673
; %bb.668:
	s_cmp_gt_i32 s15, 27
	s_cbranch_scc0 .LBB71_670
; %bb.669:
	v_cvt_u32_f32_e32 v1, s2
	s_mov_b64 s[10:11], 0
	global_store_dword v[3:4], v1, off
.LBB71_670:
	s_andn2_b64 vcc, exec, s[10:11]
	s_cbranch_vccnz .LBB71_672
; %bb.671:
	v_cvt_u32_f32_e32 v1, s2
	global_store_short v[3:4], v1, off
.LBB71_672:
	s_mov_b64 s[10:11], 0
.LBB71_673:
	s_andn2_b64 vcc, exec, s[10:11]
	s_cbranch_vccnz .LBB71_686
; %bb.674:
	s_and_b32 s10, s2, 0x7fffffff
	s_cmp_gt_u32 s10, 0x437fffff
	v_mov_b32_e32 v5, 0x80
	s_cbranch_scc1 .LBB71_685
; %bb.675:
	s_cmp_gt_u32 s10, 0x3bffffff
	s_cbranch_scc0 .LBB71_680
; %bb.676:
	s_bfe_u32 s10, s2, 0x10014
	s_add_i32 s10, s2, s10
	s_add_i32 s10, s10, 0x487ffff
	s_lshr_b32 s16, s10, 20
	s_mov_b64 s[12:13], 0
	s_mov_b64 s[10:11], -1
	s_branch .LBB71_681
.LBB71_677:
	s_mov_b64 s[10:11], 0
	s_cbranch_execnz .LBB71_738
.LBB71_678:
	s_andn2_b64 vcc, exec, s[10:11]
	s_cbranch_vccz .LBB71_776
	s_branch .LBB71_947
.LBB71_679:
	s_or_b64 s[4:5], s[20:21], exec
	s_trap 2
	s_cbranch_execz .LBB71_609
	s_branch .LBB71_610
.LBB71_680:
	s_mov_b64 s[12:13], -1
	s_mov_b64 s[10:11], 0
                                        ; implicit-def: $sgpr16
.LBB71_681:
	s_andn2_b64 vcc, exec, s[12:13]
	v_mov_b32_e32 v1, s16
	s_cbranch_vccnz .LBB71_683
; %bb.682:
	v_mov_b32_e32 v1, 0x46000000
	v_add_f32_e64 v1, |s2|, v1
	v_and_b32_e32 v1, 0xff, v1
	v_cmp_ne_u32_e64 s[10:11], 0, v1
.LBB71_683:
	s_andn2_b64 vcc, exec, s[10:11]
	v_mov_b32_e32 v5, 0
	s_cbranch_vccnz .LBB71_685
; %bb.684:
	s_lshr_b32 s10, s2, 24
	s_and_b32 s10, s10, 0x80
	v_or_b32_e32 v5, s10, v1
.LBB71_685:
	global_store_byte v[3:4], v5, off
.LBB71_686:
	s_mov_b64 s[10:11], -1
.LBB71_687:
	s_mov_b64 s[12:13], 0
.LBB71_688:
	s_and_b64 vcc, exec, s[12:13]
	s_cbranch_vccz .LBB71_734
; %bb.689:
	s_cmp_gt_i32 s15, 22
	s_mov_b64 s[8:9], -1
	s_cbranch_scc0 .LBB71_727
; %bb.690:
	s_cmp_lt_i32 s15, 24
	s_cbranch_scc1 .LBB71_714
; %bb.691:
	s_cmp_gt_i32 s15, 24
	s_cbranch_scc0 .LBB71_701
; %bb.692:
	s_and_b32 s8, s2, 0x7fffffff
	s_cmp_gt_u32 s8, 0x477fffff
	v_mov_b32_e32 v5, 0x80
	s_cbranch_scc1 .LBB71_700
; %bb.693:
	s_cmp_gt_u32 s8, 0x37ffffff
	s_cbranch_scc0 .LBB71_695
; %bb.694:
	s_bfe_u32 s8, s2, 0x10015
	s_add_i32 s8, s2, s8
	s_add_i32 s8, s8, 0x88fffff
	s_lshr_b32 s12, s8, 21
	s_mov_b64 s[10:11], 0
	s_mov_b64 s[8:9], -1
	s_branch .LBB71_696
.LBB71_695:
	s_mov_b64 s[10:11], -1
	s_mov_b64 s[8:9], 0
                                        ; implicit-def: $sgpr12
.LBB71_696:
	s_andn2_b64 vcc, exec, s[10:11]
	v_mov_b32_e32 v1, s12
	s_cbranch_vccnz .LBB71_698
; %bb.697:
	v_mov_b32_e32 v1, 0x42800000
	v_add_f32_e64 v1, |s2|, v1
	v_and_b32_e32 v1, 0xff, v1
	v_cmp_ne_u32_e64 s[8:9], 0, v1
.LBB71_698:
	s_andn2_b64 vcc, exec, s[8:9]
	v_mov_b32_e32 v5, 0
	s_cbranch_vccnz .LBB71_700
; %bb.699:
	s_lshr_b32 s8, s2, 24
	s_and_b32 s8, s8, 0x80
	v_or_b32_e32 v5, s8, v1
.LBB71_700:
	s_mov_b64 s[8:9], 0
	global_store_byte v[3:4], v5, off
.LBB71_701:
	s_and_b64 vcc, exec, s[8:9]
	s_cbranch_vccz .LBB71_713
; %bb.702:
	s_and_b32 s10, s2, 0x7fffffff
	s_cmp_lt_u32 s10, 0x43f00000
	s_cbranch_scc0 .LBB71_705
; %bb.703:
	s_cmp_gt_u32 s10, 0x3c7fffff
	s_cbranch_scc0 .LBB71_706
; %bb.704:
	s_bfe_u32 s8, s2, 0x10014
	s_add_i32 s8, s2, s8
	s_add_i32 s8, s8, 0x407ffff
	s_lshr_b32 s9, s8, 20
	s_and_b32 s8, s8, 0xff00000
	s_cmp_lg_u32 s8, 0x7f00000
	s_cselect_b32 s11, s9, 0x7e
	s_mov_b64 s[8:9], 0
	s_branch .LBB71_707
.LBB71_705:
	s_mov_b64 s[8:9], -1
                                        ; implicit-def: $vgpr1
	s_branch .LBB71_710
.LBB71_706:
	s_mov_b64 s[8:9], -1
                                        ; implicit-def: $sgpr11
.LBB71_707:
	s_andn2_b64 vcc, exec, s[8:9]
	v_mov_b32_e32 v1, s11
	s_cbranch_vccnz .LBB71_709
; %bb.708:
	v_mov_b32_e32 v1, 0x46800000
	v_add_f32_e64 v1, |s2|, v1
.LBB71_709:
	s_mov_b64 s[8:9], 0
.LBB71_710:
	s_andn2_b64 vcc, exec, s[8:9]
	s_cbranch_vccnz .LBB71_712
; %bb.711:
	s_cmp_gt_u32 s10, 0x7f800000
	s_movk_i32 s8, 0x7f
	s_cselect_b32 s8, s8, 0x7e
	v_mov_b32_e32 v1, s8
.LBB71_712:
	s_lshr_b32 s8, s2, 24
	s_and_b32 s8, s8, 0x80
	v_or_b32_e32 v1, s8, v1
	global_store_byte v[3:4], v1, off
.LBB71_713:
	s_mov_b64 s[8:9], 0
.LBB71_714:
	s_andn2_b64 vcc, exec, s[8:9]
	s_cbranch_vccnz .LBB71_726
; %bb.715:
	s_and_b32 s10, s2, 0x7fffffff
	s_cmp_lt_u32 s10, 0x47800000
	s_cbranch_scc0 .LBB71_718
; %bb.716:
	s_cmp_gt_u32 s10, 0x387fffff
	s_cbranch_scc0 .LBB71_719
; %bb.717:
	s_bfe_u32 s8, s2, 0x10015
	s_add_i32 s8, s2, s8
	s_add_i32 s8, s8, 0x80fffff
	s_lshr_b32 s11, s8, 21
	s_mov_b64 s[8:9], 0
	s_branch .LBB71_720
.LBB71_718:
	s_mov_b64 s[8:9], -1
                                        ; implicit-def: $vgpr1
	s_branch .LBB71_723
.LBB71_719:
	s_mov_b64 s[8:9], -1
                                        ; implicit-def: $sgpr11
.LBB71_720:
	s_andn2_b64 vcc, exec, s[8:9]
	v_mov_b32_e32 v1, s11
	s_cbranch_vccnz .LBB71_722
; %bb.721:
	v_mov_b32_e32 v1, 0x43000000
	v_add_f32_e64 v1, |s2|, v1
.LBB71_722:
	s_mov_b64 s[8:9], 0
.LBB71_723:
	s_andn2_b64 vcc, exec, s[8:9]
	s_cbranch_vccnz .LBB71_725
; %bb.724:
	s_cmp_gt_u32 s10, 0x7f800000
	s_movk_i32 s8, 0x7f
	s_cselect_b32 s8, s8, 0x7c
	v_mov_b32_e32 v1, s8
.LBB71_725:
	s_lshr_b32 s8, s2, 24
	s_and_b32 s8, s8, 0x80
	v_or_b32_e32 v1, s8, v1
	global_store_byte v[3:4], v1, off
.LBB71_726:
	s_mov_b64 s[8:9], 0
	s_mov_b64 s[10:11], -1
.LBB71_727:
	s_andn2_b64 vcc, exec, s[8:9]
	s_mov_b64 s[8:9], 0
	s_cbranch_vccnz .LBB71_734
; %bb.728:
	s_cmp_gt_i32 s15, 14
	s_mov_b64 s[12:13], -1
	s_cbranch_scc0 .LBB71_732
; %bb.729:
	s_cmp_eq_u32 s15, 15
	s_mov_b64 s[6:7], -1
	s_cbranch_scc0 .LBB71_731
; %bb.730:
	s_bfe_u32 s6, s2, 0x10010
	s_add_i32 s6, s2, s6
	s_addk_i32 s6, 0x7fff
	s_lshr_b32 s8, s6, 16
	v_cmp_o_f32_e64 s[6:7], s2, s2
	s_and_b64 s[6:7], s[6:7], exec
	s_cselect_b32 s6, s8, 0x7fc0
	v_mov_b32_e32 v1, s6
	global_store_short v[3:4], v1, off
	s_mov_b64 s[6:7], 0
	s_mov_b64 s[10:11], -1
.LBB71_731:
	s_mov_b64 s[12:13], 0
.LBB71_732:
	s_mov_b64 s[8:9], 0
	s_and_b64 vcc, exec, s[12:13]
	s_cbranch_vccz .LBB71_734
; %bb.733:
	s_cmp_lg_u32 s15, 11
	s_mov_b64 s[8:9], -1
	s_cselect_b64 s[6:7], -1, 0
.LBB71_734:
	s_and_b64 vcc, exec, s[6:7]
	s_cbranch_vccnz .LBB71_836
; %bb.735:
	s_andn2_b64 vcc, exec, s[8:9]
	s_cbranch_vccnz .LBB71_737
.LBB71_736:
	s_or_b32 s6, s2, s3
	s_bitset0_b32 s6, 31
	s_cmp_lg_u32 s6, 0
	s_cselect_b64 s[6:7], -1, 0
	v_cndmask_b32_e64 v1, 0, 1, s[6:7]
	s_mov_b64 s[10:11], -1
	global_store_byte v[3:4], v1, off
.LBB71_737:
	s_branch .LBB71_678
.LBB71_738:
	s_cmp_lt_i32 s15, 5
	s_mov_b64 s[6:7], -1
	s_cbranch_scc1 .LBB71_759
; %bb.739:
	s_cmp_lt_i32 s15, 8
	s_cbranch_scc1 .LBB71_749
; %bb.740:
	s_cmp_lt_i32 s15, 9
	s_cbranch_scc1 .LBB71_746
; %bb.741:
	s_cmp_gt_i32 s15, 9
	s_cbranch_scc0 .LBB71_743
; %bb.742:
	v_cvt_f64_f32_e32 v[5:6], s2
	v_cvt_f64_f32_e32 v[7:8], s3
	s_mov_b64 s[6:7], 0
	global_store_dwordx4 v[3:4], v[5:8], off
.LBB71_743:
	s_andn2_b64 vcc, exec, s[6:7]
	s_cbranch_vccnz .LBB71_745
; %bb.744:
	v_mov_b32_e32 v5, s2
	v_mov_b32_e32 v6, s3
	global_store_dwordx2 v[3:4], v[5:6], off
.LBB71_745:
	s_mov_b64 s[6:7], 0
.LBB71_746:
	s_andn2_b64 vcc, exec, s[6:7]
	s_cbranch_vccnz .LBB71_748
; %bb.747:
	v_cvt_f16_f32_e32 v1, s2
	v_cvt_f16_f32_sdwa v5, s3 dst_sel:WORD_1 dst_unused:UNUSED_PAD src0_sel:DWORD
	v_or_b32_e32 v1, v5, v1
	global_store_dword v[3:4], v1, off
.LBB71_748:
	s_mov_b64 s[6:7], 0
.LBB71_749:
	s_andn2_b64 vcc, exec, s[6:7]
	s_cbranch_vccnz .LBB71_758
; %bb.750:
	s_cmp_lt_i32 s15, 6
	s_mov_b64 s[6:7], -1
	s_cbranch_scc1 .LBB71_756
; %bb.751:
	s_cmp_gt_i32 s15, 6
	s_cbranch_scc0 .LBB71_753
; %bb.752:
	v_cvt_f64_f32_e32 v[5:6], s2
	s_mov_b64 s[6:7], 0
	global_store_dwordx2 v[3:4], v[5:6], off
.LBB71_753:
	s_andn2_b64 vcc, exec, s[6:7]
	s_cbranch_vccnz .LBB71_755
; %bb.754:
	v_mov_b32_e32 v1, s2
	global_store_dword v[3:4], v1, off
.LBB71_755:
	s_mov_b64 s[6:7], 0
.LBB71_756:
	s_andn2_b64 vcc, exec, s[6:7]
	s_cbranch_vccnz .LBB71_758
; %bb.757:
	v_cvt_f16_f32_e32 v1, s2
	global_store_short v[3:4], v1, off
.LBB71_758:
	s_mov_b64 s[6:7], 0
.LBB71_759:
	s_andn2_b64 vcc, exec, s[6:7]
	s_cbranch_vccnz .LBB71_775
; %bb.760:
	s_cmp_lt_i32 s15, 2
	s_mov_b64 s[6:7], -1
	s_cbranch_scc1 .LBB71_770
; %bb.761:
	s_cmp_lt_i32 s15, 3
	s_cbranch_scc1 .LBB71_767
; %bb.762:
	s_cmp_gt_i32 s15, 3
	s_cbranch_scc0 .LBB71_764
; %bb.763:
	v_trunc_f32_e32 v1, s2
	s_mov_b32 s6, 0x2f800000
	v_mul_f32_e64 v5, |v1|, s6
	v_floor_f32_e32 v5, v5
	s_mov_b32 s6, 0xcf800000
	v_fma_f32 v6, v5, s6, |v1|
	v_cvt_u32_f32_e32 v6, v6
	v_cvt_u32_f32_e32 v5, v5
	v_ashrrev_i32_e32 v1, 31, v1
	s_mov_b64 s[6:7], 0
	v_xor_b32_e32 v6, v6, v1
	v_xor_b32_e32 v7, v5, v1
	v_sub_co_u32_e32 v5, vcc, v6, v1
	v_subb_co_u32_e32 v6, vcc, v7, v1, vcc
	global_store_dwordx2 v[3:4], v[5:6], off
.LBB71_764:
	s_andn2_b64 vcc, exec, s[6:7]
	s_cbranch_vccnz .LBB71_766
; %bb.765:
	v_cvt_i32_f32_e32 v1, s2
	global_store_dword v[3:4], v1, off
.LBB71_766:
	s_mov_b64 s[6:7], 0
.LBB71_767:
	s_andn2_b64 vcc, exec, s[6:7]
	s_cbranch_vccnz .LBB71_769
; %bb.768:
	v_cvt_i32_f32_e32 v1, s2
	global_store_short v[3:4], v1, off
.LBB71_769:
	s_mov_b64 s[6:7], 0
.LBB71_770:
	s_andn2_b64 vcc, exec, s[6:7]
	s_cbranch_vccnz .LBB71_775
; %bb.771:
	s_cmp_gt_i32 s15, 0
	s_mov_b64 s[6:7], -1
	s_cbranch_scc0 .LBB71_773
; %bb.772:
	v_cvt_i32_f32_e32 v1, s2
	s_mov_b64 s[6:7], 0
	global_store_byte v[3:4], v1, off
.LBB71_773:
	s_andn2_b64 vcc, exec, s[6:7]
	s_cbranch_vccnz .LBB71_775
; %bb.774:
	v_trunc_f32_e32 v1, s2
	s_mov_b32 s6, 0x2f800000
	v_mul_f32_e64 v5, |v1|, s6
	v_floor_f32_e32 v5, v5
	s_mov_b32 s6, 0xcf800000
	v_fma_f32 v5, v5, s6, |v1|
	v_cvt_u32_f32_e32 v5, v5
	v_ashrrev_i32_e32 v1, 31, v1
	v_xor_b32_e32 v5, v5, v1
	v_sub_u32_e32 v1, v5, v1
	global_store_byte v[3:4], v1, off
.LBB71_775:
.LBB71_776:
	v_mov_b32_e32 v3, s1
	v_add_co_u32_e32 v1, vcc, s0, v2
	s_cmp_lt_i32 s15, 11
	v_addc_co_u32_e32 v2, vcc, 0, v3, vcc
	s_cbranch_scc1 .LBB71_804
; %bb.777:
	s_mov_b64 s[12:13], -1
	s_mov_b64 s[8:9], 0
	s_cmp_gt_i32 s15, 25
	s_mov_b64 s[10:11], 0
	s_mov_b64 s[6:7], 0
	s_cbranch_scc0 .LBB71_845
; %bb.778:
	s_cmp_gt_i32 s15, 28
	s_cbranch_scc0 .LBB71_793
; %bb.779:
	s_cmp_gt_i32 s15, 43
	s_cbranch_scc0 .LBB71_789
; %bb.780:
	s_cmp_gt_i32 s15, 45
	s_cbranch_scc0 .LBB71_783
; %bb.781:
	s_mov_b64 s[6:7], -1
	s_mov_b64 s[12:13], 0
	s_cmp_eq_u32 s15, 46
	s_cbranch_scc0 .LBB71_783
; %bb.782:
	s_bfe_u32 s6, s2, 0x10010
	s_add_i32 s6, s2, s6
	s_addk_i32 s6, 0x7fff
	s_lshr_b32 s10, s6, 16
	s_bfe_u32 s6, s3, 0x10010
	s_add_i32 s6, s3, s6
	s_addk_i32 s6, 0x7fff
	s_and_b32 s11, s6, 0xffff0000
	v_cmp_o_f32_e64 s[6:7], s3, s3
	s_and_b64 s[6:7], s[6:7], exec
	v_cmp_o_f32_e64 s[6:7], s2, s2
	s_cselect_b32 s11, s11, 0x7fc00000
	s_and_b64 s[6:7], s[6:7], exec
	s_cselect_b32 s6, s10, 0x7fc0
	s_or_b32 s6, s11, s6
	v_mov_b32_e32 v3, s6
	global_store_dword v[1:2], v3, off
	s_mov_b64 s[6:7], 0
	s_mov_b64 s[10:11], -1
.LBB71_783:
	s_and_b64 vcc, exec, s[12:13]
	s_cbranch_vccz .LBB71_788
; %bb.784:
	s_cmp_eq_u32 s15, 44
	s_mov_b64 s[6:7], -1
	s_cbranch_scc0 .LBB71_788
; %bb.785:
	s_bfe_u32 s6, s2, 0x80017
	s_cmpk_eq_i32 s6, 0xff
	v_mov_b32_e32 v3, 0xff
	s_cbranch_scc1 .LBB71_787
; %bb.786:
	s_lshr_b32 s12, s2, 23
	s_bitcmp1_b32 s2, 22
	s_cselect_b64 s[10:11], -1, 0
	s_and_b32 s7, s2, 0x3fffff
	s_or_b32 s6, s6, s7
	s_cmp_lg_u32 s6, 0
	s_cselect_b64 s[6:7], -1, 0
	s_and_b64 s[6:7], s[10:11], s[6:7]
	v_cndmask_b32_e64 v3, 0, 1, s[6:7]
	v_add_u32_e32 v3, s12, v3
.LBB71_787:
	s_mov_b64 s[6:7], 0
	s_mov_b64 s[10:11], -1
	global_store_byte v[1:2], v3, off
.LBB71_788:
	s_mov_b64 s[12:13], 0
.LBB71_789:
	s_and_b64 vcc, exec, s[12:13]
	s_cbranch_vccz .LBB71_792
; %bb.790:
	s_cmp_eq_u32 s15, 29
	s_mov_b64 s[6:7], -1
	s_cbranch_scc0 .LBB71_792
; %bb.791:
	v_trunc_f32_e32 v3, s2
	v_mul_f32_e32 v4, 0x2f800000, v3
	v_floor_f32_e32 v5, v4
	v_fmac_f32_e32 v3, 0xcf800000, v5
	v_cvt_u32_f32_e32 v4, v5
	v_cvt_u32_f32_e32 v3, v3
	s_mov_b64 s[6:7], 0
	s_mov_b64 s[10:11], -1
	global_store_dwordx2 v[1:2], v[3:4], off
.LBB71_792:
	s_mov_b64 s[12:13], 0
.LBB71_793:
	s_and_b64 vcc, exec, s[12:13]
	s_cbranch_vccz .LBB71_844
; %bb.794:
	s_cmp_lt_i32 s15, 27
	s_mov_b64 s[10:11], -1
	s_cbranch_scc1 .LBB71_800
; %bb.795:
	s_cmp_gt_i32 s15, 27
	s_cbranch_scc0 .LBB71_797
; %bb.796:
	v_cvt_u32_f32_e32 v3, s2
	s_mov_b64 s[10:11], 0
	global_store_dword v[1:2], v3, off
.LBB71_797:
	s_andn2_b64 vcc, exec, s[10:11]
	s_cbranch_vccnz .LBB71_799
; %bb.798:
	v_cvt_u32_f32_e32 v3, s2
	global_store_short v[1:2], v3, off
.LBB71_799:
	s_mov_b64 s[10:11], 0
.LBB71_800:
	s_andn2_b64 vcc, exec, s[10:11]
	s_cbranch_vccnz .LBB71_843
; %bb.801:
	s_and_b32 s10, s2, 0x7fffffff
	s_cmp_gt_u32 s10, 0x437fffff
	v_mov_b32_e32 v4, 0x80
	s_cbranch_scc1 .LBB71_842
; %bb.802:
	s_cmp_gt_u32 s10, 0x3bffffff
	s_cbranch_scc0 .LBB71_837
; %bb.803:
	s_bfe_u32 s10, s2, 0x10014
	s_add_i32 s10, s2, s10
	s_add_i32 s10, s10, 0x487ffff
	s_lshr_b32 s16, s10, 20
	s_mov_b64 s[12:13], 0
	s_mov_b64 s[10:11], -1
	s_branch .LBB71_838
.LBB71_804:
	s_mov_b64 s[10:11], 0
	s_cbranch_execnz .LBB71_909
.LBB71_805:
	s_andn2_b64 vcc, exec, s[10:11]
	s_cbranch_vccnz .LBB71_947
.LBB71_806:
	v_mov_b32_e32 v1, s1
	v_add_co_u32_e32 v0, vcc, s0, v0
	s_cmp_lt_i32 s15, 11
	v_addc_co_u32_e32 v1, vcc, 0, v1, vcc
	s_cbranch_scc1 .LBB71_835
; %bb.807:
	s_mov_b64 s[8:9], -1
	s_mov_b64 s[6:7], 0
	s_cmp_gt_i32 s15, 25
	s_mov_b64 s[0:1], 0
	s_cbranch_scc0 .LBB71_859
; %bb.808:
	s_cmp_gt_i32 s15, 28
	s_cbranch_scc0 .LBB71_824
; %bb.809:
	s_cmp_gt_i32 s15, 43
	s_cbranch_scc0 .LBB71_820
; %bb.810:
	s_cmp_gt_i32 s15, 45
	s_cbranch_scc0 .LBB71_814
; %bb.811:
	s_cmp_eq_u32 s15, 46
	s_mov_b64 s[0:1], -1
	s_cbranch_scc0 .LBB71_813
; %bb.812:
	s_bfe_u32 s0, s2, 0x10010
	s_add_i32 s0, s2, s0
	s_addk_i32 s0, 0x7fff
	s_lshr_b32 s8, s0, 16
	s_bfe_u32 s0, s3, 0x10010
	s_add_i32 s0, s3, s0
	s_addk_i32 s0, 0x7fff
	s_and_b32 s9, s0, 0xffff0000
	v_cmp_o_f32_e64 s[0:1], s3, s3
	s_and_b64 s[0:1], s[0:1], exec
	v_cmp_o_f32_e64 s[0:1], s2, s2
	s_cselect_b32 s9, s9, 0x7fc00000
	s_and_b64 s[0:1], s[0:1], exec
	s_cselect_b32 s0, s8, 0x7fc0
	s_or_b32 s0, s9, s0
	v_mov_b32_e32 v2, s0
	global_store_dword v[0:1], v2, off
	s_mov_b64 s[0:1], 0
.LBB71_813:
	s_mov_b64 s[8:9], 0
.LBB71_814:
	s_and_b64 vcc, exec, s[8:9]
	s_cbranch_vccz .LBB71_819
; %bb.815:
	s_cmp_eq_u32 s15, 44
	s_mov_b64 s[0:1], -1
	s_cbranch_scc0 .LBB71_819
; %bb.816:
	s_bfe_u32 s0, s2, 0x80017
	s_cmpk_eq_i32 s0, 0xff
	v_mov_b32_e32 v2, 0xff
	s_cbranch_scc1 .LBB71_818
; %bb.817:
	s_lshr_b32 s10, s2, 23
	s_bitcmp1_b32 s2, 22
	s_cselect_b64 s[8:9], -1, 0
	s_and_b32 s1, s2, 0x3fffff
	s_or_b32 s0, s0, s1
	s_cmp_lg_u32 s0, 0
	s_cselect_b64 s[0:1], -1, 0
	s_and_b64 s[0:1], s[8:9], s[0:1]
	v_cndmask_b32_e64 v2, 0, 1, s[0:1]
	v_add_u32_e32 v2, s10, v2
.LBB71_818:
	s_mov_b64 s[0:1], 0
	global_store_byte v[0:1], v2, off
.LBB71_819:
	s_mov_b64 s[8:9], 0
.LBB71_820:
	s_and_b64 vcc, exec, s[8:9]
	s_cbranch_vccz .LBB71_823
; %bb.821:
	s_cmp_eq_u32 s15, 29
	s_mov_b64 s[0:1], -1
	s_cbranch_scc0 .LBB71_823
; %bb.822:
	v_trunc_f32_e32 v2, s2
	v_mul_f32_e32 v3, 0x2f800000, v2
	v_floor_f32_e32 v4, v3
	v_fmac_f32_e32 v2, 0xcf800000, v4
	v_cvt_u32_f32_e32 v3, v4
	v_cvt_u32_f32_e32 v2, v2
	s_mov_b64 s[0:1], 0
	global_store_dwordx2 v[0:1], v[2:3], off
.LBB71_823:
	s_mov_b64 s[8:9], 0
.LBB71_824:
	s_and_b64 vcc, exec, s[8:9]
	s_cbranch_vccz .LBB71_858
; %bb.825:
	s_cmp_lt_i32 s15, 27
	s_mov_b64 s[8:9], -1
	s_cbranch_scc1 .LBB71_831
; %bb.826:
	v_cvt_u32_f32_e32 v2, s2
	s_cmp_gt_i32 s15, 27
	s_cbranch_scc0 .LBB71_828
; %bb.827:
	global_store_dword v[0:1], v2, off
	s_mov_b64 s[8:9], 0
.LBB71_828:
	s_andn2_b64 vcc, exec, s[8:9]
	s_cbranch_vccnz .LBB71_830
; %bb.829:
	global_store_short v[0:1], v2, off
.LBB71_830:
	s_mov_b64 s[8:9], 0
.LBB71_831:
	s_andn2_b64 vcc, exec, s[8:9]
	s_cbranch_vccnz .LBB71_858
; %bb.832:
	s_and_b32 s8, s2, 0x7fffffff
	s_cmp_gt_u32 s8, 0x437fffff
	v_mov_b32_e32 v3, 0x80
	s_cbranch_scc1 .LBB71_857
; %bb.833:
	s_cmp_gt_u32 s8, 0x3bffffff
	s_cbranch_scc0 .LBB71_852
; %bb.834:
	s_bfe_u32 s8, s2, 0x10014
	s_add_i32 s8, s2, s8
	s_add_i32 s8, s8, 0x487ffff
	s_lshr_b32 s12, s8, 20
	s_mov_b64 s[10:11], 0
	s_mov_b64 s[8:9], -1
	s_branch .LBB71_853
.LBB71_835:
	s_mov_b64 s[6:7], 0
	s_mov_b64 s[0:1], -1
	s_branch .LBB71_948
.LBB71_836:
	s_trap 2
	s_or_b64 s[4:5], s[4:5], exec
	s_cbranch_execz .LBB71_736
	s_branch .LBB71_737
.LBB71_837:
	s_mov_b64 s[12:13], -1
	s_mov_b64 s[10:11], 0
                                        ; implicit-def: $sgpr16
.LBB71_838:
	s_andn2_b64 vcc, exec, s[12:13]
	v_mov_b32_e32 v3, s16
	s_cbranch_vccnz .LBB71_840
; %bb.839:
	v_mov_b32_e32 v3, 0x46000000
	v_add_f32_e64 v3, |s2|, v3
	v_and_b32_e32 v3, 0xff, v3
	v_cmp_ne_u32_e64 s[10:11], 0, v3
.LBB71_840:
	s_andn2_b64 vcc, exec, s[10:11]
	v_mov_b32_e32 v4, 0
	s_cbranch_vccnz .LBB71_842
; %bb.841:
	s_lshr_b32 s10, s2, 24
	s_and_b32 s10, s10, 0x80
	v_or_b32_e32 v4, s10, v3
.LBB71_842:
	global_store_byte v[1:2], v4, off
.LBB71_843:
	s_mov_b64 s[10:11], -1
.LBB71_844:
	s_mov_b64 s[12:13], 0
.LBB71_845:
	s_and_b64 vcc, exec, s[12:13]
	s_cbranch_vccz .LBB71_905
; %bb.846:
	s_cmp_gt_i32 s15, 22
	s_mov_b64 s[8:9], -1
	s_cbranch_scc0 .LBB71_898
; %bb.847:
	s_cmp_lt_i32 s15, 24
	s_cbranch_scc1 .LBB71_885
; %bb.848:
	s_cmp_gt_i32 s15, 24
	s_cbranch_scc0 .LBB71_872
; %bb.849:
	s_and_b32 s8, s2, 0x7fffffff
	s_cmp_gt_u32 s8, 0x477fffff
	v_mov_b32_e32 v4, 0x80
	s_cbranch_scc1 .LBB71_871
; %bb.850:
	s_cmp_gt_u32 s8, 0x37ffffff
	s_cbranch_scc0 .LBB71_866
; %bb.851:
	s_bfe_u32 s8, s2, 0x10015
	s_add_i32 s8, s2, s8
	s_add_i32 s8, s8, 0x88fffff
	s_lshr_b32 s12, s8, 21
	s_mov_b64 s[10:11], 0
	s_mov_b64 s[8:9], -1
	s_branch .LBB71_867
.LBB71_852:
	s_mov_b64 s[10:11], -1
	s_mov_b64 s[8:9], 0
                                        ; implicit-def: $sgpr12
.LBB71_853:
	s_andn2_b64 vcc, exec, s[10:11]
	v_mov_b32_e32 v2, s12
	s_cbranch_vccnz .LBB71_855
; %bb.854:
	v_mov_b32_e32 v2, 0x46000000
	v_add_f32_e64 v2, |s2|, v2
	v_and_b32_e32 v2, 0xff, v2
	v_cmp_ne_u32_e64 s[8:9], 0, v2
.LBB71_855:
	s_andn2_b64 vcc, exec, s[8:9]
	v_mov_b32_e32 v3, 0
	s_cbranch_vccnz .LBB71_857
; %bb.856:
	s_lshr_b32 s8, s2, 24
	s_and_b32 s8, s8, 0x80
	v_or_b32_e32 v3, s8, v2
.LBB71_857:
	global_store_byte v[0:1], v3, off
.LBB71_858:
	s_mov_b64 s[8:9], 0
.LBB71_859:
	s_and_b64 vcc, exec, s[8:9]
	s_cbranch_vccz .LBB71_1032
; %bb.860:
	s_cmp_gt_i32 s15, 22
	s_mov_b64 s[6:7], -1
	s_cbranch_scc0 .LBB71_1025
; %bb.861:
	s_cmp_lt_i32 s15, 24
	s_cbranch_scc1 .LBB71_1012
; %bb.862:
	s_cmp_gt_i32 s15, 24
	s_cbranch_scc0 .LBB71_999
; %bb.863:
	s_and_b32 s6, s2, 0x7fffffff
	s_cmp_gt_u32 s6, 0x477fffff
	v_mov_b32_e32 v3, 0x80
	s_cbranch_scc1 .LBB71_998
; %bb.864:
	s_cmp_gt_u32 s6, 0x37ffffff
	s_cbranch_scc0 .LBB71_993
; %bb.865:
	s_bfe_u32 s6, s2, 0x10015
	s_add_i32 s6, s2, s6
	s_add_i32 s6, s6, 0x88fffff
	s_lshr_b32 s10, s6, 21
	s_mov_b64 s[8:9], 0
	s_mov_b64 s[6:7], -1
	s_branch .LBB71_994
.LBB71_866:
	s_mov_b64 s[10:11], -1
	s_mov_b64 s[8:9], 0
                                        ; implicit-def: $sgpr12
.LBB71_867:
	s_andn2_b64 vcc, exec, s[10:11]
	v_mov_b32_e32 v3, s12
	s_cbranch_vccnz .LBB71_869
; %bb.868:
	v_mov_b32_e32 v3, 0x42800000
	v_add_f32_e64 v3, |s2|, v3
	v_and_b32_e32 v3, 0xff, v3
	v_cmp_ne_u32_e64 s[8:9], 0, v3
.LBB71_869:
	s_andn2_b64 vcc, exec, s[8:9]
	v_mov_b32_e32 v4, 0
	s_cbranch_vccnz .LBB71_871
; %bb.870:
	s_lshr_b32 s8, s2, 24
	s_and_b32 s8, s8, 0x80
	v_or_b32_e32 v4, s8, v3
.LBB71_871:
	s_mov_b64 s[8:9], 0
	global_store_byte v[1:2], v4, off
.LBB71_872:
	s_and_b64 vcc, exec, s[8:9]
	s_cbranch_vccz .LBB71_884
; %bb.873:
	s_and_b32 s10, s2, 0x7fffffff
	s_cmp_lt_u32 s10, 0x43f00000
	s_cbranch_scc0 .LBB71_876
; %bb.874:
	s_cmp_gt_u32 s10, 0x3c7fffff
	s_cbranch_scc0 .LBB71_877
; %bb.875:
	s_bfe_u32 s8, s2, 0x10014
	s_add_i32 s8, s2, s8
	s_add_i32 s8, s8, 0x407ffff
	s_lshr_b32 s9, s8, 20
	s_and_b32 s8, s8, 0xff00000
	s_cmp_lg_u32 s8, 0x7f00000
	s_cselect_b32 s11, s9, 0x7e
	s_mov_b64 s[8:9], 0
	s_branch .LBB71_878
.LBB71_876:
	s_mov_b64 s[8:9], -1
                                        ; implicit-def: $vgpr3
	s_branch .LBB71_881
.LBB71_877:
	s_mov_b64 s[8:9], -1
                                        ; implicit-def: $sgpr11
.LBB71_878:
	s_andn2_b64 vcc, exec, s[8:9]
	v_mov_b32_e32 v3, s11
	s_cbranch_vccnz .LBB71_880
; %bb.879:
	v_mov_b32_e32 v3, 0x46800000
	v_add_f32_e64 v3, |s2|, v3
.LBB71_880:
	s_mov_b64 s[8:9], 0
.LBB71_881:
	s_andn2_b64 vcc, exec, s[8:9]
	s_cbranch_vccnz .LBB71_883
; %bb.882:
	s_cmp_gt_u32 s10, 0x7f800000
	s_movk_i32 s8, 0x7f
	s_cselect_b32 s8, s8, 0x7e
	v_mov_b32_e32 v3, s8
.LBB71_883:
	s_lshr_b32 s8, s2, 24
	s_and_b32 s8, s8, 0x80
	v_or_b32_e32 v3, s8, v3
	global_store_byte v[1:2], v3, off
.LBB71_884:
	s_mov_b64 s[8:9], 0
.LBB71_885:
	s_andn2_b64 vcc, exec, s[8:9]
	s_cbranch_vccnz .LBB71_897
; %bb.886:
	s_and_b32 s10, s2, 0x7fffffff
	s_cmp_lt_u32 s10, 0x47800000
	s_cbranch_scc0 .LBB71_889
; %bb.887:
	s_cmp_gt_u32 s10, 0x387fffff
	s_cbranch_scc0 .LBB71_890
; %bb.888:
	s_bfe_u32 s8, s2, 0x10015
	s_add_i32 s8, s2, s8
	s_add_i32 s8, s8, 0x80fffff
	s_lshr_b32 s11, s8, 21
	s_mov_b64 s[8:9], 0
	s_branch .LBB71_891
.LBB71_889:
	s_mov_b64 s[8:9], -1
                                        ; implicit-def: $vgpr3
	s_branch .LBB71_894
.LBB71_890:
	s_mov_b64 s[8:9], -1
                                        ; implicit-def: $sgpr11
.LBB71_891:
	s_andn2_b64 vcc, exec, s[8:9]
	v_mov_b32_e32 v3, s11
	s_cbranch_vccnz .LBB71_893
; %bb.892:
	v_mov_b32_e32 v3, 0x43000000
	v_add_f32_e64 v3, |s2|, v3
.LBB71_893:
	s_mov_b64 s[8:9], 0
.LBB71_894:
	s_andn2_b64 vcc, exec, s[8:9]
	s_cbranch_vccnz .LBB71_896
; %bb.895:
	s_cmp_gt_u32 s10, 0x7f800000
	s_movk_i32 s8, 0x7f
	s_cselect_b32 s8, s8, 0x7c
	v_mov_b32_e32 v3, s8
.LBB71_896:
	s_lshr_b32 s8, s2, 24
	s_and_b32 s8, s8, 0x80
	v_or_b32_e32 v3, s8, v3
	global_store_byte v[1:2], v3, off
.LBB71_897:
	s_mov_b64 s[8:9], 0
	s_mov_b64 s[10:11], -1
.LBB71_898:
	s_andn2_b64 vcc, exec, s[8:9]
	s_mov_b64 s[8:9], 0
	s_cbranch_vccnz .LBB71_905
; %bb.899:
	s_cmp_gt_i32 s15, 14
	s_mov_b64 s[12:13], -1
	s_cbranch_scc0 .LBB71_903
; %bb.900:
	s_cmp_eq_u32 s15, 15
	s_mov_b64 s[6:7], -1
	s_cbranch_scc0 .LBB71_902
; %bb.901:
	s_bfe_u32 s6, s2, 0x10010
	s_add_i32 s6, s2, s6
	s_addk_i32 s6, 0x7fff
	s_lshr_b32 s8, s6, 16
	v_cmp_o_f32_e64 s[6:7], s2, s2
	s_and_b64 s[6:7], s[6:7], exec
	s_cselect_b32 s6, s8, 0x7fc0
	v_mov_b32_e32 v3, s6
	global_store_short v[1:2], v3, off
	s_mov_b64 s[6:7], 0
	s_mov_b64 s[10:11], -1
.LBB71_902:
	s_mov_b64 s[12:13], 0
.LBB71_903:
	s_mov_b64 s[8:9], 0
	s_and_b64 vcc, exec, s[12:13]
	s_cbranch_vccz .LBB71_905
; %bb.904:
	s_cmp_lg_u32 s15, 11
	s_mov_b64 s[8:9], -1
	s_cselect_b64 s[6:7], -1, 0
.LBB71_905:
	s_and_b64 vcc, exec, s[6:7]
	s_cbranch_vccnz .LBB71_992
; %bb.906:
	s_andn2_b64 vcc, exec, s[8:9]
	s_cbranch_vccnz .LBB71_908
.LBB71_907:
	s_or_b32 s6, s2, s3
	s_bitset0_b32 s6, 31
	s_cmp_lg_u32 s6, 0
	s_cselect_b64 s[6:7], -1, 0
	v_cndmask_b32_e64 v3, 0, 1, s[6:7]
	s_mov_b64 s[10:11], -1
	global_store_byte v[1:2], v3, off
.LBB71_908:
	s_branch .LBB71_805
.LBB71_909:
	s_cmp_lt_i32 s15, 5
	s_mov_b64 s[6:7], -1
	s_cbranch_scc1 .LBB71_930
; %bb.910:
	s_cmp_lt_i32 s15, 8
	s_cbranch_scc1 .LBB71_920
; %bb.911:
	s_cmp_lt_i32 s15, 9
	s_cbranch_scc1 .LBB71_917
; %bb.912:
	s_cmp_gt_i32 s15, 9
	s_cbranch_scc0 .LBB71_914
; %bb.913:
	v_cvt_f64_f32_e32 v[3:4], s2
	v_cvt_f64_f32_e32 v[5:6], s3
	s_mov_b64 s[6:7], 0
	global_store_dwordx4 v[1:2], v[3:6], off
.LBB71_914:
	s_andn2_b64 vcc, exec, s[6:7]
	s_cbranch_vccnz .LBB71_916
; %bb.915:
	v_mov_b32_e32 v3, s2
	v_mov_b32_e32 v4, s3
	global_store_dwordx2 v[1:2], v[3:4], off
.LBB71_916:
	s_mov_b64 s[6:7], 0
.LBB71_917:
	s_andn2_b64 vcc, exec, s[6:7]
	s_cbranch_vccnz .LBB71_919
; %bb.918:
	v_cvt_f16_f32_e32 v3, s2
	v_cvt_f16_f32_sdwa v4, s3 dst_sel:WORD_1 dst_unused:UNUSED_PAD src0_sel:DWORD
	v_or_b32_e32 v3, v4, v3
	global_store_dword v[1:2], v3, off
.LBB71_919:
	s_mov_b64 s[6:7], 0
.LBB71_920:
	s_andn2_b64 vcc, exec, s[6:7]
	s_cbranch_vccnz .LBB71_929
; %bb.921:
	s_cmp_lt_i32 s15, 6
	s_mov_b64 s[6:7], -1
	s_cbranch_scc1 .LBB71_927
; %bb.922:
	s_cmp_gt_i32 s15, 6
	s_cbranch_scc0 .LBB71_924
; %bb.923:
	v_cvt_f64_f32_e32 v[3:4], s2
	s_mov_b64 s[6:7], 0
	global_store_dwordx2 v[1:2], v[3:4], off
.LBB71_924:
	s_andn2_b64 vcc, exec, s[6:7]
	s_cbranch_vccnz .LBB71_926
; %bb.925:
	v_mov_b32_e32 v3, s2
	global_store_dword v[1:2], v3, off
.LBB71_926:
	s_mov_b64 s[6:7], 0
.LBB71_927:
	s_andn2_b64 vcc, exec, s[6:7]
	s_cbranch_vccnz .LBB71_929
; %bb.928:
	v_cvt_f16_f32_e32 v3, s2
	global_store_short v[1:2], v3, off
.LBB71_929:
	s_mov_b64 s[6:7], 0
.LBB71_930:
	s_andn2_b64 vcc, exec, s[6:7]
	s_cbranch_vccnz .LBB71_946
; %bb.931:
	s_cmp_lt_i32 s15, 2
	s_mov_b64 s[6:7], -1
	s_cbranch_scc1 .LBB71_941
; %bb.932:
	s_cmp_lt_i32 s15, 3
	s_cbranch_scc1 .LBB71_938
; %bb.933:
	s_cmp_gt_i32 s15, 3
	s_cbranch_scc0 .LBB71_935
; %bb.934:
	v_trunc_f32_e32 v3, s2
	s_mov_b32 s6, 0x2f800000
	v_mul_f32_e64 v4, |v3|, s6
	v_floor_f32_e32 v4, v4
	s_mov_b32 s6, 0xcf800000
	v_fma_f32 v5, v4, s6, |v3|
	v_cvt_u32_f32_e32 v5, v5
	v_cvt_u32_f32_e32 v4, v4
	v_ashrrev_i32_e32 v6, 31, v3
	s_mov_b64 s[6:7], 0
	v_xor_b32_e32 v3, v5, v6
	v_xor_b32_e32 v4, v4, v6
	v_sub_co_u32_e32 v3, vcc, v3, v6
	v_subb_co_u32_e32 v4, vcc, v4, v6, vcc
	global_store_dwordx2 v[1:2], v[3:4], off
.LBB71_935:
	s_andn2_b64 vcc, exec, s[6:7]
	s_cbranch_vccnz .LBB71_937
; %bb.936:
	v_cvt_i32_f32_e32 v3, s2
	global_store_dword v[1:2], v3, off
.LBB71_937:
	s_mov_b64 s[6:7], 0
.LBB71_938:
	s_andn2_b64 vcc, exec, s[6:7]
	s_cbranch_vccnz .LBB71_940
; %bb.939:
	v_cvt_i32_f32_e32 v3, s2
	global_store_short v[1:2], v3, off
.LBB71_940:
	s_mov_b64 s[6:7], 0
.LBB71_941:
	s_andn2_b64 vcc, exec, s[6:7]
	s_cbranch_vccnz .LBB71_946
; %bb.942:
	s_cmp_gt_i32 s15, 0
	s_mov_b64 s[6:7], -1
	s_cbranch_scc0 .LBB71_944
; %bb.943:
	v_cvt_i32_f32_e32 v3, s2
	s_mov_b64 s[6:7], 0
	global_store_byte v[1:2], v3, off
.LBB71_944:
	s_andn2_b64 vcc, exec, s[6:7]
	s_cbranch_vccnz .LBB71_946
; %bb.945:
	v_trunc_f32_e32 v3, s2
	s_mov_b32 s6, 0x2f800000
	v_mul_f32_e64 v4, |v3|, s6
	v_floor_f32_e32 v4, v4
	s_mov_b32 s6, 0xcf800000
	v_fma_f32 v4, v4, s6, |v3|
	v_cvt_u32_f32_e32 v4, v4
	v_ashrrev_i32_e32 v3, 31, v3
	v_xor_b32_e32 v4, v4, v3
	v_sub_u32_e32 v3, v4, v3
	global_store_byte v[1:2], v3, off
.LBB71_946:
	s_branch .LBB71_806
.LBB71_947:
	s_mov_b64 s[0:1], 0
	s_mov_b64 s[6:7], 0
                                        ; implicit-def: $sgpr14
                                        ; implicit-def: $vgpr0_vgpr1
.LBB71_948:
	s_and_b64 s[30:31], s[6:7], exec
	s_andn2_b64 s[6:7], s[20:21], exec
	s_and_b64 s[4:5], s[4:5], exec
	s_and_b64 s[0:1], s[0:1], exec
	s_or_b64 s[20:21], s[6:7], s[4:5]
.LBB71_949:
	s_or_b64 exec, exec, s[22:23]
	s_and_saveexec_b64 s[4:5], s[20:21]
	s_cbranch_execz .LBB71_952
; %bb.950:
	; divergent unreachable
	s_or_b64 exec, exec, s[4:5]
	s_and_saveexec_b64 s[4:5], s[30:31]
	s_xor_b64 s[4:5], exec, s[4:5]
	s_cbranch_execnz .LBB71_953
.LBB71_951:
	s_or_b64 exec, exec, s[4:5]
	s_and_saveexec_b64 s[4:5], s[0:1]
	s_cbranch_execnz .LBB71_954
	s_branch .LBB71_991
.LBB71_952:
	s_or_b64 exec, exec, s[4:5]
	s_and_saveexec_b64 s[4:5], s[30:31]
	s_xor_b64 s[4:5], exec, s[4:5]
	s_cbranch_execz .LBB71_951
.LBB71_953:
	s_or_b32 s6, s2, s3
	s_bitset0_b32 s6, 31
	s_cmp_lg_u32 s6, 0
	s_cselect_b64 s[6:7], -1, 0
	v_cndmask_b32_e64 v2, 0, 1, s[6:7]
	global_store_byte v[0:1], v2, off
	s_or_b64 exec, exec, s[4:5]
	s_and_saveexec_b64 s[4:5], s[0:1]
	s_cbranch_execz .LBB71_991
.LBB71_954:
	s_sext_i32_i16 s4, s14
	s_cmp_lt_i32 s4, 5
	s_mov_b64 s[0:1], -1
	s_cbranch_scc1 .LBB71_975
; %bb.955:
	s_cmp_lt_i32 s4, 8
	s_cbranch_scc1 .LBB71_965
; %bb.956:
	s_cmp_lt_i32 s4, 9
	s_cbranch_scc1 .LBB71_962
; %bb.957:
	s_cmp_gt_i32 s4, 9
	s_cbranch_scc0 .LBB71_959
; %bb.958:
	v_cvt_f64_f32_e32 v[2:3], s2
	v_cvt_f64_f32_e32 v[4:5], s3
	s_mov_b64 s[0:1], 0
	global_store_dwordx4 v[0:1], v[2:5], off
.LBB71_959:
	s_andn2_b64 vcc, exec, s[0:1]
	s_cbranch_vccnz .LBB71_961
; %bb.960:
	v_mov_b32_e32 v2, s2
	v_mov_b32_e32 v3, s3
	global_store_dwordx2 v[0:1], v[2:3], off
.LBB71_961:
	s_mov_b64 s[0:1], 0
.LBB71_962:
	s_andn2_b64 vcc, exec, s[0:1]
	s_cbranch_vccnz .LBB71_964
; %bb.963:
	v_cvt_f16_f32_e32 v2, s2
	v_cvt_f16_f32_sdwa v3, s3 dst_sel:WORD_1 dst_unused:UNUSED_PAD src0_sel:DWORD
	v_or_b32_e32 v2, v3, v2
	global_store_dword v[0:1], v2, off
.LBB71_964:
	s_mov_b64 s[0:1], 0
.LBB71_965:
	s_andn2_b64 vcc, exec, s[0:1]
	s_cbranch_vccnz .LBB71_974
; %bb.966:
	s_sext_i32_i16 s3, s14
	s_cmp_lt_i32 s3, 6
	s_mov_b64 s[0:1], -1
	s_cbranch_scc1 .LBB71_972
; %bb.967:
	s_cmp_gt_i32 s3, 6
	s_cbranch_scc0 .LBB71_969
; %bb.968:
	v_cvt_f64_f32_e32 v[2:3], s2
	s_mov_b64 s[0:1], 0
	global_store_dwordx2 v[0:1], v[2:3], off
.LBB71_969:
	s_andn2_b64 vcc, exec, s[0:1]
	s_cbranch_vccnz .LBB71_971
; %bb.970:
	v_mov_b32_e32 v2, s2
	global_store_dword v[0:1], v2, off
.LBB71_971:
	s_mov_b64 s[0:1], 0
.LBB71_972:
	s_andn2_b64 vcc, exec, s[0:1]
	s_cbranch_vccnz .LBB71_974
; %bb.973:
	v_cvt_f16_f32_e32 v2, s2
	global_store_short v[0:1], v2, off
.LBB71_974:
	s_mov_b64 s[0:1], 0
.LBB71_975:
	s_andn2_b64 vcc, exec, s[0:1]
	s_cbranch_vccnz .LBB71_991
; %bb.976:
	s_sext_i32_i16 s3, s14
	s_cmp_lt_i32 s3, 2
	s_mov_b64 s[0:1], -1
	s_cbranch_scc1 .LBB71_986
; %bb.977:
	s_cmp_lt_i32 s3, 3
	s_cbranch_scc1 .LBB71_983
; %bb.978:
	s_cmp_gt_i32 s3, 3
	s_cbranch_scc0 .LBB71_980
; %bb.979:
	v_trunc_f32_e32 v2, s2
	s_mov_b32 s0, 0x2f800000
	v_mul_f32_e64 v3, |v2|, s0
	v_floor_f32_e32 v3, v3
	s_mov_b32 s0, 0xcf800000
	v_fma_f32 v4, v3, s0, |v2|
	v_cvt_u32_f32_e32 v4, v4
	v_cvt_u32_f32_e32 v3, v3
	v_ashrrev_i32_e32 v5, 31, v2
	s_mov_b64 s[0:1], 0
	v_xor_b32_e32 v2, v4, v5
	v_xor_b32_e32 v3, v3, v5
	v_sub_co_u32_e32 v2, vcc, v2, v5
	v_subb_co_u32_e32 v3, vcc, v3, v5, vcc
	global_store_dwordx2 v[0:1], v[2:3], off
.LBB71_980:
	s_andn2_b64 vcc, exec, s[0:1]
	s_cbranch_vccnz .LBB71_982
; %bb.981:
	v_cvt_i32_f32_e32 v2, s2
	global_store_dword v[0:1], v2, off
.LBB71_982:
	s_mov_b64 s[0:1], 0
.LBB71_983:
	s_andn2_b64 vcc, exec, s[0:1]
	s_cbranch_vccnz .LBB71_985
; %bb.984:
	v_cvt_i32_f32_e32 v2, s2
	global_store_short v[0:1], v2, off
.LBB71_985:
	s_mov_b64 s[0:1], 0
.LBB71_986:
	s_andn2_b64 vcc, exec, s[0:1]
	s_cbranch_vccnz .LBB71_991
; %bb.987:
	s_sext_i32_i16 s0, s14
	s_cmp_gt_i32 s0, 0
	s_mov_b64 s[0:1], -1
	s_cbranch_scc0 .LBB71_989
; %bb.988:
	v_cvt_i32_f32_e32 v2, s2
	s_mov_b64 s[0:1], 0
	global_store_byte v[0:1], v2, off
.LBB71_989:
	s_andn2_b64 vcc, exec, s[0:1]
	s_cbranch_vccnz .LBB71_991
; %bb.990:
	v_trunc_f32_e32 v2, s2
	s_mov_b32 s0, 0x2f800000
	v_mul_f32_e64 v3, |v2|, s0
	v_floor_f32_e32 v3, v3
	s_mov_b32 s0, 0xcf800000
	v_fma_f32 v3, v3, s0, |v2|
	v_cvt_u32_f32_e32 v3, v3
	v_ashrrev_i32_e32 v2, 31, v2
	v_xor_b32_e32 v3, v3, v2
	v_sub_u32_e32 v2, v3, v2
	global_store_byte v[0:1], v2, off
	s_endpgm
.LBB71_991:
	s_endpgm
.LBB71_992:
	s_trap 2
	s_or_b64 s[4:5], s[4:5], exec
	s_cbranch_execz .LBB71_907
	s_branch .LBB71_908
.LBB71_993:
	s_mov_b64 s[8:9], -1
	s_mov_b64 s[6:7], 0
                                        ; implicit-def: $sgpr10
.LBB71_994:
	s_andn2_b64 vcc, exec, s[8:9]
	v_mov_b32_e32 v2, s10
	s_cbranch_vccnz .LBB71_996
; %bb.995:
	v_mov_b32_e32 v2, 0x42800000
	v_add_f32_e64 v2, |s2|, v2
	v_and_b32_e32 v2, 0xff, v2
	v_cmp_ne_u32_e64 s[6:7], 0, v2
.LBB71_996:
	s_andn2_b64 vcc, exec, s[6:7]
	v_mov_b32_e32 v3, 0
	s_cbranch_vccnz .LBB71_998
; %bb.997:
	s_lshr_b32 s6, s2, 24
	s_and_b32 s6, s6, 0x80
	v_or_b32_e32 v3, s6, v2
.LBB71_998:
	s_mov_b64 s[6:7], 0
	global_store_byte v[0:1], v3, off
.LBB71_999:
	s_and_b64 vcc, exec, s[6:7]
	s_cbranch_vccz .LBB71_1011
; %bb.1000:
	s_and_b32 s8, s2, 0x7fffffff
	s_cmp_lt_u32 s8, 0x43f00000
	s_cbranch_scc0 .LBB71_1003
; %bb.1001:
	s_cmp_gt_u32 s8, 0x3c7fffff
	s_cbranch_scc0 .LBB71_1004
; %bb.1002:
	s_bfe_u32 s6, s2, 0x10014
	s_add_i32 s6, s2, s6
	s_add_i32 s6, s6, 0x407ffff
	s_lshr_b32 s7, s6, 20
	s_and_b32 s6, s6, 0xff00000
	s_cmp_lg_u32 s6, 0x7f00000
	s_cselect_b32 s9, s7, 0x7e
	s_mov_b64 s[6:7], 0
	s_branch .LBB71_1005
.LBB71_1003:
	s_mov_b64 s[6:7], -1
                                        ; implicit-def: $vgpr2
	s_branch .LBB71_1008
.LBB71_1004:
	s_mov_b64 s[6:7], -1
                                        ; implicit-def: $sgpr9
.LBB71_1005:
	s_andn2_b64 vcc, exec, s[6:7]
	v_mov_b32_e32 v2, s9
	s_cbranch_vccnz .LBB71_1007
; %bb.1006:
	v_mov_b32_e32 v2, 0x46800000
	v_add_f32_e64 v2, |s2|, v2
.LBB71_1007:
	s_mov_b64 s[6:7], 0
.LBB71_1008:
	s_andn2_b64 vcc, exec, s[6:7]
	s_cbranch_vccnz .LBB71_1010
; %bb.1009:
	s_cmp_gt_u32 s8, 0x7f800000
	s_movk_i32 s6, 0x7f
	s_cselect_b32 s6, s6, 0x7e
	v_mov_b32_e32 v2, s6
.LBB71_1010:
	s_lshr_b32 s6, s2, 24
	s_and_b32 s6, s6, 0x80
	v_or_b32_e32 v2, s6, v2
	global_store_byte v[0:1], v2, off
.LBB71_1011:
	s_mov_b64 s[6:7], 0
.LBB71_1012:
	s_andn2_b64 vcc, exec, s[6:7]
	s_cbranch_vccnz .LBB71_1024
; %bb.1013:
	s_and_b32 s8, s2, 0x7fffffff
	s_cmp_lt_u32 s8, 0x47800000
	s_cbranch_scc0 .LBB71_1016
; %bb.1014:
	s_cmp_gt_u32 s8, 0x387fffff
	s_cbranch_scc0 .LBB71_1017
; %bb.1015:
	s_bfe_u32 s6, s2, 0x10015
	s_add_i32 s6, s2, s6
	s_add_i32 s6, s6, 0x80fffff
	s_lshr_b32 s9, s6, 21
	s_mov_b64 s[6:7], 0
	s_branch .LBB71_1018
.LBB71_1016:
	s_mov_b64 s[6:7], -1
                                        ; implicit-def: $vgpr2
	s_branch .LBB71_1021
.LBB71_1017:
	s_mov_b64 s[6:7], -1
                                        ; implicit-def: $sgpr9
.LBB71_1018:
	s_andn2_b64 vcc, exec, s[6:7]
	v_mov_b32_e32 v2, s9
	s_cbranch_vccnz .LBB71_1020
; %bb.1019:
	v_mov_b32_e32 v2, 0x43000000
	v_add_f32_e64 v2, |s2|, v2
.LBB71_1020:
	s_mov_b64 s[6:7], 0
.LBB71_1021:
	s_andn2_b64 vcc, exec, s[6:7]
	s_cbranch_vccnz .LBB71_1023
; %bb.1022:
	s_cmp_gt_u32 s8, 0x7f800000
	s_movk_i32 s6, 0x7f
	s_cselect_b32 s6, s6, 0x7c
	v_mov_b32_e32 v2, s6
.LBB71_1023:
	s_lshr_b32 s6, s2, 24
	s_and_b32 s6, s6, 0x80
	v_or_b32_e32 v2, s6, v2
	global_store_byte v[0:1], v2, off
.LBB71_1024:
	s_mov_b64 s[6:7], 0
.LBB71_1025:
	s_andn2_b64 vcc, exec, s[6:7]
	s_mov_b64 s[6:7], 0
	s_cbranch_vccnz .LBB71_1032
; %bb.1026:
	s_cmp_gt_i32 s15, 14
	s_mov_b64 s[8:9], -1
	s_cbranch_scc0 .LBB71_1030
; %bb.1027:
	s_cmp_eq_u32 s15, 15
	s_mov_b64 s[0:1], -1
	s_cbranch_scc0 .LBB71_1029
; %bb.1028:
	s_bfe_u32 s0, s2, 0x10010
	s_add_i32 s0, s2, s0
	s_addk_i32 s0, 0x7fff
	s_lshr_b32 s6, s0, 16
	v_cmp_o_f32_e64 s[0:1], s2, s2
	s_and_b64 s[0:1], s[0:1], exec
	s_cselect_b32 s0, s6, 0x7fc0
	v_mov_b32_e32 v2, s0
	global_store_short v[0:1], v2, off
	s_mov_b64 s[0:1], 0
.LBB71_1029:
	s_mov_b64 s[8:9], 0
.LBB71_1030:
	s_mov_b64 s[6:7], 0
	s_and_b64 vcc, exec, s[8:9]
	s_cbranch_vccz .LBB71_1032
; %bb.1031:
	s_cmp_lg_u32 s15, 11
	s_mov_b64 s[6:7], -1
	s_cselect_b64 s[0:1], -1, 0
.LBB71_1032:
	s_and_b64 vcc, exec, s[0:1]
	s_cbranch_vccnz .LBB71_1034
.LBB71_1033:
	s_mov_b64 s[0:1], 0
	s_branch .LBB71_948
.LBB71_1034:
	s_mov_b64 s[6:7], 0
	s_or_b64 s[4:5], s[4:5], exec
	s_trap 2
	s_branch .LBB71_1033
	.section	.rodata,"a",@progbits
	.p2align	6, 0x0
	.amdhsa_kernel _ZN2at6native32elementwise_kernel_manual_unrollILi128ELi4EZNS0_15gpu_kernel_implINS0_11FillFunctorIN3c107complexIfEEEEEEvRNS_18TensorIteratorBaseERKT_EUlibE0_EEviT1_
		.amdhsa_group_segment_fixed_size 0
		.amdhsa_private_segment_fixed_size 0
		.amdhsa_kernarg_size 296
		.amdhsa_user_sgpr_count 6
		.amdhsa_user_sgpr_private_segment_buffer 1
		.amdhsa_user_sgpr_dispatch_ptr 0
		.amdhsa_user_sgpr_queue_ptr 0
		.amdhsa_user_sgpr_kernarg_segment_ptr 1
		.amdhsa_user_sgpr_dispatch_id 0
		.amdhsa_user_sgpr_flat_scratch_init 0
		.amdhsa_user_sgpr_private_segment_size 0
		.amdhsa_uses_dynamic_stack 0
		.amdhsa_system_sgpr_private_segment_wavefront_offset 0
		.amdhsa_system_sgpr_workgroup_id_x 1
		.amdhsa_system_sgpr_workgroup_id_y 0
		.amdhsa_system_sgpr_workgroup_id_z 0
		.amdhsa_system_sgpr_workgroup_info 0
		.amdhsa_system_vgpr_workitem_id 0
		.amdhsa_next_free_vgpr 24
		.amdhsa_next_free_sgpr 96
		.amdhsa_reserve_vcc 1
		.amdhsa_reserve_flat_scratch 0
		.amdhsa_float_round_mode_32 0
		.amdhsa_float_round_mode_16_64 0
		.amdhsa_float_denorm_mode_32 3
		.amdhsa_float_denorm_mode_16_64 3
		.amdhsa_dx10_clamp 1
		.amdhsa_ieee_mode 1
		.amdhsa_fp16_overflow 0
		.amdhsa_exception_fp_ieee_invalid_op 0
		.amdhsa_exception_fp_denorm_src 0
		.amdhsa_exception_fp_ieee_div_zero 0
		.amdhsa_exception_fp_ieee_overflow 0
		.amdhsa_exception_fp_ieee_underflow 0
		.amdhsa_exception_fp_ieee_inexact 0
		.amdhsa_exception_int_div_zero 0
	.end_amdhsa_kernel
	.section	.text._ZN2at6native32elementwise_kernel_manual_unrollILi128ELi4EZNS0_15gpu_kernel_implINS0_11FillFunctorIN3c107complexIfEEEEEEvRNS_18TensorIteratorBaseERKT_EUlibE0_EEviT1_,"axG",@progbits,_ZN2at6native32elementwise_kernel_manual_unrollILi128ELi4EZNS0_15gpu_kernel_implINS0_11FillFunctorIN3c107complexIfEEEEEEvRNS_18TensorIteratorBaseERKT_EUlibE0_EEviT1_,comdat
.Lfunc_end71:
	.size	_ZN2at6native32elementwise_kernel_manual_unrollILi128ELi4EZNS0_15gpu_kernel_implINS0_11FillFunctorIN3c107complexIfEEEEEEvRNS_18TensorIteratorBaseERKT_EUlibE0_EEviT1_, .Lfunc_end71-_ZN2at6native32elementwise_kernel_manual_unrollILi128ELi4EZNS0_15gpu_kernel_implINS0_11FillFunctorIN3c107complexIfEEEEEEvRNS_18TensorIteratorBaseERKT_EUlibE0_EEviT1_
                                        ; -- End function
	.set _ZN2at6native32elementwise_kernel_manual_unrollILi128ELi4EZNS0_15gpu_kernel_implINS0_11FillFunctorIN3c107complexIfEEEEEEvRNS_18TensorIteratorBaseERKT_EUlibE0_EEviT1_.num_vgpr, 24
	.set _ZN2at6native32elementwise_kernel_manual_unrollILi128ELi4EZNS0_15gpu_kernel_implINS0_11FillFunctorIN3c107complexIfEEEEEEvRNS_18TensorIteratorBaseERKT_EUlibE0_EEviT1_.num_agpr, 0
	.set _ZN2at6native32elementwise_kernel_manual_unrollILi128ELi4EZNS0_15gpu_kernel_implINS0_11FillFunctorIN3c107complexIfEEEEEEvRNS_18TensorIteratorBaseERKT_EUlibE0_EEviT1_.numbered_sgpr, 96
	.set _ZN2at6native32elementwise_kernel_manual_unrollILi128ELi4EZNS0_15gpu_kernel_implINS0_11FillFunctorIN3c107complexIfEEEEEEvRNS_18TensorIteratorBaseERKT_EUlibE0_EEviT1_.num_named_barrier, 0
	.set _ZN2at6native32elementwise_kernel_manual_unrollILi128ELi4EZNS0_15gpu_kernel_implINS0_11FillFunctorIN3c107complexIfEEEEEEvRNS_18TensorIteratorBaseERKT_EUlibE0_EEviT1_.private_seg_size, 0
	.set _ZN2at6native32elementwise_kernel_manual_unrollILi128ELi4EZNS0_15gpu_kernel_implINS0_11FillFunctorIN3c107complexIfEEEEEEvRNS_18TensorIteratorBaseERKT_EUlibE0_EEviT1_.uses_vcc, 1
	.set _ZN2at6native32elementwise_kernel_manual_unrollILi128ELi4EZNS0_15gpu_kernel_implINS0_11FillFunctorIN3c107complexIfEEEEEEvRNS_18TensorIteratorBaseERKT_EUlibE0_EEviT1_.uses_flat_scratch, 0
	.set _ZN2at6native32elementwise_kernel_manual_unrollILi128ELi4EZNS0_15gpu_kernel_implINS0_11FillFunctorIN3c107complexIfEEEEEEvRNS_18TensorIteratorBaseERKT_EUlibE0_EEviT1_.has_dyn_sized_stack, 0
	.set _ZN2at6native32elementwise_kernel_manual_unrollILi128ELi4EZNS0_15gpu_kernel_implINS0_11FillFunctorIN3c107complexIfEEEEEEvRNS_18TensorIteratorBaseERKT_EUlibE0_EEviT1_.has_recursion, 0
	.set _ZN2at6native32elementwise_kernel_manual_unrollILi128ELi4EZNS0_15gpu_kernel_implINS0_11FillFunctorIN3c107complexIfEEEEEEvRNS_18TensorIteratorBaseERKT_EUlibE0_EEviT1_.has_indirect_call, 0
	.section	.AMDGPU.csdata,"",@progbits
; Kernel info:
; codeLenInByte = 17972
; TotalNumSgprs: 100
; NumVgprs: 24
; ScratchSize: 0
; MemoryBound: 0
; FloatMode: 240
; IeeeMode: 1
; LDSByteSize: 0 bytes/workgroup (compile time only)
; SGPRBlocks: 12
; VGPRBlocks: 5
; NumSGPRsForWavesPerEU: 100
; NumVGPRsForWavesPerEU: 24
; Occupancy: 8
; WaveLimiterHint : 1
; COMPUTE_PGM_RSRC2:SCRATCH_EN: 0
; COMPUTE_PGM_RSRC2:USER_SGPR: 6
; COMPUTE_PGM_RSRC2:TRAP_HANDLER: 0
; COMPUTE_PGM_RSRC2:TGID_X_EN: 1
; COMPUTE_PGM_RSRC2:TGID_Y_EN: 0
; COMPUTE_PGM_RSRC2:TGID_Z_EN: 0
; COMPUTE_PGM_RSRC2:TIDIG_COMP_CNT: 0
	.section	.text._ZN2at6native29vectorized_elementwise_kernelILi16ENS0_11FillFunctorIN3c107complexINS3_4HalfEEEEESt5arrayIPcLm1EEEEviT0_T1_,"axG",@progbits,_ZN2at6native29vectorized_elementwise_kernelILi16ENS0_11FillFunctorIN3c107complexINS3_4HalfEEEEESt5arrayIPcLm1EEEEviT0_T1_,comdat
	.protected	_ZN2at6native29vectorized_elementwise_kernelILi16ENS0_11FillFunctorIN3c107complexINS3_4HalfEEEEESt5arrayIPcLm1EEEEviT0_T1_ ; -- Begin function _ZN2at6native29vectorized_elementwise_kernelILi16ENS0_11FillFunctorIN3c107complexINS3_4HalfEEEEESt5arrayIPcLm1EEEEviT0_T1_
	.globl	_ZN2at6native29vectorized_elementwise_kernelILi16ENS0_11FillFunctorIN3c107complexINS3_4HalfEEEEESt5arrayIPcLm1EEEEviT0_T1_
	.p2align	8
	.type	_ZN2at6native29vectorized_elementwise_kernelILi16ENS0_11FillFunctorIN3c107complexINS3_4HalfEEEEESt5arrayIPcLm1EEEEviT0_T1_,@function
_ZN2at6native29vectorized_elementwise_kernelILi16ENS0_11FillFunctorIN3c107complexINS3_4HalfEEEEESt5arrayIPcLm1EEEEviT0_T1_: ; @_ZN2at6native29vectorized_elementwise_kernelILi16ENS0_11FillFunctorIN3c107complexINS3_4HalfEEEEESt5arrayIPcLm1EEEEviT0_T1_
; %bb.0:
	s_load_dwordx4 s[0:3], s[4:5], 0x0
	s_lshl_b32 s4, s6, 10
	s_mov_b64 s[6:7], -1
	s_waitcnt lgkmcnt(0)
	s_sub_i32 s0, s0, s4
	s_cmpk_gt_i32 s0, 0x3ff
	s_cbranch_scc0 .LBB72_2
; %bb.1:
	s_ashr_i32 s5, s4, 31
	s_lshl_b64 s[6:7], s[4:5], 2
	s_add_u32 s6, s2, s6
	s_addc_u32 s7, s3, s7
	v_lshlrev_b32_e32 v5, 4, v0
	v_mov_b32_e32 v1, s1
	v_mov_b32_e32 v2, s1
	;; [unrolled: 1-line block ×4, first 2 shown]
	global_store_dwordx4 v5, v[1:4], s[6:7]
	s_mov_b64 s[6:7], 0
.LBB72_2:
	s_andn2_b64 vcc, exec, s[6:7]
	s_cbranch_vccnz .LBB72_8
; %bb.3:
	v_cmp_gt_i32_e32 vcc, s0, v0
	s_and_saveexec_b64 s[6:7], vcc
	s_cbranch_execnz .LBB72_9
; %bb.4:
	s_or_b64 exec, exec, s[6:7]
	v_cmp_gt_i32_e32 vcc, s0, v0
	s_and_saveexec_b64 s[6:7], vcc
	s_cbranch_execnz .LBB72_10
.LBB72_5:
	s_or_b64 exec, exec, s[6:7]
	v_cmp_gt_i32_e32 vcc, s0, v0
	s_and_saveexec_b64 s[6:7], vcc
	s_cbranch_execnz .LBB72_11
.LBB72_6:
	s_or_b64 exec, exec, s[6:7]
	v_cmp_gt_i32_e32 vcc, s0, v0
	s_and_saveexec_b64 s[6:7], vcc
	s_cbranch_execz .LBB72_8
.LBB72_7:
	v_add_u32_e32 v0, s4, v0
	v_mov_b32_e32 v1, 0
	v_lshlrev_b64 v[0:1], 2, v[0:1]
	v_mov_b32_e32 v2, s3
	v_add_co_u32_e32 v0, vcc, s2, v0
	v_addc_co_u32_e32 v1, vcc, v2, v1, vcc
	v_mov_b32_e32 v2, s1
	global_store_dword v[0:1], v2, off
.LBB72_8:
	s_endpgm
.LBB72_9:
	v_or_b32_e32 v2, 0x100, v0
	v_or_b32_e32 v0, s4, v0
	v_mov_b32_e32 v1, 0
	v_lshlrev_b64 v[0:1], 2, v[0:1]
	v_mov_b32_e32 v3, s3
	v_add_co_u32_e32 v0, vcc, s2, v0
	v_addc_co_u32_e32 v1, vcc, v3, v1, vcc
	v_mov_b32_e32 v3, s1
	global_store_dword v[0:1], v3, off
	v_mov_b32_e32 v0, v2
	s_or_b64 exec, exec, s[6:7]
	v_cmp_gt_i32_e32 vcc, s0, v0
	s_and_saveexec_b64 s[6:7], vcc
	s_cbranch_execz .LBB72_5
.LBB72_10:
	v_add_u32_e32 v1, s4, v0
	v_mov_b32_e32 v2, 0
	v_lshlrev_b64 v[1:2], 2, v[1:2]
	v_mov_b32_e32 v3, s3
	v_add_co_u32_e32 v1, vcc, s2, v1
	v_addc_co_u32_e32 v2, vcc, v3, v2, vcc
	v_add_u32_e32 v0, 0x100, v0
	v_mov_b32_e32 v3, s1
	global_store_dword v[1:2], v3, off
	s_or_b64 exec, exec, s[6:7]
	v_cmp_gt_i32_e32 vcc, s0, v0
	s_and_saveexec_b64 s[6:7], vcc
	s_cbranch_execz .LBB72_6
.LBB72_11:
	v_add_u32_e32 v1, s4, v0
	v_mov_b32_e32 v2, 0
	v_lshlrev_b64 v[1:2], 2, v[1:2]
	v_mov_b32_e32 v3, s3
	v_add_co_u32_e32 v1, vcc, s2, v1
	v_addc_co_u32_e32 v2, vcc, v3, v2, vcc
	v_add_u32_e32 v0, 0x100, v0
	v_mov_b32_e32 v3, s1
	global_store_dword v[1:2], v3, off
	s_or_b64 exec, exec, s[6:7]
	v_cmp_gt_i32_e32 vcc, s0, v0
	s_and_saveexec_b64 s[6:7], vcc
	s_cbranch_execnz .LBB72_7
	s_branch .LBB72_8
	.section	.rodata,"a",@progbits
	.p2align	6, 0x0
	.amdhsa_kernel _ZN2at6native29vectorized_elementwise_kernelILi16ENS0_11FillFunctorIN3c107complexINS3_4HalfEEEEESt5arrayIPcLm1EEEEviT0_T1_
		.amdhsa_group_segment_fixed_size 0
		.amdhsa_private_segment_fixed_size 0
		.amdhsa_kernarg_size 16
		.amdhsa_user_sgpr_count 6
		.amdhsa_user_sgpr_private_segment_buffer 1
		.amdhsa_user_sgpr_dispatch_ptr 0
		.amdhsa_user_sgpr_queue_ptr 0
		.amdhsa_user_sgpr_kernarg_segment_ptr 1
		.amdhsa_user_sgpr_dispatch_id 0
		.amdhsa_user_sgpr_flat_scratch_init 0
		.amdhsa_user_sgpr_private_segment_size 0
		.amdhsa_uses_dynamic_stack 0
		.amdhsa_system_sgpr_private_segment_wavefront_offset 0
		.amdhsa_system_sgpr_workgroup_id_x 1
		.amdhsa_system_sgpr_workgroup_id_y 0
		.amdhsa_system_sgpr_workgroup_id_z 0
		.amdhsa_system_sgpr_workgroup_info 0
		.amdhsa_system_vgpr_workitem_id 0
		.amdhsa_next_free_vgpr 6
		.amdhsa_next_free_sgpr 8
		.amdhsa_reserve_vcc 1
		.amdhsa_reserve_flat_scratch 0
		.amdhsa_float_round_mode_32 0
		.amdhsa_float_round_mode_16_64 0
		.amdhsa_float_denorm_mode_32 3
		.amdhsa_float_denorm_mode_16_64 3
		.amdhsa_dx10_clamp 1
		.amdhsa_ieee_mode 1
		.amdhsa_fp16_overflow 0
		.amdhsa_exception_fp_ieee_invalid_op 0
		.amdhsa_exception_fp_denorm_src 0
		.amdhsa_exception_fp_ieee_div_zero 0
		.amdhsa_exception_fp_ieee_overflow 0
		.amdhsa_exception_fp_ieee_underflow 0
		.amdhsa_exception_fp_ieee_inexact 0
		.amdhsa_exception_int_div_zero 0
	.end_amdhsa_kernel
	.section	.text._ZN2at6native29vectorized_elementwise_kernelILi16ENS0_11FillFunctorIN3c107complexINS3_4HalfEEEEESt5arrayIPcLm1EEEEviT0_T1_,"axG",@progbits,_ZN2at6native29vectorized_elementwise_kernelILi16ENS0_11FillFunctorIN3c107complexINS3_4HalfEEEEESt5arrayIPcLm1EEEEviT0_T1_,comdat
.Lfunc_end72:
	.size	_ZN2at6native29vectorized_elementwise_kernelILi16ENS0_11FillFunctorIN3c107complexINS3_4HalfEEEEESt5arrayIPcLm1EEEEviT0_T1_, .Lfunc_end72-_ZN2at6native29vectorized_elementwise_kernelILi16ENS0_11FillFunctorIN3c107complexINS3_4HalfEEEEESt5arrayIPcLm1EEEEviT0_T1_
                                        ; -- End function
	.set _ZN2at6native29vectorized_elementwise_kernelILi16ENS0_11FillFunctorIN3c107complexINS3_4HalfEEEEESt5arrayIPcLm1EEEEviT0_T1_.num_vgpr, 6
	.set _ZN2at6native29vectorized_elementwise_kernelILi16ENS0_11FillFunctorIN3c107complexINS3_4HalfEEEEESt5arrayIPcLm1EEEEviT0_T1_.num_agpr, 0
	.set _ZN2at6native29vectorized_elementwise_kernelILi16ENS0_11FillFunctorIN3c107complexINS3_4HalfEEEEESt5arrayIPcLm1EEEEviT0_T1_.numbered_sgpr, 8
	.set _ZN2at6native29vectorized_elementwise_kernelILi16ENS0_11FillFunctorIN3c107complexINS3_4HalfEEEEESt5arrayIPcLm1EEEEviT0_T1_.num_named_barrier, 0
	.set _ZN2at6native29vectorized_elementwise_kernelILi16ENS0_11FillFunctorIN3c107complexINS3_4HalfEEEEESt5arrayIPcLm1EEEEviT0_T1_.private_seg_size, 0
	.set _ZN2at6native29vectorized_elementwise_kernelILi16ENS0_11FillFunctorIN3c107complexINS3_4HalfEEEEESt5arrayIPcLm1EEEEviT0_T1_.uses_vcc, 1
	.set _ZN2at6native29vectorized_elementwise_kernelILi16ENS0_11FillFunctorIN3c107complexINS3_4HalfEEEEESt5arrayIPcLm1EEEEviT0_T1_.uses_flat_scratch, 0
	.set _ZN2at6native29vectorized_elementwise_kernelILi16ENS0_11FillFunctorIN3c107complexINS3_4HalfEEEEESt5arrayIPcLm1EEEEviT0_T1_.has_dyn_sized_stack, 0
	.set _ZN2at6native29vectorized_elementwise_kernelILi16ENS0_11FillFunctorIN3c107complexINS3_4HalfEEEEESt5arrayIPcLm1EEEEviT0_T1_.has_recursion, 0
	.set _ZN2at6native29vectorized_elementwise_kernelILi16ENS0_11FillFunctorIN3c107complexINS3_4HalfEEEEESt5arrayIPcLm1EEEEviT0_T1_.has_indirect_call, 0
	.section	.AMDGPU.csdata,"",@progbits
; Kernel info:
; codeLenInByte = 392
; TotalNumSgprs: 12
; NumVgprs: 6
; ScratchSize: 0
; MemoryBound: 0
; FloatMode: 240
; IeeeMode: 1
; LDSByteSize: 0 bytes/workgroup (compile time only)
; SGPRBlocks: 1
; VGPRBlocks: 1
; NumSGPRsForWavesPerEU: 12
; NumVGPRsForWavesPerEU: 6
; Occupancy: 10
; WaveLimiterHint : 0
; COMPUTE_PGM_RSRC2:SCRATCH_EN: 0
; COMPUTE_PGM_RSRC2:USER_SGPR: 6
; COMPUTE_PGM_RSRC2:TRAP_HANDLER: 0
; COMPUTE_PGM_RSRC2:TGID_X_EN: 1
; COMPUTE_PGM_RSRC2:TGID_Y_EN: 0
; COMPUTE_PGM_RSRC2:TGID_Z_EN: 0
; COMPUTE_PGM_RSRC2:TIDIG_COMP_CNT: 0
	.section	.text._ZN2at6native29vectorized_elementwise_kernelILi8ENS0_11FillFunctorIN3c107complexINS3_4HalfEEEEESt5arrayIPcLm1EEEEviT0_T1_,"axG",@progbits,_ZN2at6native29vectorized_elementwise_kernelILi8ENS0_11FillFunctorIN3c107complexINS3_4HalfEEEEESt5arrayIPcLm1EEEEviT0_T1_,comdat
	.protected	_ZN2at6native29vectorized_elementwise_kernelILi8ENS0_11FillFunctorIN3c107complexINS3_4HalfEEEEESt5arrayIPcLm1EEEEviT0_T1_ ; -- Begin function _ZN2at6native29vectorized_elementwise_kernelILi8ENS0_11FillFunctorIN3c107complexINS3_4HalfEEEEESt5arrayIPcLm1EEEEviT0_T1_
	.globl	_ZN2at6native29vectorized_elementwise_kernelILi8ENS0_11FillFunctorIN3c107complexINS3_4HalfEEEEESt5arrayIPcLm1EEEEviT0_T1_
	.p2align	8
	.type	_ZN2at6native29vectorized_elementwise_kernelILi8ENS0_11FillFunctorIN3c107complexINS3_4HalfEEEEESt5arrayIPcLm1EEEEviT0_T1_,@function
_ZN2at6native29vectorized_elementwise_kernelILi8ENS0_11FillFunctorIN3c107complexINS3_4HalfEEEEESt5arrayIPcLm1EEEEviT0_T1_: ; @_ZN2at6native29vectorized_elementwise_kernelILi8ENS0_11FillFunctorIN3c107complexINS3_4HalfEEEEESt5arrayIPcLm1EEEEviT0_T1_
; %bb.0:
	s_load_dwordx4 s[0:3], s[4:5], 0x0
	s_lshl_b32 s4, s6, 10
	s_mov_b64 s[6:7], -1
	s_waitcnt lgkmcnt(0)
	s_sub_i32 s0, s0, s4
	s_cmpk_gt_i32 s0, 0x3ff
	s_cbranch_scc0 .LBB73_2
; %bb.1:
	s_ashr_i32 s5, s4, 31
	s_lshl_b64 s[6:7], s[4:5], 2
	s_add_u32 s6, s2, s6
	s_addc_u32 s7, s3, s7
	v_lshlrev_b32_e32 v5, 4, v0
	v_mov_b32_e32 v1, s1
	v_mov_b32_e32 v2, s1
	;; [unrolled: 1-line block ×4, first 2 shown]
	global_store_dwordx4 v5, v[1:4], s[6:7]
	s_mov_b64 s[6:7], 0
.LBB73_2:
	s_andn2_b64 vcc, exec, s[6:7]
	s_cbranch_vccnz .LBB73_8
; %bb.3:
	v_cmp_gt_i32_e32 vcc, s0, v0
	s_and_saveexec_b64 s[6:7], vcc
	s_cbranch_execnz .LBB73_9
; %bb.4:
	s_or_b64 exec, exec, s[6:7]
	v_cmp_gt_i32_e32 vcc, s0, v0
	s_and_saveexec_b64 s[6:7], vcc
	s_cbranch_execnz .LBB73_10
.LBB73_5:
	s_or_b64 exec, exec, s[6:7]
	v_cmp_gt_i32_e32 vcc, s0, v0
	s_and_saveexec_b64 s[6:7], vcc
	s_cbranch_execnz .LBB73_11
.LBB73_6:
	s_or_b64 exec, exec, s[6:7]
	v_cmp_gt_i32_e32 vcc, s0, v0
	s_and_saveexec_b64 s[6:7], vcc
	s_cbranch_execz .LBB73_8
.LBB73_7:
	v_add_u32_e32 v0, s4, v0
	v_mov_b32_e32 v1, 0
	v_lshlrev_b64 v[0:1], 2, v[0:1]
	v_mov_b32_e32 v2, s3
	v_add_co_u32_e32 v0, vcc, s2, v0
	v_addc_co_u32_e32 v1, vcc, v2, v1, vcc
	v_mov_b32_e32 v2, s1
	global_store_dword v[0:1], v2, off
.LBB73_8:
	s_endpgm
.LBB73_9:
	v_or_b32_e32 v2, 0x100, v0
	v_or_b32_e32 v0, s4, v0
	v_mov_b32_e32 v1, 0
	v_lshlrev_b64 v[0:1], 2, v[0:1]
	v_mov_b32_e32 v3, s3
	v_add_co_u32_e32 v0, vcc, s2, v0
	v_addc_co_u32_e32 v1, vcc, v3, v1, vcc
	v_mov_b32_e32 v3, s1
	global_store_dword v[0:1], v3, off
	v_mov_b32_e32 v0, v2
	s_or_b64 exec, exec, s[6:7]
	v_cmp_gt_i32_e32 vcc, s0, v0
	s_and_saveexec_b64 s[6:7], vcc
	s_cbranch_execz .LBB73_5
.LBB73_10:
	v_add_u32_e32 v1, s4, v0
	v_mov_b32_e32 v2, 0
	v_lshlrev_b64 v[1:2], 2, v[1:2]
	v_mov_b32_e32 v3, s3
	v_add_co_u32_e32 v1, vcc, s2, v1
	v_addc_co_u32_e32 v2, vcc, v3, v2, vcc
	v_add_u32_e32 v0, 0x100, v0
	v_mov_b32_e32 v3, s1
	global_store_dword v[1:2], v3, off
	s_or_b64 exec, exec, s[6:7]
	v_cmp_gt_i32_e32 vcc, s0, v0
	s_and_saveexec_b64 s[6:7], vcc
	s_cbranch_execz .LBB73_6
.LBB73_11:
	v_add_u32_e32 v1, s4, v0
	v_mov_b32_e32 v2, 0
	v_lshlrev_b64 v[1:2], 2, v[1:2]
	v_mov_b32_e32 v3, s3
	v_add_co_u32_e32 v1, vcc, s2, v1
	v_addc_co_u32_e32 v2, vcc, v3, v2, vcc
	v_add_u32_e32 v0, 0x100, v0
	v_mov_b32_e32 v3, s1
	global_store_dword v[1:2], v3, off
	s_or_b64 exec, exec, s[6:7]
	v_cmp_gt_i32_e32 vcc, s0, v0
	s_and_saveexec_b64 s[6:7], vcc
	s_cbranch_execnz .LBB73_7
	s_branch .LBB73_8
	.section	.rodata,"a",@progbits
	.p2align	6, 0x0
	.amdhsa_kernel _ZN2at6native29vectorized_elementwise_kernelILi8ENS0_11FillFunctorIN3c107complexINS3_4HalfEEEEESt5arrayIPcLm1EEEEviT0_T1_
		.amdhsa_group_segment_fixed_size 0
		.amdhsa_private_segment_fixed_size 0
		.amdhsa_kernarg_size 16
		.amdhsa_user_sgpr_count 6
		.amdhsa_user_sgpr_private_segment_buffer 1
		.amdhsa_user_sgpr_dispatch_ptr 0
		.amdhsa_user_sgpr_queue_ptr 0
		.amdhsa_user_sgpr_kernarg_segment_ptr 1
		.amdhsa_user_sgpr_dispatch_id 0
		.amdhsa_user_sgpr_flat_scratch_init 0
		.amdhsa_user_sgpr_private_segment_size 0
		.amdhsa_uses_dynamic_stack 0
		.amdhsa_system_sgpr_private_segment_wavefront_offset 0
		.amdhsa_system_sgpr_workgroup_id_x 1
		.amdhsa_system_sgpr_workgroup_id_y 0
		.amdhsa_system_sgpr_workgroup_id_z 0
		.amdhsa_system_sgpr_workgroup_info 0
		.amdhsa_system_vgpr_workitem_id 0
		.amdhsa_next_free_vgpr 6
		.amdhsa_next_free_sgpr 8
		.amdhsa_reserve_vcc 1
		.amdhsa_reserve_flat_scratch 0
		.amdhsa_float_round_mode_32 0
		.amdhsa_float_round_mode_16_64 0
		.amdhsa_float_denorm_mode_32 3
		.amdhsa_float_denorm_mode_16_64 3
		.amdhsa_dx10_clamp 1
		.amdhsa_ieee_mode 1
		.amdhsa_fp16_overflow 0
		.amdhsa_exception_fp_ieee_invalid_op 0
		.amdhsa_exception_fp_denorm_src 0
		.amdhsa_exception_fp_ieee_div_zero 0
		.amdhsa_exception_fp_ieee_overflow 0
		.amdhsa_exception_fp_ieee_underflow 0
		.amdhsa_exception_fp_ieee_inexact 0
		.amdhsa_exception_int_div_zero 0
	.end_amdhsa_kernel
	.section	.text._ZN2at6native29vectorized_elementwise_kernelILi8ENS0_11FillFunctorIN3c107complexINS3_4HalfEEEEESt5arrayIPcLm1EEEEviT0_T1_,"axG",@progbits,_ZN2at6native29vectorized_elementwise_kernelILi8ENS0_11FillFunctorIN3c107complexINS3_4HalfEEEEESt5arrayIPcLm1EEEEviT0_T1_,comdat
.Lfunc_end73:
	.size	_ZN2at6native29vectorized_elementwise_kernelILi8ENS0_11FillFunctorIN3c107complexINS3_4HalfEEEEESt5arrayIPcLm1EEEEviT0_T1_, .Lfunc_end73-_ZN2at6native29vectorized_elementwise_kernelILi8ENS0_11FillFunctorIN3c107complexINS3_4HalfEEEEESt5arrayIPcLm1EEEEviT0_T1_
                                        ; -- End function
	.set _ZN2at6native29vectorized_elementwise_kernelILi8ENS0_11FillFunctorIN3c107complexINS3_4HalfEEEEESt5arrayIPcLm1EEEEviT0_T1_.num_vgpr, 6
	.set _ZN2at6native29vectorized_elementwise_kernelILi8ENS0_11FillFunctorIN3c107complexINS3_4HalfEEEEESt5arrayIPcLm1EEEEviT0_T1_.num_agpr, 0
	.set _ZN2at6native29vectorized_elementwise_kernelILi8ENS0_11FillFunctorIN3c107complexINS3_4HalfEEEEESt5arrayIPcLm1EEEEviT0_T1_.numbered_sgpr, 8
	.set _ZN2at6native29vectorized_elementwise_kernelILi8ENS0_11FillFunctorIN3c107complexINS3_4HalfEEEEESt5arrayIPcLm1EEEEviT0_T1_.num_named_barrier, 0
	.set _ZN2at6native29vectorized_elementwise_kernelILi8ENS0_11FillFunctorIN3c107complexINS3_4HalfEEEEESt5arrayIPcLm1EEEEviT0_T1_.private_seg_size, 0
	.set _ZN2at6native29vectorized_elementwise_kernelILi8ENS0_11FillFunctorIN3c107complexINS3_4HalfEEEEESt5arrayIPcLm1EEEEviT0_T1_.uses_vcc, 1
	.set _ZN2at6native29vectorized_elementwise_kernelILi8ENS0_11FillFunctorIN3c107complexINS3_4HalfEEEEESt5arrayIPcLm1EEEEviT0_T1_.uses_flat_scratch, 0
	.set _ZN2at6native29vectorized_elementwise_kernelILi8ENS0_11FillFunctorIN3c107complexINS3_4HalfEEEEESt5arrayIPcLm1EEEEviT0_T1_.has_dyn_sized_stack, 0
	.set _ZN2at6native29vectorized_elementwise_kernelILi8ENS0_11FillFunctorIN3c107complexINS3_4HalfEEEEESt5arrayIPcLm1EEEEviT0_T1_.has_recursion, 0
	.set _ZN2at6native29vectorized_elementwise_kernelILi8ENS0_11FillFunctorIN3c107complexINS3_4HalfEEEEESt5arrayIPcLm1EEEEviT0_T1_.has_indirect_call, 0
	.section	.AMDGPU.csdata,"",@progbits
; Kernel info:
; codeLenInByte = 392
; TotalNumSgprs: 12
; NumVgprs: 6
; ScratchSize: 0
; MemoryBound: 0
; FloatMode: 240
; IeeeMode: 1
; LDSByteSize: 0 bytes/workgroup (compile time only)
; SGPRBlocks: 1
; VGPRBlocks: 1
; NumSGPRsForWavesPerEU: 12
; NumVGPRsForWavesPerEU: 6
; Occupancy: 10
; WaveLimiterHint : 0
; COMPUTE_PGM_RSRC2:SCRATCH_EN: 0
; COMPUTE_PGM_RSRC2:USER_SGPR: 6
; COMPUTE_PGM_RSRC2:TRAP_HANDLER: 0
; COMPUTE_PGM_RSRC2:TGID_X_EN: 1
; COMPUTE_PGM_RSRC2:TGID_Y_EN: 0
; COMPUTE_PGM_RSRC2:TGID_Z_EN: 0
; COMPUTE_PGM_RSRC2:TIDIG_COMP_CNT: 0
	.section	.text._ZN2at6native29vectorized_elementwise_kernelILi4ENS0_11FillFunctorIN3c107complexINS3_4HalfEEEEESt5arrayIPcLm1EEEEviT0_T1_,"axG",@progbits,_ZN2at6native29vectorized_elementwise_kernelILi4ENS0_11FillFunctorIN3c107complexINS3_4HalfEEEEESt5arrayIPcLm1EEEEviT0_T1_,comdat
	.protected	_ZN2at6native29vectorized_elementwise_kernelILi4ENS0_11FillFunctorIN3c107complexINS3_4HalfEEEEESt5arrayIPcLm1EEEEviT0_T1_ ; -- Begin function _ZN2at6native29vectorized_elementwise_kernelILi4ENS0_11FillFunctorIN3c107complexINS3_4HalfEEEEESt5arrayIPcLm1EEEEviT0_T1_
	.globl	_ZN2at6native29vectorized_elementwise_kernelILi4ENS0_11FillFunctorIN3c107complexINS3_4HalfEEEEESt5arrayIPcLm1EEEEviT0_T1_
	.p2align	8
	.type	_ZN2at6native29vectorized_elementwise_kernelILi4ENS0_11FillFunctorIN3c107complexINS3_4HalfEEEEESt5arrayIPcLm1EEEEviT0_T1_,@function
_ZN2at6native29vectorized_elementwise_kernelILi4ENS0_11FillFunctorIN3c107complexINS3_4HalfEEEEESt5arrayIPcLm1EEEEviT0_T1_: ; @_ZN2at6native29vectorized_elementwise_kernelILi4ENS0_11FillFunctorIN3c107complexINS3_4HalfEEEEESt5arrayIPcLm1EEEEviT0_T1_
; %bb.0:
	s_load_dwordx4 s[0:3], s[4:5], 0x0
	s_lshl_b32 s4, s6, 10
	s_mov_b64 s[6:7], -1
	s_waitcnt lgkmcnt(0)
	s_sub_i32 s0, s0, s4
	s_cmpk_gt_i32 s0, 0x3ff
	s_cbranch_scc0 .LBB74_2
; %bb.1:
	s_ashr_i32 s5, s4, 31
	s_lshl_b64 s[6:7], s[4:5], 2
	s_add_u32 s6, s2, s6
	s_addc_u32 s7, s3, s7
	v_lshlrev_b32_e32 v5, 4, v0
	v_mov_b32_e32 v1, s1
	v_mov_b32_e32 v2, s1
	;; [unrolled: 1-line block ×4, first 2 shown]
	global_store_dwordx4 v5, v[1:4], s[6:7]
	s_mov_b64 s[6:7], 0
.LBB74_2:
	s_andn2_b64 vcc, exec, s[6:7]
	s_cbranch_vccnz .LBB74_8
; %bb.3:
	v_cmp_gt_i32_e32 vcc, s0, v0
	s_and_saveexec_b64 s[6:7], vcc
	s_cbranch_execnz .LBB74_9
; %bb.4:
	s_or_b64 exec, exec, s[6:7]
	v_cmp_gt_i32_e32 vcc, s0, v0
	s_and_saveexec_b64 s[6:7], vcc
	s_cbranch_execnz .LBB74_10
.LBB74_5:
	s_or_b64 exec, exec, s[6:7]
	v_cmp_gt_i32_e32 vcc, s0, v0
	s_and_saveexec_b64 s[6:7], vcc
	s_cbranch_execnz .LBB74_11
.LBB74_6:
	s_or_b64 exec, exec, s[6:7]
	v_cmp_gt_i32_e32 vcc, s0, v0
	s_and_saveexec_b64 s[6:7], vcc
	s_cbranch_execz .LBB74_8
.LBB74_7:
	v_add_u32_e32 v0, s4, v0
	v_mov_b32_e32 v1, 0
	v_lshlrev_b64 v[0:1], 2, v[0:1]
	v_mov_b32_e32 v2, s3
	v_add_co_u32_e32 v0, vcc, s2, v0
	v_addc_co_u32_e32 v1, vcc, v2, v1, vcc
	v_mov_b32_e32 v2, s1
	global_store_dword v[0:1], v2, off
.LBB74_8:
	s_endpgm
.LBB74_9:
	v_or_b32_e32 v2, 0x100, v0
	v_or_b32_e32 v0, s4, v0
	v_mov_b32_e32 v1, 0
	v_lshlrev_b64 v[0:1], 2, v[0:1]
	v_mov_b32_e32 v3, s3
	v_add_co_u32_e32 v0, vcc, s2, v0
	v_addc_co_u32_e32 v1, vcc, v3, v1, vcc
	v_mov_b32_e32 v3, s1
	global_store_dword v[0:1], v3, off
	v_mov_b32_e32 v0, v2
	s_or_b64 exec, exec, s[6:7]
	v_cmp_gt_i32_e32 vcc, s0, v0
	s_and_saveexec_b64 s[6:7], vcc
	s_cbranch_execz .LBB74_5
.LBB74_10:
	v_add_u32_e32 v1, s4, v0
	v_mov_b32_e32 v2, 0
	v_lshlrev_b64 v[1:2], 2, v[1:2]
	v_mov_b32_e32 v3, s3
	v_add_co_u32_e32 v1, vcc, s2, v1
	v_addc_co_u32_e32 v2, vcc, v3, v2, vcc
	v_add_u32_e32 v0, 0x100, v0
	v_mov_b32_e32 v3, s1
	global_store_dword v[1:2], v3, off
	s_or_b64 exec, exec, s[6:7]
	v_cmp_gt_i32_e32 vcc, s0, v0
	s_and_saveexec_b64 s[6:7], vcc
	s_cbranch_execz .LBB74_6
.LBB74_11:
	v_add_u32_e32 v1, s4, v0
	v_mov_b32_e32 v2, 0
	v_lshlrev_b64 v[1:2], 2, v[1:2]
	v_mov_b32_e32 v3, s3
	v_add_co_u32_e32 v1, vcc, s2, v1
	v_addc_co_u32_e32 v2, vcc, v3, v2, vcc
	v_add_u32_e32 v0, 0x100, v0
	v_mov_b32_e32 v3, s1
	global_store_dword v[1:2], v3, off
	s_or_b64 exec, exec, s[6:7]
	v_cmp_gt_i32_e32 vcc, s0, v0
	s_and_saveexec_b64 s[6:7], vcc
	s_cbranch_execnz .LBB74_7
	s_branch .LBB74_8
	.section	.rodata,"a",@progbits
	.p2align	6, 0x0
	.amdhsa_kernel _ZN2at6native29vectorized_elementwise_kernelILi4ENS0_11FillFunctorIN3c107complexINS3_4HalfEEEEESt5arrayIPcLm1EEEEviT0_T1_
		.amdhsa_group_segment_fixed_size 0
		.amdhsa_private_segment_fixed_size 0
		.amdhsa_kernarg_size 16
		.amdhsa_user_sgpr_count 6
		.amdhsa_user_sgpr_private_segment_buffer 1
		.amdhsa_user_sgpr_dispatch_ptr 0
		.amdhsa_user_sgpr_queue_ptr 0
		.amdhsa_user_sgpr_kernarg_segment_ptr 1
		.amdhsa_user_sgpr_dispatch_id 0
		.amdhsa_user_sgpr_flat_scratch_init 0
		.amdhsa_user_sgpr_private_segment_size 0
		.amdhsa_uses_dynamic_stack 0
		.amdhsa_system_sgpr_private_segment_wavefront_offset 0
		.amdhsa_system_sgpr_workgroup_id_x 1
		.amdhsa_system_sgpr_workgroup_id_y 0
		.amdhsa_system_sgpr_workgroup_id_z 0
		.amdhsa_system_sgpr_workgroup_info 0
		.amdhsa_system_vgpr_workitem_id 0
		.amdhsa_next_free_vgpr 6
		.amdhsa_next_free_sgpr 8
		.amdhsa_reserve_vcc 1
		.amdhsa_reserve_flat_scratch 0
		.amdhsa_float_round_mode_32 0
		.amdhsa_float_round_mode_16_64 0
		.amdhsa_float_denorm_mode_32 3
		.amdhsa_float_denorm_mode_16_64 3
		.amdhsa_dx10_clamp 1
		.amdhsa_ieee_mode 1
		.amdhsa_fp16_overflow 0
		.amdhsa_exception_fp_ieee_invalid_op 0
		.amdhsa_exception_fp_denorm_src 0
		.amdhsa_exception_fp_ieee_div_zero 0
		.amdhsa_exception_fp_ieee_overflow 0
		.amdhsa_exception_fp_ieee_underflow 0
		.amdhsa_exception_fp_ieee_inexact 0
		.amdhsa_exception_int_div_zero 0
	.end_amdhsa_kernel
	.section	.text._ZN2at6native29vectorized_elementwise_kernelILi4ENS0_11FillFunctorIN3c107complexINS3_4HalfEEEEESt5arrayIPcLm1EEEEviT0_T1_,"axG",@progbits,_ZN2at6native29vectorized_elementwise_kernelILi4ENS0_11FillFunctorIN3c107complexINS3_4HalfEEEEESt5arrayIPcLm1EEEEviT0_T1_,comdat
.Lfunc_end74:
	.size	_ZN2at6native29vectorized_elementwise_kernelILi4ENS0_11FillFunctorIN3c107complexINS3_4HalfEEEEESt5arrayIPcLm1EEEEviT0_T1_, .Lfunc_end74-_ZN2at6native29vectorized_elementwise_kernelILi4ENS0_11FillFunctorIN3c107complexINS3_4HalfEEEEESt5arrayIPcLm1EEEEviT0_T1_
                                        ; -- End function
	.set _ZN2at6native29vectorized_elementwise_kernelILi4ENS0_11FillFunctorIN3c107complexINS3_4HalfEEEEESt5arrayIPcLm1EEEEviT0_T1_.num_vgpr, 6
	.set _ZN2at6native29vectorized_elementwise_kernelILi4ENS0_11FillFunctorIN3c107complexINS3_4HalfEEEEESt5arrayIPcLm1EEEEviT0_T1_.num_agpr, 0
	.set _ZN2at6native29vectorized_elementwise_kernelILi4ENS0_11FillFunctorIN3c107complexINS3_4HalfEEEEESt5arrayIPcLm1EEEEviT0_T1_.numbered_sgpr, 8
	.set _ZN2at6native29vectorized_elementwise_kernelILi4ENS0_11FillFunctorIN3c107complexINS3_4HalfEEEEESt5arrayIPcLm1EEEEviT0_T1_.num_named_barrier, 0
	.set _ZN2at6native29vectorized_elementwise_kernelILi4ENS0_11FillFunctorIN3c107complexINS3_4HalfEEEEESt5arrayIPcLm1EEEEviT0_T1_.private_seg_size, 0
	.set _ZN2at6native29vectorized_elementwise_kernelILi4ENS0_11FillFunctorIN3c107complexINS3_4HalfEEEEESt5arrayIPcLm1EEEEviT0_T1_.uses_vcc, 1
	.set _ZN2at6native29vectorized_elementwise_kernelILi4ENS0_11FillFunctorIN3c107complexINS3_4HalfEEEEESt5arrayIPcLm1EEEEviT0_T1_.uses_flat_scratch, 0
	.set _ZN2at6native29vectorized_elementwise_kernelILi4ENS0_11FillFunctorIN3c107complexINS3_4HalfEEEEESt5arrayIPcLm1EEEEviT0_T1_.has_dyn_sized_stack, 0
	.set _ZN2at6native29vectorized_elementwise_kernelILi4ENS0_11FillFunctorIN3c107complexINS3_4HalfEEEEESt5arrayIPcLm1EEEEviT0_T1_.has_recursion, 0
	.set _ZN2at6native29vectorized_elementwise_kernelILi4ENS0_11FillFunctorIN3c107complexINS3_4HalfEEEEESt5arrayIPcLm1EEEEviT0_T1_.has_indirect_call, 0
	.section	.AMDGPU.csdata,"",@progbits
; Kernel info:
; codeLenInByte = 392
; TotalNumSgprs: 12
; NumVgprs: 6
; ScratchSize: 0
; MemoryBound: 0
; FloatMode: 240
; IeeeMode: 1
; LDSByteSize: 0 bytes/workgroup (compile time only)
; SGPRBlocks: 1
; VGPRBlocks: 1
; NumSGPRsForWavesPerEU: 12
; NumVGPRsForWavesPerEU: 6
; Occupancy: 10
; WaveLimiterHint : 0
; COMPUTE_PGM_RSRC2:SCRATCH_EN: 0
; COMPUTE_PGM_RSRC2:USER_SGPR: 6
; COMPUTE_PGM_RSRC2:TRAP_HANDLER: 0
; COMPUTE_PGM_RSRC2:TGID_X_EN: 1
; COMPUTE_PGM_RSRC2:TGID_Y_EN: 0
; COMPUTE_PGM_RSRC2:TGID_Z_EN: 0
; COMPUTE_PGM_RSRC2:TIDIG_COMP_CNT: 0
	.section	.text._ZN2at6native29vectorized_elementwise_kernelILi2ENS0_11FillFunctorIN3c107complexINS3_4HalfEEEEESt5arrayIPcLm1EEEEviT0_T1_,"axG",@progbits,_ZN2at6native29vectorized_elementwise_kernelILi2ENS0_11FillFunctorIN3c107complexINS3_4HalfEEEEESt5arrayIPcLm1EEEEviT0_T1_,comdat
	.protected	_ZN2at6native29vectorized_elementwise_kernelILi2ENS0_11FillFunctorIN3c107complexINS3_4HalfEEEEESt5arrayIPcLm1EEEEviT0_T1_ ; -- Begin function _ZN2at6native29vectorized_elementwise_kernelILi2ENS0_11FillFunctorIN3c107complexINS3_4HalfEEEEESt5arrayIPcLm1EEEEviT0_T1_
	.globl	_ZN2at6native29vectorized_elementwise_kernelILi2ENS0_11FillFunctorIN3c107complexINS3_4HalfEEEEESt5arrayIPcLm1EEEEviT0_T1_
	.p2align	8
	.type	_ZN2at6native29vectorized_elementwise_kernelILi2ENS0_11FillFunctorIN3c107complexINS3_4HalfEEEEESt5arrayIPcLm1EEEEviT0_T1_,@function
_ZN2at6native29vectorized_elementwise_kernelILi2ENS0_11FillFunctorIN3c107complexINS3_4HalfEEEEESt5arrayIPcLm1EEEEviT0_T1_: ; @_ZN2at6native29vectorized_elementwise_kernelILi2ENS0_11FillFunctorIN3c107complexINS3_4HalfEEEEESt5arrayIPcLm1EEEEviT0_T1_
; %bb.0:
	s_load_dwordx4 s[0:3], s[4:5], 0x0
	s_lshl_b32 s4, s6, 10
	s_mov_b64 s[6:7], -1
	s_waitcnt lgkmcnt(0)
	s_sub_i32 s8, s0, s4
	s_cmpk_gt_i32 s8, 0x3ff
	s_cbranch_scc0 .LBB75_2
; %bb.1:
	s_ashr_i32 s5, s4, 31
	s_lshl_b64 s[6:7], s[4:5], 2
	s_mov_b32 s0, s1
	s_add_u32 s6, s2, s6
	v_mov_b32_e32 v2, s1
	s_addc_u32 s7, s3, s7
	v_lshlrev_b32_e32 v3, 3, v0
	v_mov_b32_e32 v1, s0
	global_store_dwordx2 v3, v[1:2], s[6:7]
	global_store_dwordx2 v3, v[1:2], s[6:7] offset:2048
	s_mov_b64 s[6:7], 0
.LBB75_2:
	s_andn2_b64 vcc, exec, s[6:7]
	s_cbranch_vccnz .LBB75_8
; %bb.3:
	v_cmp_gt_i32_e32 vcc, s8, v0
	s_and_saveexec_b64 s[6:7], vcc
	s_cbranch_execnz .LBB75_9
; %bb.4:
	s_or_b64 exec, exec, s[6:7]
	v_cmp_gt_i32_e32 vcc, s8, v0
	s_and_saveexec_b64 s[6:7], vcc
	s_cbranch_execnz .LBB75_10
.LBB75_5:
	s_or_b64 exec, exec, s[6:7]
	v_cmp_gt_i32_e32 vcc, s8, v0
	s_and_saveexec_b64 s[6:7], vcc
	s_cbranch_execnz .LBB75_11
.LBB75_6:
	s_or_b64 exec, exec, s[6:7]
	v_cmp_gt_i32_e32 vcc, s8, v0
	s_and_saveexec_b64 s[6:7], vcc
	s_cbranch_execz .LBB75_8
.LBB75_7:
	v_add_u32_e32 v0, s4, v0
	v_mov_b32_e32 v1, 0
	v_lshlrev_b64 v[0:1], 2, v[0:1]
	v_mov_b32_e32 v2, s3
	v_add_co_u32_e32 v0, vcc, s2, v0
	v_addc_co_u32_e32 v1, vcc, v2, v1, vcc
	v_mov_b32_e32 v2, s1
	global_store_dword v[0:1], v2, off
.LBB75_8:
	s_endpgm
.LBB75_9:
	v_or_b32_e32 v2, 0x100, v0
	v_or_b32_e32 v0, s4, v0
	v_mov_b32_e32 v1, 0
	v_lshlrev_b64 v[0:1], 2, v[0:1]
	v_mov_b32_e32 v3, s3
	v_add_co_u32_e32 v0, vcc, s2, v0
	v_addc_co_u32_e32 v1, vcc, v3, v1, vcc
	v_mov_b32_e32 v3, s1
	global_store_dword v[0:1], v3, off
	v_mov_b32_e32 v0, v2
	s_or_b64 exec, exec, s[6:7]
	v_cmp_gt_i32_e32 vcc, s8, v0
	s_and_saveexec_b64 s[6:7], vcc
	s_cbranch_execz .LBB75_5
.LBB75_10:
	v_add_u32_e32 v1, s4, v0
	v_mov_b32_e32 v2, 0
	v_lshlrev_b64 v[1:2], 2, v[1:2]
	v_mov_b32_e32 v3, s3
	v_add_co_u32_e32 v1, vcc, s2, v1
	v_addc_co_u32_e32 v2, vcc, v3, v2, vcc
	v_add_u32_e32 v0, 0x100, v0
	v_mov_b32_e32 v3, s1
	global_store_dword v[1:2], v3, off
	s_or_b64 exec, exec, s[6:7]
	v_cmp_gt_i32_e32 vcc, s8, v0
	s_and_saveexec_b64 s[6:7], vcc
	s_cbranch_execz .LBB75_6
.LBB75_11:
	v_add_u32_e32 v1, s4, v0
	v_mov_b32_e32 v2, 0
	v_lshlrev_b64 v[1:2], 2, v[1:2]
	v_mov_b32_e32 v3, s3
	v_add_co_u32_e32 v1, vcc, s2, v1
	v_addc_co_u32_e32 v2, vcc, v3, v2, vcc
	v_add_u32_e32 v0, 0x100, v0
	v_mov_b32_e32 v3, s1
	global_store_dword v[1:2], v3, off
	s_or_b64 exec, exec, s[6:7]
	v_cmp_gt_i32_e32 vcc, s8, v0
	s_and_saveexec_b64 s[6:7], vcc
	s_cbranch_execnz .LBB75_7
	s_branch .LBB75_8
	.section	.rodata,"a",@progbits
	.p2align	6, 0x0
	.amdhsa_kernel _ZN2at6native29vectorized_elementwise_kernelILi2ENS0_11FillFunctorIN3c107complexINS3_4HalfEEEEESt5arrayIPcLm1EEEEviT0_T1_
		.amdhsa_group_segment_fixed_size 0
		.amdhsa_private_segment_fixed_size 0
		.amdhsa_kernarg_size 16
		.amdhsa_user_sgpr_count 6
		.amdhsa_user_sgpr_private_segment_buffer 1
		.amdhsa_user_sgpr_dispatch_ptr 0
		.amdhsa_user_sgpr_queue_ptr 0
		.amdhsa_user_sgpr_kernarg_segment_ptr 1
		.amdhsa_user_sgpr_dispatch_id 0
		.amdhsa_user_sgpr_flat_scratch_init 0
		.amdhsa_user_sgpr_private_segment_size 0
		.amdhsa_uses_dynamic_stack 0
		.amdhsa_system_sgpr_private_segment_wavefront_offset 0
		.amdhsa_system_sgpr_workgroup_id_x 1
		.amdhsa_system_sgpr_workgroup_id_y 0
		.amdhsa_system_sgpr_workgroup_id_z 0
		.amdhsa_system_sgpr_workgroup_info 0
		.amdhsa_system_vgpr_workitem_id 0
		.amdhsa_next_free_vgpr 4
		.amdhsa_next_free_sgpr 9
		.amdhsa_reserve_vcc 1
		.amdhsa_reserve_flat_scratch 0
		.amdhsa_float_round_mode_32 0
		.amdhsa_float_round_mode_16_64 0
		.amdhsa_float_denorm_mode_32 3
		.amdhsa_float_denorm_mode_16_64 3
		.amdhsa_dx10_clamp 1
		.amdhsa_ieee_mode 1
		.amdhsa_fp16_overflow 0
		.amdhsa_exception_fp_ieee_invalid_op 0
		.amdhsa_exception_fp_denorm_src 0
		.amdhsa_exception_fp_ieee_div_zero 0
		.amdhsa_exception_fp_ieee_overflow 0
		.amdhsa_exception_fp_ieee_underflow 0
		.amdhsa_exception_fp_ieee_inexact 0
		.amdhsa_exception_int_div_zero 0
	.end_amdhsa_kernel
	.section	.text._ZN2at6native29vectorized_elementwise_kernelILi2ENS0_11FillFunctorIN3c107complexINS3_4HalfEEEEESt5arrayIPcLm1EEEEviT0_T1_,"axG",@progbits,_ZN2at6native29vectorized_elementwise_kernelILi2ENS0_11FillFunctorIN3c107complexINS3_4HalfEEEEESt5arrayIPcLm1EEEEviT0_T1_,comdat
.Lfunc_end75:
	.size	_ZN2at6native29vectorized_elementwise_kernelILi2ENS0_11FillFunctorIN3c107complexINS3_4HalfEEEEESt5arrayIPcLm1EEEEviT0_T1_, .Lfunc_end75-_ZN2at6native29vectorized_elementwise_kernelILi2ENS0_11FillFunctorIN3c107complexINS3_4HalfEEEEESt5arrayIPcLm1EEEEviT0_T1_
                                        ; -- End function
	.set _ZN2at6native29vectorized_elementwise_kernelILi2ENS0_11FillFunctorIN3c107complexINS3_4HalfEEEEESt5arrayIPcLm1EEEEviT0_T1_.num_vgpr, 4
	.set _ZN2at6native29vectorized_elementwise_kernelILi2ENS0_11FillFunctorIN3c107complexINS3_4HalfEEEEESt5arrayIPcLm1EEEEviT0_T1_.num_agpr, 0
	.set _ZN2at6native29vectorized_elementwise_kernelILi2ENS0_11FillFunctorIN3c107complexINS3_4HalfEEEEESt5arrayIPcLm1EEEEviT0_T1_.numbered_sgpr, 9
	.set _ZN2at6native29vectorized_elementwise_kernelILi2ENS0_11FillFunctorIN3c107complexINS3_4HalfEEEEESt5arrayIPcLm1EEEEviT0_T1_.num_named_barrier, 0
	.set _ZN2at6native29vectorized_elementwise_kernelILi2ENS0_11FillFunctorIN3c107complexINS3_4HalfEEEEESt5arrayIPcLm1EEEEviT0_T1_.private_seg_size, 0
	.set _ZN2at6native29vectorized_elementwise_kernelILi2ENS0_11FillFunctorIN3c107complexINS3_4HalfEEEEESt5arrayIPcLm1EEEEviT0_T1_.uses_vcc, 1
	.set _ZN2at6native29vectorized_elementwise_kernelILi2ENS0_11FillFunctorIN3c107complexINS3_4HalfEEEEESt5arrayIPcLm1EEEEviT0_T1_.uses_flat_scratch, 0
	.set _ZN2at6native29vectorized_elementwise_kernelILi2ENS0_11FillFunctorIN3c107complexINS3_4HalfEEEEESt5arrayIPcLm1EEEEviT0_T1_.has_dyn_sized_stack, 0
	.set _ZN2at6native29vectorized_elementwise_kernelILi2ENS0_11FillFunctorIN3c107complexINS3_4HalfEEEEESt5arrayIPcLm1EEEEviT0_T1_.has_recursion, 0
	.set _ZN2at6native29vectorized_elementwise_kernelILi2ENS0_11FillFunctorIN3c107complexINS3_4HalfEEEEESt5arrayIPcLm1EEEEviT0_T1_.has_indirect_call, 0
	.section	.AMDGPU.csdata,"",@progbits
; Kernel info:
; codeLenInByte = 396
; TotalNumSgprs: 13
; NumVgprs: 4
; ScratchSize: 0
; MemoryBound: 0
; FloatMode: 240
; IeeeMode: 1
; LDSByteSize: 0 bytes/workgroup (compile time only)
; SGPRBlocks: 1
; VGPRBlocks: 0
; NumSGPRsForWavesPerEU: 13
; NumVGPRsForWavesPerEU: 4
; Occupancy: 10
; WaveLimiterHint : 1
; COMPUTE_PGM_RSRC2:SCRATCH_EN: 0
; COMPUTE_PGM_RSRC2:USER_SGPR: 6
; COMPUTE_PGM_RSRC2:TRAP_HANDLER: 0
; COMPUTE_PGM_RSRC2:TGID_X_EN: 1
; COMPUTE_PGM_RSRC2:TGID_Y_EN: 0
; COMPUTE_PGM_RSRC2:TGID_Z_EN: 0
; COMPUTE_PGM_RSRC2:TIDIG_COMP_CNT: 0
	.section	.text._ZN2at6native27unrolled_elementwise_kernelINS0_11FillFunctorIN3c107complexINS3_4HalfEEEEESt5arrayIPcLm1EELi4E23TrivialOffsetCalculatorILi0EjESB_ILi1EjENS0_6memory15LoadWithoutCastENSE_16StoreWithoutCastEEEviT_T0_T2_T3_T4_T5_,"axG",@progbits,_ZN2at6native27unrolled_elementwise_kernelINS0_11FillFunctorIN3c107complexINS3_4HalfEEEEESt5arrayIPcLm1EELi4E23TrivialOffsetCalculatorILi0EjESB_ILi1EjENS0_6memory15LoadWithoutCastENSE_16StoreWithoutCastEEEviT_T0_T2_T3_T4_T5_,comdat
	.protected	_ZN2at6native27unrolled_elementwise_kernelINS0_11FillFunctorIN3c107complexINS3_4HalfEEEEESt5arrayIPcLm1EELi4E23TrivialOffsetCalculatorILi0EjESB_ILi1EjENS0_6memory15LoadWithoutCastENSE_16StoreWithoutCastEEEviT_T0_T2_T3_T4_T5_ ; -- Begin function _ZN2at6native27unrolled_elementwise_kernelINS0_11FillFunctorIN3c107complexINS3_4HalfEEEEESt5arrayIPcLm1EELi4E23TrivialOffsetCalculatorILi0EjESB_ILi1EjENS0_6memory15LoadWithoutCastENSE_16StoreWithoutCastEEEviT_T0_T2_T3_T4_T5_
	.globl	_ZN2at6native27unrolled_elementwise_kernelINS0_11FillFunctorIN3c107complexINS3_4HalfEEEEESt5arrayIPcLm1EELi4E23TrivialOffsetCalculatorILi0EjESB_ILi1EjENS0_6memory15LoadWithoutCastENSE_16StoreWithoutCastEEEviT_T0_T2_T3_T4_T5_
	.p2align	8
	.type	_ZN2at6native27unrolled_elementwise_kernelINS0_11FillFunctorIN3c107complexINS3_4HalfEEEEESt5arrayIPcLm1EELi4E23TrivialOffsetCalculatorILi0EjESB_ILi1EjENS0_6memory15LoadWithoutCastENSE_16StoreWithoutCastEEEviT_T0_T2_T3_T4_T5_,@function
_ZN2at6native27unrolled_elementwise_kernelINS0_11FillFunctorIN3c107complexINS3_4HalfEEEEESt5arrayIPcLm1EELi4E23TrivialOffsetCalculatorILi0EjESB_ILi1EjENS0_6memory15LoadWithoutCastENSE_16StoreWithoutCastEEEviT_T0_T2_T3_T4_T5_: ; @_ZN2at6native27unrolled_elementwise_kernelINS0_11FillFunctorIN3c107complexINS3_4HalfEEEEESt5arrayIPcLm1EELi4E23TrivialOffsetCalculatorILi0EjESB_ILi1EjENS0_6memory15LoadWithoutCastENSE_16StoreWithoutCastEEEviT_T0_T2_T3_T4_T5_
; %bb.0:
	s_load_dwordx4 s[0:3], s[4:5], 0x0
	s_lshl_b32 s6, s6, 10
	s_waitcnt lgkmcnt(0)
	s_sub_i32 s0, s0, s6
	v_cmp_gt_i32_e32 vcc, s0, v0
	s_and_saveexec_b64 s[4:5], vcc
	s_cbranch_execnz .LBB76_5
; %bb.1:
	s_or_b64 exec, exec, s[4:5]
	v_cmp_gt_i32_e32 vcc, s0, v0
	s_and_saveexec_b64 s[4:5], vcc
	s_cbranch_execnz .LBB76_6
.LBB76_2:
	s_or_b64 exec, exec, s[4:5]
	v_cmp_gt_i32_e32 vcc, s0, v0
	s_and_saveexec_b64 s[4:5], vcc
	s_cbranch_execnz .LBB76_7
.LBB76_3:
	s_or_b64 exec, exec, s[4:5]
	v_cmp_gt_i32_e32 vcc, s0, v0
	s_and_saveexec_b64 s[4:5], vcc
	s_cbranch_execnz .LBB76_8
.LBB76_4:
	s_endpgm
.LBB76_5:
	v_or_b32_e32 v1, s6, v0
	v_mov_b32_e32 v2, 0
	v_lshlrev_b64 v[1:2], 2, v[1:2]
	v_mov_b32_e32 v3, s3
	v_add_co_u32_e32 v1, vcc, s2, v1
	v_addc_co_u32_e32 v2, vcc, v3, v2, vcc
	v_or_b32_e32 v0, 0x100, v0
	v_mov_b32_e32 v3, s1
	global_store_dword v[1:2], v3, off
	s_or_b64 exec, exec, s[4:5]
	v_cmp_gt_i32_e32 vcc, s0, v0
	s_and_saveexec_b64 s[4:5], vcc
	s_cbranch_execz .LBB76_2
.LBB76_6:
	v_add_u32_e32 v2, 0x100, v0
	v_add_u32_e32 v0, s6, v0
	v_mov_b32_e32 v1, 0
	v_lshlrev_b64 v[0:1], 2, v[0:1]
	v_mov_b32_e32 v3, s3
	v_add_co_u32_e32 v0, vcc, s2, v0
	v_addc_co_u32_e32 v1, vcc, v3, v1, vcc
	v_mov_b32_e32 v3, s1
	global_store_dword v[0:1], v3, off
	v_mov_b32_e32 v0, v2
	s_or_b64 exec, exec, s[4:5]
	v_cmp_gt_i32_e32 vcc, s0, v0
	s_and_saveexec_b64 s[4:5], vcc
	s_cbranch_execz .LBB76_3
.LBB76_7:
	v_add_u32_e32 v2, 0x100, v0
	v_add_u32_e32 v0, s6, v0
	v_mov_b32_e32 v1, 0
	v_lshlrev_b64 v[0:1], 2, v[0:1]
	v_mov_b32_e32 v3, s3
	v_add_co_u32_e32 v0, vcc, s2, v0
	v_addc_co_u32_e32 v1, vcc, v3, v1, vcc
	v_mov_b32_e32 v3, s1
	global_store_dword v[0:1], v3, off
	v_mov_b32_e32 v0, v2
	s_or_b64 exec, exec, s[4:5]
	v_cmp_gt_i32_e32 vcc, s0, v0
	s_and_saveexec_b64 s[4:5], vcc
	s_cbranch_execz .LBB76_4
.LBB76_8:
	v_add_u32_e32 v0, s6, v0
	v_mov_b32_e32 v1, 0
	v_lshlrev_b64 v[0:1], 2, v[0:1]
	v_mov_b32_e32 v2, s3
	v_add_co_u32_e32 v0, vcc, s2, v0
	v_addc_co_u32_e32 v1, vcc, v2, v1, vcc
	v_mov_b32_e32 v2, s1
	global_store_dword v[0:1], v2, off
	s_endpgm
	.section	.rodata,"a",@progbits
	.p2align	6, 0x0
	.amdhsa_kernel _ZN2at6native27unrolled_elementwise_kernelINS0_11FillFunctorIN3c107complexINS3_4HalfEEEEESt5arrayIPcLm1EELi4E23TrivialOffsetCalculatorILi0EjESB_ILi1EjENS0_6memory15LoadWithoutCastENSE_16StoreWithoutCastEEEviT_T0_T2_T3_T4_T5_
		.amdhsa_group_segment_fixed_size 0
		.amdhsa_private_segment_fixed_size 0
		.amdhsa_kernarg_size 20
		.amdhsa_user_sgpr_count 6
		.amdhsa_user_sgpr_private_segment_buffer 1
		.amdhsa_user_sgpr_dispatch_ptr 0
		.amdhsa_user_sgpr_queue_ptr 0
		.amdhsa_user_sgpr_kernarg_segment_ptr 1
		.amdhsa_user_sgpr_dispatch_id 0
		.amdhsa_user_sgpr_flat_scratch_init 0
		.amdhsa_user_sgpr_private_segment_size 0
		.amdhsa_uses_dynamic_stack 0
		.amdhsa_system_sgpr_private_segment_wavefront_offset 0
		.amdhsa_system_sgpr_workgroup_id_x 1
		.amdhsa_system_sgpr_workgroup_id_y 0
		.amdhsa_system_sgpr_workgroup_id_z 0
		.amdhsa_system_sgpr_workgroup_info 0
		.amdhsa_system_vgpr_workitem_id 0
		.amdhsa_next_free_vgpr 4
		.amdhsa_next_free_sgpr 7
		.amdhsa_reserve_vcc 1
		.amdhsa_reserve_flat_scratch 0
		.amdhsa_float_round_mode_32 0
		.amdhsa_float_round_mode_16_64 0
		.amdhsa_float_denorm_mode_32 3
		.amdhsa_float_denorm_mode_16_64 3
		.amdhsa_dx10_clamp 1
		.amdhsa_ieee_mode 1
		.amdhsa_fp16_overflow 0
		.amdhsa_exception_fp_ieee_invalid_op 0
		.amdhsa_exception_fp_denorm_src 0
		.amdhsa_exception_fp_ieee_div_zero 0
		.amdhsa_exception_fp_ieee_overflow 0
		.amdhsa_exception_fp_ieee_underflow 0
		.amdhsa_exception_fp_ieee_inexact 0
		.amdhsa_exception_int_div_zero 0
	.end_amdhsa_kernel
	.section	.text._ZN2at6native27unrolled_elementwise_kernelINS0_11FillFunctorIN3c107complexINS3_4HalfEEEEESt5arrayIPcLm1EELi4E23TrivialOffsetCalculatorILi0EjESB_ILi1EjENS0_6memory15LoadWithoutCastENSE_16StoreWithoutCastEEEviT_T0_T2_T3_T4_T5_,"axG",@progbits,_ZN2at6native27unrolled_elementwise_kernelINS0_11FillFunctorIN3c107complexINS3_4HalfEEEEESt5arrayIPcLm1EELi4E23TrivialOffsetCalculatorILi0EjESB_ILi1EjENS0_6memory15LoadWithoutCastENSE_16StoreWithoutCastEEEviT_T0_T2_T3_T4_T5_,comdat
.Lfunc_end76:
	.size	_ZN2at6native27unrolled_elementwise_kernelINS0_11FillFunctorIN3c107complexINS3_4HalfEEEEESt5arrayIPcLm1EELi4E23TrivialOffsetCalculatorILi0EjESB_ILi1EjENS0_6memory15LoadWithoutCastENSE_16StoreWithoutCastEEEviT_T0_T2_T3_T4_T5_, .Lfunc_end76-_ZN2at6native27unrolled_elementwise_kernelINS0_11FillFunctorIN3c107complexINS3_4HalfEEEEESt5arrayIPcLm1EELi4E23TrivialOffsetCalculatorILi0EjESB_ILi1EjENS0_6memory15LoadWithoutCastENSE_16StoreWithoutCastEEEviT_T0_T2_T3_T4_T5_
                                        ; -- End function
	.set _ZN2at6native27unrolled_elementwise_kernelINS0_11FillFunctorIN3c107complexINS3_4HalfEEEEESt5arrayIPcLm1EELi4E23TrivialOffsetCalculatorILi0EjESB_ILi1EjENS0_6memory15LoadWithoutCastENSE_16StoreWithoutCastEEEviT_T0_T2_T3_T4_T5_.num_vgpr, 4
	.set _ZN2at6native27unrolled_elementwise_kernelINS0_11FillFunctorIN3c107complexINS3_4HalfEEEEESt5arrayIPcLm1EELi4E23TrivialOffsetCalculatorILi0EjESB_ILi1EjENS0_6memory15LoadWithoutCastENSE_16StoreWithoutCastEEEviT_T0_T2_T3_T4_T5_.num_agpr, 0
	.set _ZN2at6native27unrolled_elementwise_kernelINS0_11FillFunctorIN3c107complexINS3_4HalfEEEEESt5arrayIPcLm1EELi4E23TrivialOffsetCalculatorILi0EjESB_ILi1EjENS0_6memory15LoadWithoutCastENSE_16StoreWithoutCastEEEviT_T0_T2_T3_T4_T5_.numbered_sgpr, 7
	.set _ZN2at6native27unrolled_elementwise_kernelINS0_11FillFunctorIN3c107complexINS3_4HalfEEEEESt5arrayIPcLm1EELi4E23TrivialOffsetCalculatorILi0EjESB_ILi1EjENS0_6memory15LoadWithoutCastENSE_16StoreWithoutCastEEEviT_T0_T2_T3_T4_T5_.num_named_barrier, 0
	.set _ZN2at6native27unrolled_elementwise_kernelINS0_11FillFunctorIN3c107complexINS3_4HalfEEEEESt5arrayIPcLm1EELi4E23TrivialOffsetCalculatorILi0EjESB_ILi1EjENS0_6memory15LoadWithoutCastENSE_16StoreWithoutCastEEEviT_T0_T2_T3_T4_T5_.private_seg_size, 0
	.set _ZN2at6native27unrolled_elementwise_kernelINS0_11FillFunctorIN3c107complexINS3_4HalfEEEEESt5arrayIPcLm1EELi4E23TrivialOffsetCalculatorILi0EjESB_ILi1EjENS0_6memory15LoadWithoutCastENSE_16StoreWithoutCastEEEviT_T0_T2_T3_T4_T5_.uses_vcc, 1
	.set _ZN2at6native27unrolled_elementwise_kernelINS0_11FillFunctorIN3c107complexINS3_4HalfEEEEESt5arrayIPcLm1EELi4E23TrivialOffsetCalculatorILi0EjESB_ILi1EjENS0_6memory15LoadWithoutCastENSE_16StoreWithoutCastEEEviT_T0_T2_T3_T4_T5_.uses_flat_scratch, 0
	.set _ZN2at6native27unrolled_elementwise_kernelINS0_11FillFunctorIN3c107complexINS3_4HalfEEEEESt5arrayIPcLm1EELi4E23TrivialOffsetCalculatorILi0EjESB_ILi1EjENS0_6memory15LoadWithoutCastENSE_16StoreWithoutCastEEEviT_T0_T2_T3_T4_T5_.has_dyn_sized_stack, 0
	.set _ZN2at6native27unrolled_elementwise_kernelINS0_11FillFunctorIN3c107complexINS3_4HalfEEEEESt5arrayIPcLm1EELi4E23TrivialOffsetCalculatorILi0EjESB_ILi1EjENS0_6memory15LoadWithoutCastENSE_16StoreWithoutCastEEEviT_T0_T2_T3_T4_T5_.has_recursion, 0
	.set _ZN2at6native27unrolled_elementwise_kernelINS0_11FillFunctorIN3c107complexINS3_4HalfEEEEESt5arrayIPcLm1EELi4E23TrivialOffsetCalculatorILi0EjESB_ILi1EjENS0_6memory15LoadWithoutCastENSE_16StoreWithoutCastEEEviT_T0_T2_T3_T4_T5_.has_indirect_call, 0
	.section	.AMDGPU.csdata,"",@progbits
; Kernel info:
; codeLenInByte = 328
; TotalNumSgprs: 11
; NumVgprs: 4
; ScratchSize: 0
; MemoryBound: 0
; FloatMode: 240
; IeeeMode: 1
; LDSByteSize: 0 bytes/workgroup (compile time only)
; SGPRBlocks: 1
; VGPRBlocks: 0
; NumSGPRsForWavesPerEU: 11
; NumVGPRsForWavesPerEU: 4
; Occupancy: 10
; WaveLimiterHint : 0
; COMPUTE_PGM_RSRC2:SCRATCH_EN: 0
; COMPUTE_PGM_RSRC2:USER_SGPR: 6
; COMPUTE_PGM_RSRC2:TRAP_HANDLER: 0
; COMPUTE_PGM_RSRC2:TGID_X_EN: 1
; COMPUTE_PGM_RSRC2:TGID_Y_EN: 0
; COMPUTE_PGM_RSRC2:TGID_Z_EN: 0
; COMPUTE_PGM_RSRC2:TIDIG_COMP_CNT: 0
	.section	.text._ZN2at6native32elementwise_kernel_manual_unrollILi128ELi4EZNS0_22gpu_kernel_impl_nocastINS0_11FillFunctorIN3c107complexINS4_4HalfEEEEEEEvRNS_18TensorIteratorBaseERKT_EUlibE_EEviT1_,"axG",@progbits,_ZN2at6native32elementwise_kernel_manual_unrollILi128ELi4EZNS0_22gpu_kernel_impl_nocastINS0_11FillFunctorIN3c107complexINS4_4HalfEEEEEEEvRNS_18TensorIteratorBaseERKT_EUlibE_EEviT1_,comdat
	.protected	_ZN2at6native32elementwise_kernel_manual_unrollILi128ELi4EZNS0_22gpu_kernel_impl_nocastINS0_11FillFunctorIN3c107complexINS4_4HalfEEEEEEEvRNS_18TensorIteratorBaseERKT_EUlibE_EEviT1_ ; -- Begin function _ZN2at6native32elementwise_kernel_manual_unrollILi128ELi4EZNS0_22gpu_kernel_impl_nocastINS0_11FillFunctorIN3c107complexINS4_4HalfEEEEEEEvRNS_18TensorIteratorBaseERKT_EUlibE_EEviT1_
	.globl	_ZN2at6native32elementwise_kernel_manual_unrollILi128ELi4EZNS0_22gpu_kernel_impl_nocastINS0_11FillFunctorIN3c107complexINS4_4HalfEEEEEEEvRNS_18TensorIteratorBaseERKT_EUlibE_EEviT1_
	.p2align	8
	.type	_ZN2at6native32elementwise_kernel_manual_unrollILi128ELi4EZNS0_22gpu_kernel_impl_nocastINS0_11FillFunctorIN3c107complexINS4_4HalfEEEEEEEvRNS_18TensorIteratorBaseERKT_EUlibE_EEviT1_,@function
_ZN2at6native32elementwise_kernel_manual_unrollILi128ELi4EZNS0_22gpu_kernel_impl_nocastINS0_11FillFunctorIN3c107complexINS4_4HalfEEEEEEEvRNS_18TensorIteratorBaseERKT_EUlibE_EEviT1_: ; @_ZN2at6native32elementwise_kernel_manual_unrollILi128ELi4EZNS0_22gpu_kernel_impl_nocastINS0_11FillFunctorIN3c107complexINS4_4HalfEEEEEEEvRNS_18TensorIteratorBaseERKT_EUlibE_EEviT1_
; %bb.0:
	s_load_dword s48, s[4:5], 0x0
	s_load_dword s33, s[4:5], 0x8
	s_add_u32 s20, s4, 8
	s_addc_u32 s21, s5, 0
	v_lshl_or_b32 v3, s6, 9, v0
	v_or_b32_e32 v5, 0x180, v3
	s_waitcnt lgkmcnt(0)
	s_add_i32 s46, s33, -1
	s_cmp_gt_u32 s46, 1
	v_cmp_le_i32_e32 vcc, s48, v5
	s_cselect_b64 s[22:23], -1, 0
	s_and_saveexec_b64 s[0:1], vcc
	s_xor_b64 s[24:25], exec, s[0:1]
	s_cbranch_execz .LBB77_7
; %bb.1:
	s_load_dwordx4 s[8:11], s[20:21], 0x4
	s_load_dwordx2 s[30:31], s[20:21], 0x14
	s_load_dwordx2 s[28:29], s[20:21], 0xc4
	;; [unrolled: 1-line block ×3, first 2 shown]
	s_load_dword s47, s[20:21], 0x110
	s_cmp_lg_u32 s33, 0
	s_cselect_b64 s[38:39], -1, 0
	s_add_u32 s36, s20, 0xc4
	s_addc_u32 s37, s21, 0
	s_min_u32 s49, s46, 15
	s_cmp_gt_u32 s33, 1
	s_cselect_b64 s[34:35], -1, 0
	v_cmp_gt_i32_e32 vcc, s48, v3
	s_and_saveexec_b64 s[40:41], vcc
	s_cbranch_execz .LBB77_14
; %bb.2:
	s_andn2_b64 vcc, exec, s[22:23]
	s_cbranch_vccnz .LBB77_21
; %bb.3:
	s_andn2_b64 vcc, exec, s[38:39]
	s_cbranch_vccnz .LBB77_73
; %bb.4:
	s_add_i32 s51, s49, 1
	s_cmp_eq_u32 s46, 2
	s_cbranch_scc1 .LBB77_75
; %bb.5:
	s_and_b32 s50, s51, 28
	s_mov_b32 s52, 0
	v_mov_b32_e32 v0, 0
	s_mov_b64 s[42:43], s[20:21]
	s_mov_b64 s[44:45], s[36:37]
	v_mov_b32_e32 v1, v3
.LBB77_6:                               ; =>This Inner Loop Header: Depth=1
	s_load_dwordx8 s[0:7], s[42:43], 0x4
	s_load_dwordx4 s[12:15], s[42:43], 0x24
	s_load_dwordx4 s[16:19], s[44:45], 0x0
	s_add_u32 s42, s42, 48
	s_addc_u32 s43, s43, 0
	s_waitcnt lgkmcnt(0)
	v_mul_hi_u32 v2, s1, v1
	s_add_i32 s52, s52, 4
	s_add_u32 s44, s44, 16
	s_addc_u32 s45, s45, 0
	v_add_u32_e32 v2, v1, v2
	v_lshrrev_b32_e32 v2, s2, v2
	v_mul_lo_u32 v4, v2, s0
	v_mul_hi_u32 v5, s4, v2
	s_cmp_lg_u32 s50, s52
	v_sub_u32_e32 v1, v1, v4
	v_add_u32_e32 v4, v2, v5
	v_lshrrev_b32_e32 v4, s5, v4
	v_mul_lo_u32 v5, v1, s16
	v_mul_hi_u32 v1, s7, v4
	v_mul_lo_u32 v7, v4, s3
	v_add_u32_e32 v1, v4, v1
	v_lshrrev_b32_e32 v6, s12, v1
	v_mul_hi_u32 v1, s14, v6
	v_sub_u32_e32 v2, v2, v7
	v_mul_lo_u32 v7, v6, s6
	v_mul_lo_u32 v2, v2, s17
	v_add_u32_e32 v1, v6, v1
	v_lshrrev_b32_e32 v1, s15, v1
	v_mul_lo_u32 v8, v1, s13
	v_sub_u32_e32 v4, v4, v7
	v_mul_lo_u32 v4, v4, s18
	v_add3_u32 v0, v5, v0, v2
	v_sub_u32_e32 v6, v6, v8
	v_mul_lo_u32 v6, v6, s19
	v_add3_u32 v0, v4, v0, v6
	s_cbranch_scc1 .LBB77_6
	s_branch .LBB77_76
.LBB77_7:
	s_andn2_saveexec_b64 s[0:1], s[24:25]
	s_cbranch_execz .LBB77_101
.LBB77_8:
	v_cndmask_b32_e64 v0, 0, 1, s[22:23]
	v_cmp_ne_u32_e64 s[0:1], 1, v0
	s_andn2_b64 vcc, exec, s[22:23]
	s_cbranch_vccnz .LBB77_20
; %bb.9:
	s_cmp_lg_u32 s33, 0
	s_mov_b32 s24, 0
	s_cbranch_scc0 .LBB77_23
; %bb.10:
	s_min_u32 s25, s46, 15
	s_add_i32 s25, s25, 1
	s_cmp_eq_u32 s46, 2
	s_cbranch_scc1 .LBB77_24
; %bb.11:
	s_and_b32 s24, s25, 28
	s_add_u32 s2, s20, 0xc4
	s_addc_u32 s3, s21, 0
	s_waitcnt lgkmcnt(0)
	s_mov_b32 s26, 0
	v_mov_b32_e32 v0, 0
	s_mov_b64 s[22:23], s[20:21]
	v_mov_b32_e32 v1, v3
.LBB77_12:                              ; =>This Inner Loop Header: Depth=1
	s_load_dwordx8 s[4:11], s[22:23], 0x4
	s_load_dwordx4 s[12:15], s[22:23], 0x24
	s_load_dwordx4 s[16:19], s[2:3], 0x0
	s_add_u32 s22, s22, 48
	s_addc_u32 s23, s23, 0
	s_waitcnt lgkmcnt(0)
	v_mul_hi_u32 v2, s5, v1
	s_add_i32 s26, s26, 4
	s_add_u32 s2, s2, 16
	s_addc_u32 s3, s3, 0
	v_add_u32_e32 v2, v1, v2
	v_lshrrev_b32_e32 v2, s6, v2
	v_mul_lo_u32 v4, v2, s4
	v_mul_hi_u32 v6, s8, v2
	s_cmp_lg_u32 s24, s26
	v_sub_u32_e32 v1, v1, v4
	v_add_u32_e32 v4, v2, v6
	v_lshrrev_b32_e32 v4, s9, v4
	v_mul_lo_u32 v6, v1, s16
	v_mul_hi_u32 v1, s11, v4
	v_mul_lo_u32 v8, v4, s7
	v_add_u32_e32 v1, v4, v1
	v_lshrrev_b32_e32 v7, s12, v1
	v_mul_hi_u32 v1, s14, v7
	v_sub_u32_e32 v2, v2, v8
	v_mul_lo_u32 v8, v7, s10
	v_mul_lo_u32 v2, v2, s17
	v_add_u32_e32 v1, v7, v1
	v_lshrrev_b32_e32 v1, s15, v1
	v_mul_lo_u32 v9, v1, s13
	v_sub_u32_e32 v4, v4, v8
	v_mul_lo_u32 v4, v4, s18
	v_add3_u32 v0, v6, v0, v2
	v_sub_u32_e32 v7, v7, v9
	v_mul_lo_u32 v7, v7, s19
	v_add3_u32 v0, v4, v0, v7
	s_cbranch_scc1 .LBB77_12
; %bb.13:
	s_and_b32 s6, s25, 3
	s_cmp_eq_u32 s6, 0
	s_cbranch_scc0 .LBB77_25
	s_branch .LBB77_27
.LBB77_14:
	s_or_b64 exec, exec, s[40:41]
	v_cmp_gt_i32_e32 vcc, s48, v3
	s_and_saveexec_b64 s[40:41], vcc
	s_cbranch_execz .LBB77_83
.LBB77_15:
	s_andn2_b64 vcc, exec, s[22:23]
	s_cbranch_vccnz .LBB77_22
; %bb.16:
	s_andn2_b64 vcc, exec, s[38:39]
	s_cbranch_vccnz .LBB77_74
; %bb.17:
	s_add_i32 s51, s49, 1
	s_cmp_eq_u32 s46, 2
	s_cbranch_scc1 .LBB77_91
; %bb.18:
	s_and_b32 s50, s51, 28
	s_mov_b32 s52, 0
	v_mov_b32_e32 v0, 0
	s_mov_b64 s[42:43], s[20:21]
	s_mov_b64 s[44:45], s[36:37]
	v_mov_b32_e32 v1, v3
.LBB77_19:                              ; =>This Inner Loop Header: Depth=1
	s_load_dwordx8 s[0:7], s[42:43], 0x4
	s_load_dwordx4 s[12:15], s[42:43], 0x24
	s_load_dwordx4 s[16:19], s[44:45], 0x0
	s_add_u32 s42, s42, 48
	s_addc_u32 s43, s43, 0
	s_waitcnt lgkmcnt(0)
	v_mul_hi_u32 v2, s1, v1
	s_add_i32 s52, s52, 4
	s_add_u32 s44, s44, 16
	s_addc_u32 s45, s45, 0
	v_add_u32_e32 v2, v1, v2
	v_lshrrev_b32_e32 v2, s2, v2
	v_mul_lo_u32 v4, v2, s0
	v_mul_hi_u32 v5, s4, v2
	s_cmp_eq_u32 s50, s52
	v_sub_u32_e32 v1, v1, v4
	v_add_u32_e32 v4, v2, v5
	v_lshrrev_b32_e32 v4, s5, v4
	v_mul_lo_u32 v5, v1, s16
	v_mul_hi_u32 v1, s7, v4
	v_mul_lo_u32 v7, v4, s3
	v_add_u32_e32 v1, v4, v1
	v_lshrrev_b32_e32 v6, s12, v1
	v_mul_hi_u32 v1, s14, v6
	v_sub_u32_e32 v2, v2, v7
	v_mul_lo_u32 v7, v6, s6
	v_mul_lo_u32 v2, v2, s17
	v_add_u32_e32 v1, v6, v1
	v_lshrrev_b32_e32 v1, s15, v1
	v_mul_lo_u32 v8, v1, s13
	v_sub_u32_e32 v4, v4, v7
	v_mul_lo_u32 v4, v4, s18
	v_add3_u32 v0, v5, v0, v2
	v_sub_u32_e32 v6, v6, v8
	v_mul_lo_u32 v6, v6, s19
	v_add3_u32 v0, v4, v0, v6
	s_cbranch_scc0 .LBB77_19
	s_branch .LBB77_92
.LBB77_20:
                                        ; implicit-def: $vgpr0
	s_branch .LBB77_28
.LBB77_21:
                                        ; implicit-def: $vgpr0
	s_branch .LBB77_80
.LBB77_22:
                                        ; implicit-def: $vgpr0
	s_branch .LBB77_96
.LBB77_23:
	v_mov_b32_e32 v0, 0
	s_branch .LBB77_27
.LBB77_24:
	v_mov_b32_e32 v0, 0
	v_mov_b32_e32 v1, v3
	s_and_b32 s6, s25, 3
	s_cmp_eq_u32 s6, 0
	s_cbranch_scc1 .LBB77_27
.LBB77_25:
	s_lshl_b32 s2, s24, 2
	s_add_u32 s2, s20, s2
	s_addc_u32 s3, s21, 0
	s_add_u32 s2, s2, 0xc4
	s_addc_u32 s3, s3, 0
	s_mul_i32 s4, s24, 12
	s_add_u32 s4, s20, s4
	s_addc_u32 s5, s21, 0
.LBB77_26:                              ; =>This Inner Loop Header: Depth=1
	s_waitcnt lgkmcnt(0)
	s_load_dwordx2 s[8:9], s[4:5], 0x4
	s_load_dword s7, s[4:5], 0xc
	s_add_u32 s4, s4, 12
	s_addc_u32 s5, s5, 0
	s_waitcnt lgkmcnt(0)
	v_mul_hi_u32 v2, s9, v1
	s_load_dword s9, s[2:3], 0x0
	s_add_u32 s2, s2, 4
	s_addc_u32 s3, s3, 0
	v_add_u32_e32 v2, v1, v2
	v_lshrrev_b32_e32 v2, s7, v2
	v_mul_lo_u32 v4, v2, s8
	s_add_i32 s6, s6, -1
	s_cmp_lg_u32 s6, 0
	v_sub_u32_e32 v1, v1, v4
	s_waitcnt lgkmcnt(0)
	v_mad_u64_u32 v[0:1], s[8:9], v1, s9, v[0:1]
	v_mov_b32_e32 v1, v2
	s_cbranch_scc1 .LBB77_26
.LBB77_27:
	s_cbranch_execnz .LBB77_30
.LBB77_28:
	s_load_dwordx4 s[4:7], s[20:21], 0x4
	s_load_dword s2, s[20:21], 0xc4
	s_cmp_lt_u32 s33, 2
	s_waitcnt lgkmcnt(0)
	v_mul_hi_u32 v0, s5, v3
	v_add_u32_e32 v0, v3, v0
	v_lshrrev_b32_e32 v1, s6, v0
	v_mul_lo_u32 v0, v1, s4
	v_sub_u32_e32 v0, v3, v0
	v_mul_lo_u32 v0, v0, s2
	s_cbranch_scc1 .LBB77_30
; %bb.29:
	s_load_dwordx4 s[4:7], s[20:21], 0x10
	s_load_dword s2, s[20:21], 0xc8
	s_waitcnt lgkmcnt(0)
	v_mul_hi_u32 v2, s5, v1
	v_add_u32_e32 v2, v1, v2
	v_lshrrev_b32_e32 v2, s6, v2
	v_mul_lo_u32 v2, v2, s4
	v_sub_u32_e32 v1, v1, v2
	v_mad_u64_u32 v[0:1], s[2:3], v1, s2, v[0:1]
.LBB77_30:
	s_and_b64 vcc, exec, s[0:1]
	v_add_u32_e32 v4, 0x80, v3
	s_cbranch_vccnz .LBB77_36
; %bb.31:
	s_cmp_lg_u32 s33, 0
	s_mov_b32 s24, 0
	s_cbranch_scc0 .LBB77_37
; %bb.32:
	s_min_u32 s25, s46, 15
	s_add_i32 s25, s25, 1
	s_cmp_eq_u32 s46, 2
	s_cbranch_scc1 .LBB77_38
; %bb.33:
	s_and_b32 s24, s25, 28
	s_add_u32 s2, s20, 0xc4
	s_addc_u32 s3, s21, 0
	s_waitcnt lgkmcnt(0)
	s_mov_b32 s26, 0
	v_mov_b32_e32 v1, 0
	s_mov_b64 s[22:23], s[20:21]
	v_mov_b32_e32 v2, v4
.LBB77_34:                              ; =>This Inner Loop Header: Depth=1
	s_load_dwordx8 s[4:11], s[22:23], 0x4
	s_load_dwordx4 s[12:15], s[22:23], 0x24
	s_load_dwordx4 s[16:19], s[2:3], 0x0
	s_add_u32 s22, s22, 48
	s_addc_u32 s23, s23, 0
	s_waitcnt lgkmcnt(0)
	v_mul_hi_u32 v6, s5, v2
	s_add_i32 s26, s26, 4
	s_add_u32 s2, s2, 16
	s_addc_u32 s3, s3, 0
	v_add_u32_e32 v6, v2, v6
	v_lshrrev_b32_e32 v6, s6, v6
	v_mul_lo_u32 v7, v6, s4
	v_mul_hi_u32 v8, s8, v6
	s_cmp_lg_u32 s24, s26
	v_sub_u32_e32 v2, v2, v7
	v_add_u32_e32 v7, v6, v8
	v_lshrrev_b32_e32 v7, s9, v7
	v_mul_lo_u32 v8, v2, s16
	v_mul_hi_u32 v2, s11, v7
	v_mul_lo_u32 v10, v7, s7
	v_add_u32_e32 v2, v7, v2
	v_lshrrev_b32_e32 v9, s12, v2
	v_mul_hi_u32 v2, s14, v9
	v_sub_u32_e32 v6, v6, v10
	v_mul_lo_u32 v10, v9, s10
	v_mul_lo_u32 v6, v6, s17
	v_add_u32_e32 v2, v9, v2
	v_lshrrev_b32_e32 v2, s15, v2
	v_mul_lo_u32 v11, v2, s13
	v_sub_u32_e32 v7, v7, v10
	v_mul_lo_u32 v7, v7, s18
	v_add3_u32 v1, v8, v1, v6
	v_sub_u32_e32 v9, v9, v11
	v_mul_lo_u32 v9, v9, s19
	v_add3_u32 v1, v7, v1, v9
	s_cbranch_scc1 .LBB77_34
; %bb.35:
	s_and_b32 s6, s25, 3
	s_cmp_eq_u32 s6, 0
	s_cbranch_scc0 .LBB77_39
	s_branch .LBB77_41
.LBB77_36:
                                        ; implicit-def: $vgpr1
	s_branch .LBB77_42
.LBB77_37:
	v_mov_b32_e32 v1, 0
	s_branch .LBB77_41
.LBB77_38:
	v_mov_b32_e32 v1, 0
	v_mov_b32_e32 v2, v4
	s_and_b32 s6, s25, 3
	s_cmp_eq_u32 s6, 0
	s_cbranch_scc1 .LBB77_41
.LBB77_39:
	s_lshl_b32 s2, s24, 2
	s_add_u32 s2, s20, s2
	s_addc_u32 s3, s21, 0
	s_add_u32 s2, s2, 0xc4
	s_addc_u32 s3, s3, 0
	s_mul_i32 s4, s24, 12
	s_add_u32 s4, s20, s4
	s_addc_u32 s5, s21, 0
.LBB77_40:                              ; =>This Inner Loop Header: Depth=1
	s_waitcnt lgkmcnt(0)
	s_load_dwordx2 s[8:9], s[4:5], 0x4
	s_load_dword s7, s[4:5], 0xc
	s_add_u32 s4, s4, 12
	s_addc_u32 s5, s5, 0
	s_waitcnt lgkmcnt(0)
	v_mul_hi_u32 v6, s9, v2
	s_load_dword s9, s[2:3], 0x0
	s_add_u32 s2, s2, 4
	s_addc_u32 s3, s3, 0
	v_add_u32_e32 v6, v2, v6
	v_lshrrev_b32_e32 v6, s7, v6
	v_mul_lo_u32 v7, v6, s8
	s_add_i32 s6, s6, -1
	s_cmp_lg_u32 s6, 0
	v_sub_u32_e32 v2, v2, v7
	s_waitcnt lgkmcnt(0)
	v_mad_u64_u32 v[1:2], s[8:9], v2, s9, v[1:2]
	v_mov_b32_e32 v2, v6
	s_cbranch_scc1 .LBB77_40
.LBB77_41:
	s_cbranch_execnz .LBB77_44
.LBB77_42:
	s_load_dwordx4 s[4:7], s[20:21], 0x4
	s_load_dword s2, s[20:21], 0xc4
	s_cmp_lt_u32 s33, 2
	s_waitcnt lgkmcnt(0)
	v_mul_hi_u32 v1, s5, v4
	v_add_u32_e32 v1, v4, v1
	v_lshrrev_b32_e32 v2, s6, v1
	v_mul_lo_u32 v1, v2, s4
	v_sub_u32_e32 v1, v4, v1
	v_mul_lo_u32 v1, v1, s2
	s_cbranch_scc1 .LBB77_44
; %bb.43:
	s_load_dwordx4 s[4:7], s[20:21], 0x10
	s_load_dword s2, s[20:21], 0xc8
	s_waitcnt lgkmcnt(0)
	v_mul_hi_u32 v4, s5, v2
	v_add_u32_e32 v4, v2, v4
	v_lshrrev_b32_e32 v4, s6, v4
	v_mul_lo_u32 v4, v4, s4
	v_sub_u32_e32 v2, v2, v4
	v_mad_u64_u32 v[1:2], s[2:3], v2, s2, v[1:2]
.LBB77_44:
	s_and_b64 vcc, exec, s[0:1]
	v_add_u32_e32 v4, 0x100, v3
	s_cbranch_vccnz .LBB77_50
; %bb.45:
	s_cmp_lg_u32 s33, 0
	s_mov_b32 s24, 0
	s_cbranch_scc0 .LBB77_51
; %bb.46:
	s_min_u32 s25, s46, 15
	s_add_i32 s25, s25, 1
	s_cmp_eq_u32 s46, 2
	s_cbranch_scc1 .LBB77_52
; %bb.47:
	s_and_b32 s24, s25, 28
	s_add_u32 s2, s20, 0xc4
	s_addc_u32 s3, s21, 0
	s_waitcnt lgkmcnt(0)
	s_mov_b32 s26, 0
	v_mov_b32_e32 v2, 0
	s_mov_b64 s[22:23], s[20:21]
	v_mov_b32_e32 v3, v4
.LBB77_48:                              ; =>This Inner Loop Header: Depth=1
	s_load_dwordx8 s[4:11], s[22:23], 0x4
	s_load_dwordx4 s[12:15], s[22:23], 0x24
	s_load_dwordx4 s[16:19], s[2:3], 0x0
	s_add_u32 s22, s22, 48
	s_addc_u32 s23, s23, 0
	s_waitcnt lgkmcnt(0)
	v_mul_hi_u32 v6, s5, v3
	s_add_i32 s26, s26, 4
	s_add_u32 s2, s2, 16
	s_addc_u32 s3, s3, 0
	v_add_u32_e32 v6, v3, v6
	v_lshrrev_b32_e32 v6, s6, v6
	v_mul_lo_u32 v7, v6, s4
	v_mul_hi_u32 v8, s8, v6
	s_cmp_lg_u32 s24, s26
	v_sub_u32_e32 v3, v3, v7
	v_add_u32_e32 v7, v6, v8
	v_lshrrev_b32_e32 v7, s9, v7
	v_mul_lo_u32 v8, v3, s16
	v_mul_hi_u32 v3, s11, v7
	v_mul_lo_u32 v10, v7, s7
	v_add_u32_e32 v3, v7, v3
	v_lshrrev_b32_e32 v9, s12, v3
	v_mul_hi_u32 v3, s14, v9
	v_sub_u32_e32 v6, v6, v10
	v_mul_lo_u32 v10, v9, s10
	v_mul_lo_u32 v6, v6, s17
	v_add_u32_e32 v3, v9, v3
	v_lshrrev_b32_e32 v3, s15, v3
	v_mul_lo_u32 v11, v3, s13
	v_sub_u32_e32 v7, v7, v10
	v_mul_lo_u32 v7, v7, s18
	v_add3_u32 v2, v8, v2, v6
	v_sub_u32_e32 v9, v9, v11
	v_mul_lo_u32 v9, v9, s19
	v_add3_u32 v2, v7, v2, v9
	s_cbranch_scc1 .LBB77_48
; %bb.49:
	s_and_b32 s6, s25, 3
	s_cmp_eq_u32 s6, 0
	s_cbranch_scc0 .LBB77_53
	s_branch .LBB77_55
.LBB77_50:
                                        ; implicit-def: $vgpr2
	s_branch .LBB77_56
.LBB77_51:
	v_mov_b32_e32 v2, 0
	s_branch .LBB77_55
.LBB77_52:
	v_mov_b32_e32 v2, 0
	v_mov_b32_e32 v3, v4
	s_and_b32 s6, s25, 3
	s_cmp_eq_u32 s6, 0
	s_cbranch_scc1 .LBB77_55
.LBB77_53:
	s_lshl_b32 s2, s24, 2
	s_add_u32 s2, s20, s2
	s_addc_u32 s3, s21, 0
	s_add_u32 s2, s2, 0xc4
	s_addc_u32 s3, s3, 0
	s_mul_i32 s4, s24, 12
	s_add_u32 s4, s20, s4
	s_addc_u32 s5, s21, 0
.LBB77_54:                              ; =>This Inner Loop Header: Depth=1
	s_waitcnt lgkmcnt(0)
	s_load_dwordx2 s[8:9], s[4:5], 0x4
	s_load_dword s7, s[4:5], 0xc
	s_add_u32 s4, s4, 12
	s_addc_u32 s5, s5, 0
	s_waitcnt lgkmcnt(0)
	v_mul_hi_u32 v6, s9, v3
	s_load_dword s9, s[2:3], 0x0
	s_add_u32 s2, s2, 4
	s_addc_u32 s3, s3, 0
	v_add_u32_e32 v6, v3, v6
	v_lshrrev_b32_e32 v6, s7, v6
	v_mul_lo_u32 v7, v6, s8
	s_add_i32 s6, s6, -1
	s_cmp_lg_u32 s6, 0
	v_sub_u32_e32 v3, v3, v7
	s_waitcnt lgkmcnt(0)
	v_mad_u64_u32 v[2:3], s[8:9], v3, s9, v[2:3]
	v_mov_b32_e32 v3, v6
	s_cbranch_scc1 .LBB77_54
.LBB77_55:
	s_cbranch_execnz .LBB77_58
.LBB77_56:
	s_load_dwordx4 s[4:7], s[20:21], 0x4
	s_load_dword s2, s[20:21], 0xc4
	s_cmp_lt_u32 s33, 2
	s_waitcnt lgkmcnt(0)
	v_mul_hi_u32 v2, s5, v4
	v_add_u32_e32 v2, v4, v2
	v_lshrrev_b32_e32 v3, s6, v2
	v_mul_lo_u32 v2, v3, s4
	v_sub_u32_e32 v2, v4, v2
	v_mul_lo_u32 v2, v2, s2
	s_cbranch_scc1 .LBB77_58
; %bb.57:
	s_load_dwordx4 s[4:7], s[20:21], 0x10
	s_load_dword s2, s[20:21], 0xc8
	s_waitcnt lgkmcnt(0)
	v_mul_hi_u32 v4, s5, v3
	v_add_u32_e32 v4, v3, v4
	v_lshrrev_b32_e32 v4, s6, v4
	v_mul_lo_u32 v4, v4, s4
	v_sub_u32_e32 v3, v3, v4
	v_mad_u64_u32 v[2:3], s[2:3], v3, s2, v[2:3]
.LBB77_58:
	s_and_b64 vcc, exec, s[0:1]
	s_cbranch_vccnz .LBB77_64
; %bb.59:
	s_cmp_lg_u32 s33, 0
	s_mov_b32 s22, 0
	s_cbranch_scc0 .LBB77_65
; %bb.60:
	s_min_u32 s23, s46, 15
	s_add_i32 s23, s23, 1
	s_cmp_eq_u32 s46, 2
	s_cbranch_scc1 .LBB77_66
; %bb.61:
	s_and_b32 s22, s23, 28
	s_add_u32 s16, s20, 0xc4
	s_addc_u32 s17, s21, 0
	s_mov_b32 s24, 0
	v_mov_b32_e32 v3, 0
	s_mov_b64 s[18:19], s[20:21]
	v_mov_b32_e32 v4, v5
.LBB77_62:                              ; =>This Inner Loop Header: Depth=1
	s_load_dwordx8 s[0:7], s[18:19], 0x4
	s_waitcnt lgkmcnt(0)
	s_load_dwordx4 s[8:11], s[18:19], 0x24
	s_load_dwordx4 s[12:15], s[16:17], 0x0
	s_add_u32 s18, s18, 48
	s_addc_u32 s19, s19, 0
	v_mul_hi_u32 v6, s1, v4
	s_add_i32 s24, s24, 4
	s_add_u32 s16, s16, 16
	s_addc_u32 s17, s17, 0
	v_add_u32_e32 v6, v4, v6
	v_lshrrev_b32_e32 v6, s2, v6
	v_mul_lo_u32 v7, v6, s0
	v_mul_hi_u32 v8, s4, v6
	s_cmp_lg_u32 s22, s24
	v_sub_u32_e32 v4, v4, v7
	v_add_u32_e32 v7, v6, v8
	v_lshrrev_b32_e32 v7, s5, v7
	s_waitcnt lgkmcnt(0)
	v_mul_lo_u32 v8, v4, s12
	v_mul_hi_u32 v4, s7, v7
	v_mul_lo_u32 v10, v7, s3
	v_add_u32_e32 v4, v7, v4
	v_lshrrev_b32_e32 v9, s8, v4
	v_mul_hi_u32 v4, s10, v9
	v_sub_u32_e32 v6, v6, v10
	v_mul_lo_u32 v10, v9, s6
	v_mul_lo_u32 v6, v6, s13
	v_add_u32_e32 v4, v9, v4
	v_lshrrev_b32_e32 v4, s11, v4
	v_mul_lo_u32 v11, v4, s9
	v_sub_u32_e32 v7, v7, v10
	v_mul_lo_u32 v7, v7, s14
	v_add3_u32 v3, v8, v3, v6
	v_sub_u32_e32 v9, v9, v11
	v_mul_lo_u32 v9, v9, s15
	v_add3_u32 v3, v7, v3, v9
	s_cbranch_scc1 .LBB77_62
; %bb.63:
	s_and_b32 s4, s23, 3
	s_cmp_eq_u32 s4, 0
	s_cbranch_scc0 .LBB77_67
	s_branch .LBB77_69
.LBB77_64:
                                        ; implicit-def: $vgpr3
	s_branch .LBB77_70
.LBB77_65:
	v_mov_b32_e32 v3, 0
	s_branch .LBB77_69
.LBB77_66:
	v_mov_b32_e32 v3, 0
	v_mov_b32_e32 v4, v5
	s_and_b32 s4, s23, 3
	s_cmp_eq_u32 s4, 0
	s_cbranch_scc1 .LBB77_69
.LBB77_67:
	s_lshl_b32 s0, s22, 2
	s_add_u32 s0, s20, s0
	s_addc_u32 s1, s21, 0
	s_add_u32 s0, s0, 0xc4
	s_addc_u32 s1, s1, 0
	s_mul_i32 s2, s22, 12
	s_add_u32 s2, s20, s2
	s_addc_u32 s3, s21, 0
.LBB77_68:                              ; =>This Inner Loop Header: Depth=1
	s_load_dwordx2 s[6:7], s[2:3], 0x4
	s_load_dword s5, s[2:3], 0xc
	s_add_u32 s2, s2, 12
	s_addc_u32 s3, s3, 0
	s_waitcnt lgkmcnt(0)
	v_mul_hi_u32 v6, s7, v4
	s_load_dword s7, s[0:1], 0x0
	s_add_u32 s0, s0, 4
	s_addc_u32 s1, s1, 0
	v_add_u32_e32 v6, v4, v6
	v_lshrrev_b32_e32 v6, s5, v6
	v_mul_lo_u32 v7, v6, s6
	s_add_i32 s4, s4, -1
	s_cmp_lg_u32 s4, 0
	v_sub_u32_e32 v4, v4, v7
	s_waitcnt lgkmcnt(0)
	v_mad_u64_u32 v[3:4], s[6:7], v4, s7, v[3:4]
	v_mov_b32_e32 v4, v6
	s_cbranch_scc1 .LBB77_68
.LBB77_69:
	s_cbranch_execnz .LBB77_72
.LBB77_70:
	s_load_dwordx4 s[0:3], s[20:21], 0x4
	s_waitcnt lgkmcnt(0)
	s_load_dword s3, s[20:21], 0xc4
	s_cmp_lt_u32 s33, 2
	v_mul_hi_u32 v3, s1, v5
	v_add_u32_e32 v3, v5, v3
	v_lshrrev_b32_e32 v4, s2, v3
	v_mul_lo_u32 v3, v4, s0
	v_sub_u32_e32 v3, v5, v3
	s_waitcnt lgkmcnt(0)
	v_mul_lo_u32 v3, v3, s3
	s_cbranch_scc1 .LBB77_72
; %bb.71:
	s_load_dwordx4 s[0:3], s[20:21], 0x10
	s_waitcnt lgkmcnt(0)
	s_load_dword s3, s[20:21], 0xc8
	v_mul_hi_u32 v5, s1, v4
	v_add_u32_e32 v5, v4, v5
	v_lshrrev_b32_e32 v5, s2, v5
	v_mul_lo_u32 v5, v5, s0
	v_sub_u32_e32 v4, v4, v5
	s_waitcnt lgkmcnt(0)
	v_mad_u64_u32 v[3:4], s[0:1], v4, s3, v[3:4]
.LBB77_72:
	s_load_dword s2, s[20:21], 0x110
	s_load_dwordx2 s[0:1], s[20:21], 0x108
	s_waitcnt lgkmcnt(0)
	v_mov_b32_e32 v4, s2
	s_nop 0
	global_store_dword v0, v4, s[0:1]
	global_store_dword v1, v4, s[0:1]
	;; [unrolled: 1-line block ×4, first 2 shown]
	s_endpgm
.LBB77_73:
	v_mov_b32_e32 v0, 0
	s_branch .LBB77_79
.LBB77_74:
	v_mov_b32_e32 v0, 0
	s_branch .LBB77_95
.LBB77_75:
	v_mov_b32_e32 v0, 0
	s_mov_b32 s50, 0
	v_mov_b32_e32 v1, v3
.LBB77_76:
	s_and_b32 s4, s51, 3
	s_cmp_eq_u32 s4, 0
	s_cbranch_scc1 .LBB77_79
; %bb.77:
	s_lshl_b32 s0, s50, 2
	s_add_u32 s0, s20, s0
	s_addc_u32 s1, s21, 0
	s_add_u32 s0, s0, 0xc4
	s_addc_u32 s1, s1, 0
	s_mul_i32 s2, s50, 12
	s_add_u32 s2, s20, s2
	s_addc_u32 s3, s21, 0
.LBB77_78:                              ; =>This Inner Loop Header: Depth=1
	s_load_dwordx2 s[6:7], s[2:3], 0x4
	s_load_dword s5, s[2:3], 0xc
	s_add_u32 s2, s2, 12
	s_addc_u32 s3, s3, 0
	s_waitcnt lgkmcnt(0)
	v_mul_hi_u32 v2, s7, v1
	s_load_dword s7, s[0:1], 0x0
	s_add_u32 s0, s0, 4
	s_addc_u32 s1, s1, 0
	v_add_u32_e32 v2, v1, v2
	v_lshrrev_b32_e32 v2, s5, v2
	v_mul_lo_u32 v4, v2, s6
	s_add_i32 s4, s4, -1
	s_cmp_lg_u32 s4, 0
	v_sub_u32_e32 v1, v1, v4
	s_waitcnt lgkmcnt(0)
	v_mad_u64_u32 v[0:1], s[6:7], v1, s7, v[0:1]
	v_mov_b32_e32 v1, v2
	s_cbranch_scc1 .LBB77_78
.LBB77_79:
	s_cbranch_execnz .LBB77_82
.LBB77_80:
	s_waitcnt lgkmcnt(0)
	v_mul_hi_u32 v0, s9, v3
	s_andn2_b64 vcc, exec, s[34:35]
	v_add_u32_e32 v0, v3, v0
	v_lshrrev_b32_e32 v1, s10, v0
	v_mul_lo_u32 v0, v1, s8
	v_sub_u32_e32 v0, v3, v0
	v_mul_lo_u32 v0, v0, s28
	s_cbranch_vccnz .LBB77_82
; %bb.81:
	v_mul_hi_u32 v2, s30, v1
	v_add_u32_e32 v2, v1, v2
	v_lshrrev_b32_e32 v2, s31, v2
	v_mul_lo_u32 v2, v2, s11
	v_sub_u32_e32 v1, v1, v2
	v_mad_u64_u32 v[0:1], s[0:1], v1, s29, v[0:1]
.LBB77_82:
	s_waitcnt lgkmcnt(0)
	v_mov_b32_e32 v1, s47
	v_add_u32_e32 v3, 0x80, v3
	global_store_dword v0, v1, s[26:27]
	s_or_b64 exec, exec, s[40:41]
	v_cmp_gt_i32_e32 vcc, s48, v3
	s_and_saveexec_b64 s[40:41], vcc
	s_cbranch_execnz .LBB77_15
.LBB77_83:
	s_or_b64 exec, exec, s[40:41]
	v_cmp_gt_i32_e32 vcc, s48, v3
	s_and_saveexec_b64 s[40:41], vcc
	s_cbranch_execz .LBB77_99
.LBB77_84:
	s_andn2_b64 vcc, exec, s[22:23]
	s_cbranch_vccnz .LBB77_89
; %bb.85:
	s_andn2_b64 vcc, exec, s[38:39]
	s_cbranch_vccnz .LBB77_90
; %bb.86:
	s_add_i32 s51, s49, 1
	s_cmp_eq_u32 s46, 2
	s_cbranch_scc1 .LBB77_102
; %bb.87:
	s_and_b32 s50, s51, 28
	s_mov_b32 s52, 0
	v_mov_b32_e32 v0, 0
	s_mov_b64 s[42:43], s[20:21]
	s_mov_b64 s[44:45], s[36:37]
	v_mov_b32_e32 v1, v3
.LBB77_88:                              ; =>This Inner Loop Header: Depth=1
	s_load_dwordx8 s[0:7], s[42:43], 0x4
	s_load_dwordx4 s[12:15], s[42:43], 0x24
	s_load_dwordx4 s[16:19], s[44:45], 0x0
	s_add_u32 s42, s42, 48
	s_addc_u32 s43, s43, 0
	s_waitcnt lgkmcnt(0)
	v_mul_hi_u32 v2, s1, v1
	s_add_i32 s52, s52, 4
	s_add_u32 s44, s44, 16
	s_addc_u32 s45, s45, 0
	v_add_u32_e32 v2, v1, v2
	v_lshrrev_b32_e32 v2, s2, v2
	v_mul_lo_u32 v4, v2, s0
	v_mul_hi_u32 v5, s4, v2
	s_cmp_eq_u32 s50, s52
	v_sub_u32_e32 v1, v1, v4
	v_add_u32_e32 v4, v2, v5
	v_lshrrev_b32_e32 v4, s5, v4
	v_mul_lo_u32 v5, v1, s16
	v_mul_hi_u32 v1, s7, v4
	v_mul_lo_u32 v7, v4, s3
	v_add_u32_e32 v1, v4, v1
	v_lshrrev_b32_e32 v6, s12, v1
	v_mul_hi_u32 v1, s14, v6
	v_sub_u32_e32 v2, v2, v7
	v_mul_lo_u32 v7, v6, s6
	v_mul_lo_u32 v2, v2, s17
	v_add_u32_e32 v1, v6, v1
	v_lshrrev_b32_e32 v1, s15, v1
	v_mul_lo_u32 v8, v1, s13
	v_sub_u32_e32 v4, v4, v7
	v_mul_lo_u32 v4, v4, s18
	v_add3_u32 v0, v5, v0, v2
	v_sub_u32_e32 v6, v6, v8
	v_mul_lo_u32 v6, v6, s19
	v_add3_u32 v0, v4, v0, v6
	s_cbranch_scc0 .LBB77_88
	s_branch .LBB77_103
.LBB77_89:
                                        ; implicit-def: $vgpr0
	s_branch .LBB77_107
.LBB77_90:
	v_mov_b32_e32 v0, 0
	s_branch .LBB77_106
.LBB77_91:
	v_mov_b32_e32 v0, 0
	s_mov_b32 s50, 0
	v_mov_b32_e32 v1, v3
.LBB77_92:
	s_and_b32 s4, s51, 3
	s_cmp_eq_u32 s4, 0
	s_cbranch_scc1 .LBB77_95
; %bb.93:
	s_lshl_b32 s0, s50, 2
	s_add_u32 s0, s20, s0
	s_addc_u32 s1, s21, 0
	s_add_u32 s0, s0, 0xc4
	s_addc_u32 s1, s1, 0
	s_mul_i32 s2, s50, 12
	s_add_u32 s2, s20, s2
	s_addc_u32 s3, s21, 0
.LBB77_94:                              ; =>This Inner Loop Header: Depth=1
	s_load_dwordx2 s[6:7], s[2:3], 0x4
	s_load_dword s5, s[2:3], 0xc
	s_add_u32 s2, s2, 12
	s_addc_u32 s3, s3, 0
	s_waitcnt lgkmcnt(0)
	v_mul_hi_u32 v2, s7, v1
	s_load_dword s7, s[0:1], 0x0
	s_add_u32 s0, s0, 4
	s_addc_u32 s1, s1, 0
	v_add_u32_e32 v2, v1, v2
	v_lshrrev_b32_e32 v2, s5, v2
	v_mul_lo_u32 v4, v2, s6
	s_add_i32 s4, s4, -1
	s_cmp_lg_u32 s4, 0
	v_sub_u32_e32 v1, v1, v4
	s_waitcnt lgkmcnt(0)
	v_mad_u64_u32 v[0:1], s[6:7], v1, s7, v[0:1]
	v_mov_b32_e32 v1, v2
	s_cbranch_scc1 .LBB77_94
.LBB77_95:
	s_cbranch_execnz .LBB77_98
.LBB77_96:
	s_waitcnt lgkmcnt(0)
	v_mul_hi_u32 v0, s9, v3
	s_andn2_b64 vcc, exec, s[34:35]
	v_add_u32_e32 v0, v3, v0
	v_lshrrev_b32_e32 v1, s10, v0
	v_mul_lo_u32 v0, v1, s8
	v_sub_u32_e32 v0, v3, v0
	v_mul_lo_u32 v0, v0, s28
	s_cbranch_vccnz .LBB77_98
; %bb.97:
	v_mul_hi_u32 v2, s30, v1
	v_add_u32_e32 v2, v1, v2
	v_lshrrev_b32_e32 v2, s31, v2
	v_mul_lo_u32 v2, v2, s11
	v_sub_u32_e32 v1, v1, v2
	v_mad_u64_u32 v[0:1], s[0:1], v1, s29, v[0:1]
.LBB77_98:
	s_waitcnt lgkmcnt(0)
	v_mov_b32_e32 v1, s47
	v_add_u32_e32 v3, 0x80, v3
	global_store_dword v0, v1, s[26:27]
	s_or_b64 exec, exec, s[40:41]
	v_cmp_gt_i32_e32 vcc, s48, v3
	s_and_saveexec_b64 s[40:41], vcc
	s_cbranch_execnz .LBB77_84
.LBB77_99:
	s_or_b64 exec, exec, s[40:41]
	v_cmp_gt_i32_e32 vcc, s48, v3
	s_and_saveexec_b64 s[40:41], vcc
	s_cbranch_execnz .LBB77_110
.LBB77_100:
	s_or_b64 exec, exec, s[40:41]
                                        ; implicit-def: $vgpr5
                                        ; implicit-def: $vgpr3
	s_andn2_saveexec_b64 s[0:1], s[24:25]
	s_cbranch_execnz .LBB77_8
.LBB77_101:
	s_endpgm
.LBB77_102:
	v_mov_b32_e32 v0, 0
	s_mov_b32 s50, 0
	v_mov_b32_e32 v1, v3
.LBB77_103:
	s_and_b32 s4, s51, 3
	s_cmp_eq_u32 s4, 0
	s_cbranch_scc1 .LBB77_106
; %bb.104:
	s_lshl_b32 s0, s50, 2
	s_add_u32 s0, s20, s0
	s_addc_u32 s1, s21, 0
	s_add_u32 s0, s0, 0xc4
	s_addc_u32 s1, s1, 0
	s_mul_i32 s2, s50, 12
	s_add_u32 s2, s20, s2
	s_addc_u32 s3, s21, 0
.LBB77_105:                             ; =>This Inner Loop Header: Depth=1
	s_load_dwordx2 s[6:7], s[2:3], 0x4
	s_load_dword s5, s[2:3], 0xc
	s_add_u32 s2, s2, 12
	s_addc_u32 s3, s3, 0
	s_waitcnt lgkmcnt(0)
	v_mul_hi_u32 v2, s7, v1
	s_load_dword s7, s[0:1], 0x0
	s_add_u32 s0, s0, 4
	s_addc_u32 s1, s1, 0
	v_add_u32_e32 v2, v1, v2
	v_lshrrev_b32_e32 v2, s5, v2
	v_mul_lo_u32 v4, v2, s6
	s_add_i32 s4, s4, -1
	s_cmp_lg_u32 s4, 0
	v_sub_u32_e32 v1, v1, v4
	s_waitcnt lgkmcnt(0)
	v_mad_u64_u32 v[0:1], s[6:7], v1, s7, v[0:1]
	v_mov_b32_e32 v1, v2
	s_cbranch_scc1 .LBB77_105
.LBB77_106:
	s_cbranch_execnz .LBB77_109
.LBB77_107:
	s_waitcnt lgkmcnt(0)
	v_mul_hi_u32 v0, s9, v3
	s_andn2_b64 vcc, exec, s[34:35]
	v_add_u32_e32 v0, v3, v0
	v_lshrrev_b32_e32 v1, s10, v0
	v_mul_lo_u32 v0, v1, s8
	v_sub_u32_e32 v0, v3, v0
	v_mul_lo_u32 v0, v0, s28
	s_cbranch_vccnz .LBB77_109
; %bb.108:
	v_mul_hi_u32 v2, s30, v1
	v_add_u32_e32 v2, v1, v2
	v_lshrrev_b32_e32 v2, s31, v2
	v_mul_lo_u32 v2, v2, s11
	v_sub_u32_e32 v1, v1, v2
	v_mad_u64_u32 v[0:1], s[0:1], v1, s29, v[0:1]
.LBB77_109:
	s_waitcnt lgkmcnt(0)
	v_mov_b32_e32 v1, s47
	v_add_u32_e32 v3, 0x80, v3
	global_store_dword v0, v1, s[26:27]
	s_or_b64 exec, exec, s[40:41]
	v_cmp_gt_i32_e32 vcc, s48, v3
	s_and_saveexec_b64 s[40:41], vcc
	s_cbranch_execz .LBB77_100
.LBB77_110:
	s_andn2_b64 vcc, exec, s[22:23]
	s_cbranch_vccnz .LBB77_115
; %bb.111:
	s_andn2_b64 vcc, exec, s[38:39]
	s_cbranch_vccnz .LBB77_116
; %bb.112:
	s_add_i32 s49, s49, 1
	s_cmp_eq_u32 s46, 2
	s_cbranch_scc1 .LBB77_117
; %bb.113:
	s_and_b32 s42, s49, 28
	s_mov_b32 s43, 0
	v_mov_b32_e32 v0, 0
	s_mov_b64 s[38:39], s[20:21]
	v_mov_b32_e32 v1, v3
.LBB77_114:                             ; =>This Inner Loop Header: Depth=1
	s_load_dwordx8 s[0:7], s[38:39], 0x4
	s_load_dwordx4 s[12:15], s[38:39], 0x24
	s_load_dwordx4 s[16:19], s[36:37], 0x0
	s_add_u32 s38, s38, 48
	s_addc_u32 s39, s39, 0
	s_waitcnt lgkmcnt(0)
	v_mul_hi_u32 v2, s1, v1
	s_add_i32 s43, s43, 4
	s_add_u32 s36, s36, 16
	s_addc_u32 s37, s37, 0
	v_add_u32_e32 v2, v1, v2
	v_lshrrev_b32_e32 v2, s2, v2
	v_mul_lo_u32 v4, v2, s0
	v_mul_hi_u32 v5, s4, v2
	s_cmp_eq_u32 s42, s43
	v_sub_u32_e32 v1, v1, v4
	v_add_u32_e32 v4, v2, v5
	v_lshrrev_b32_e32 v4, s5, v4
	v_mul_lo_u32 v5, v1, s16
	v_mul_hi_u32 v1, s7, v4
	v_mul_lo_u32 v7, v4, s3
	v_add_u32_e32 v1, v4, v1
	v_lshrrev_b32_e32 v6, s12, v1
	v_mul_hi_u32 v1, s14, v6
	v_sub_u32_e32 v2, v2, v7
	v_mul_lo_u32 v7, v6, s6
	v_mul_lo_u32 v2, v2, s17
	v_add_u32_e32 v1, v6, v1
	v_lshrrev_b32_e32 v1, s15, v1
	v_mul_lo_u32 v8, v1, s13
	v_sub_u32_e32 v4, v4, v7
	v_mul_lo_u32 v4, v4, s18
	v_add3_u32 v0, v5, v0, v2
	v_sub_u32_e32 v6, v6, v8
	v_mul_lo_u32 v6, v6, s19
	v_add3_u32 v0, v4, v0, v6
	s_cbranch_scc0 .LBB77_114
	s_branch .LBB77_118
.LBB77_115:
                                        ; implicit-def: $vgpr0
	s_branch .LBB77_122
.LBB77_116:
	v_mov_b32_e32 v0, 0
	s_branch .LBB77_121
.LBB77_117:
	v_mov_b32_e32 v0, 0
	s_mov_b32 s42, 0
	v_mov_b32_e32 v1, v3
.LBB77_118:
	s_and_b32 s4, s49, 3
	s_cmp_eq_u32 s4, 0
	s_cbranch_scc1 .LBB77_121
; %bb.119:
	s_lshl_b32 s0, s42, 2
	s_add_u32 s0, s20, s0
	s_addc_u32 s1, s21, 0
	s_add_u32 s0, s0, 0xc4
	s_addc_u32 s1, s1, 0
	s_mul_i32 s2, s42, 12
	s_add_u32 s2, s20, s2
	s_addc_u32 s3, s21, 0
.LBB77_120:                             ; =>This Inner Loop Header: Depth=1
	s_load_dwordx2 s[6:7], s[2:3], 0x4
	s_load_dword s5, s[2:3], 0xc
	s_add_u32 s2, s2, 12
	s_addc_u32 s3, s3, 0
	s_waitcnt lgkmcnt(0)
	v_mul_hi_u32 v2, s7, v1
	s_load_dword s7, s[0:1], 0x0
	s_add_u32 s0, s0, 4
	s_addc_u32 s1, s1, 0
	v_add_u32_e32 v2, v1, v2
	v_lshrrev_b32_e32 v2, s5, v2
	v_mul_lo_u32 v4, v2, s6
	s_add_i32 s4, s4, -1
	s_cmp_lg_u32 s4, 0
	v_sub_u32_e32 v1, v1, v4
	s_waitcnt lgkmcnt(0)
	v_mad_u64_u32 v[0:1], s[6:7], v1, s7, v[0:1]
	v_mov_b32_e32 v1, v2
	s_cbranch_scc1 .LBB77_120
.LBB77_121:
	s_cbranch_execnz .LBB77_124
.LBB77_122:
	s_waitcnt lgkmcnt(0)
	v_mul_hi_u32 v0, s9, v3
	s_andn2_b64 vcc, exec, s[34:35]
	v_add_u32_e32 v0, v3, v0
	v_lshrrev_b32_e32 v1, s10, v0
	v_mul_lo_u32 v0, v1, s8
	v_sub_u32_e32 v0, v3, v0
	v_mul_lo_u32 v0, v0, s28
	s_cbranch_vccnz .LBB77_124
; %bb.123:
	v_mul_hi_u32 v2, s30, v1
	v_add_u32_e32 v2, v1, v2
	v_lshrrev_b32_e32 v2, s31, v2
	v_mul_lo_u32 v2, v2, s11
	v_sub_u32_e32 v1, v1, v2
	v_mad_u64_u32 v[0:1], s[0:1], v1, s29, v[0:1]
.LBB77_124:
	s_waitcnt lgkmcnt(0)
	v_mov_b32_e32 v1, s47
	global_store_dword v0, v1, s[26:27]
	s_or_b64 exec, exec, s[40:41]
                                        ; implicit-def: $vgpr5
                                        ; implicit-def: $vgpr3
	s_andn2_saveexec_b64 s[0:1], s[24:25]
	s_cbranch_execz .LBB77_101
	s_branch .LBB77_8
	.section	.rodata,"a",@progbits
	.p2align	6, 0x0
	.amdhsa_kernel _ZN2at6native32elementwise_kernel_manual_unrollILi128ELi4EZNS0_22gpu_kernel_impl_nocastINS0_11FillFunctorIN3c107complexINS4_4HalfEEEEEEEvRNS_18TensorIteratorBaseERKT_EUlibE_EEviT1_
		.amdhsa_group_segment_fixed_size 0
		.amdhsa_private_segment_fixed_size 0
		.amdhsa_kernarg_size 288
		.amdhsa_user_sgpr_count 6
		.amdhsa_user_sgpr_private_segment_buffer 1
		.amdhsa_user_sgpr_dispatch_ptr 0
		.amdhsa_user_sgpr_queue_ptr 0
		.amdhsa_user_sgpr_kernarg_segment_ptr 1
		.amdhsa_user_sgpr_dispatch_id 0
		.amdhsa_user_sgpr_flat_scratch_init 0
		.amdhsa_user_sgpr_private_segment_size 0
		.amdhsa_uses_dynamic_stack 0
		.amdhsa_system_sgpr_private_segment_wavefront_offset 0
		.amdhsa_system_sgpr_workgroup_id_x 1
		.amdhsa_system_sgpr_workgroup_id_y 0
		.amdhsa_system_sgpr_workgroup_id_z 0
		.amdhsa_system_sgpr_workgroup_info 0
		.amdhsa_system_vgpr_workitem_id 0
		.amdhsa_next_free_vgpr 12
		.amdhsa_next_free_sgpr 53
		.amdhsa_reserve_vcc 1
		.amdhsa_reserve_flat_scratch 0
		.amdhsa_float_round_mode_32 0
		.amdhsa_float_round_mode_16_64 0
		.amdhsa_float_denorm_mode_32 3
		.amdhsa_float_denorm_mode_16_64 3
		.amdhsa_dx10_clamp 1
		.amdhsa_ieee_mode 1
		.amdhsa_fp16_overflow 0
		.amdhsa_exception_fp_ieee_invalid_op 0
		.amdhsa_exception_fp_denorm_src 0
		.amdhsa_exception_fp_ieee_div_zero 0
		.amdhsa_exception_fp_ieee_overflow 0
		.amdhsa_exception_fp_ieee_underflow 0
		.amdhsa_exception_fp_ieee_inexact 0
		.amdhsa_exception_int_div_zero 0
	.end_amdhsa_kernel
	.section	.text._ZN2at6native32elementwise_kernel_manual_unrollILi128ELi4EZNS0_22gpu_kernel_impl_nocastINS0_11FillFunctorIN3c107complexINS4_4HalfEEEEEEEvRNS_18TensorIteratorBaseERKT_EUlibE_EEviT1_,"axG",@progbits,_ZN2at6native32elementwise_kernel_manual_unrollILi128ELi4EZNS0_22gpu_kernel_impl_nocastINS0_11FillFunctorIN3c107complexINS4_4HalfEEEEEEEvRNS_18TensorIteratorBaseERKT_EUlibE_EEviT1_,comdat
.Lfunc_end77:
	.size	_ZN2at6native32elementwise_kernel_manual_unrollILi128ELi4EZNS0_22gpu_kernel_impl_nocastINS0_11FillFunctorIN3c107complexINS4_4HalfEEEEEEEvRNS_18TensorIteratorBaseERKT_EUlibE_EEviT1_, .Lfunc_end77-_ZN2at6native32elementwise_kernel_manual_unrollILi128ELi4EZNS0_22gpu_kernel_impl_nocastINS0_11FillFunctorIN3c107complexINS4_4HalfEEEEEEEvRNS_18TensorIteratorBaseERKT_EUlibE_EEviT1_
                                        ; -- End function
	.set _ZN2at6native32elementwise_kernel_manual_unrollILi128ELi4EZNS0_22gpu_kernel_impl_nocastINS0_11FillFunctorIN3c107complexINS4_4HalfEEEEEEEvRNS_18TensorIteratorBaseERKT_EUlibE_EEviT1_.num_vgpr, 12
	.set _ZN2at6native32elementwise_kernel_manual_unrollILi128ELi4EZNS0_22gpu_kernel_impl_nocastINS0_11FillFunctorIN3c107complexINS4_4HalfEEEEEEEvRNS_18TensorIteratorBaseERKT_EUlibE_EEviT1_.num_agpr, 0
	.set _ZN2at6native32elementwise_kernel_manual_unrollILi128ELi4EZNS0_22gpu_kernel_impl_nocastINS0_11FillFunctorIN3c107complexINS4_4HalfEEEEEEEvRNS_18TensorIteratorBaseERKT_EUlibE_EEviT1_.numbered_sgpr, 53
	.set _ZN2at6native32elementwise_kernel_manual_unrollILi128ELi4EZNS0_22gpu_kernel_impl_nocastINS0_11FillFunctorIN3c107complexINS4_4HalfEEEEEEEvRNS_18TensorIteratorBaseERKT_EUlibE_EEviT1_.num_named_barrier, 0
	.set _ZN2at6native32elementwise_kernel_manual_unrollILi128ELi4EZNS0_22gpu_kernel_impl_nocastINS0_11FillFunctorIN3c107complexINS4_4HalfEEEEEEEvRNS_18TensorIteratorBaseERKT_EUlibE_EEviT1_.private_seg_size, 0
	.set _ZN2at6native32elementwise_kernel_manual_unrollILi128ELi4EZNS0_22gpu_kernel_impl_nocastINS0_11FillFunctorIN3c107complexINS4_4HalfEEEEEEEvRNS_18TensorIteratorBaseERKT_EUlibE_EEviT1_.uses_vcc, 1
	.set _ZN2at6native32elementwise_kernel_manual_unrollILi128ELi4EZNS0_22gpu_kernel_impl_nocastINS0_11FillFunctorIN3c107complexINS4_4HalfEEEEEEEvRNS_18TensorIteratorBaseERKT_EUlibE_EEviT1_.uses_flat_scratch, 0
	.set _ZN2at6native32elementwise_kernel_manual_unrollILi128ELi4EZNS0_22gpu_kernel_impl_nocastINS0_11FillFunctorIN3c107complexINS4_4HalfEEEEEEEvRNS_18TensorIteratorBaseERKT_EUlibE_EEviT1_.has_dyn_sized_stack, 0
	.set _ZN2at6native32elementwise_kernel_manual_unrollILi128ELi4EZNS0_22gpu_kernel_impl_nocastINS0_11FillFunctorIN3c107complexINS4_4HalfEEEEEEEvRNS_18TensorIteratorBaseERKT_EUlibE_EEviT1_.has_recursion, 0
	.set _ZN2at6native32elementwise_kernel_manual_unrollILi128ELi4EZNS0_22gpu_kernel_impl_nocastINS0_11FillFunctorIN3c107complexINS4_4HalfEEEEEEEvRNS_18TensorIteratorBaseERKT_EUlibE_EEviT1_.has_indirect_call, 0
	.section	.AMDGPU.csdata,"",@progbits
; Kernel info:
; codeLenInByte = 5004
; TotalNumSgprs: 57
; NumVgprs: 12
; ScratchSize: 0
; MemoryBound: 0
; FloatMode: 240
; IeeeMode: 1
; LDSByteSize: 0 bytes/workgroup (compile time only)
; SGPRBlocks: 7
; VGPRBlocks: 2
; NumSGPRsForWavesPerEU: 57
; NumVGPRsForWavesPerEU: 12
; Occupancy: 10
; WaveLimiterHint : 1
; COMPUTE_PGM_RSRC2:SCRATCH_EN: 0
; COMPUTE_PGM_RSRC2:USER_SGPR: 6
; COMPUTE_PGM_RSRC2:TRAP_HANDLER: 0
; COMPUTE_PGM_RSRC2:TGID_X_EN: 1
; COMPUTE_PGM_RSRC2:TGID_Y_EN: 0
; COMPUTE_PGM_RSRC2:TGID_Z_EN: 0
; COMPUTE_PGM_RSRC2:TIDIG_COMP_CNT: 0
	.section	.text._ZN2at6native32elementwise_kernel_manual_unrollILi128ELi4EZNS0_15gpu_kernel_implINS0_11FillFunctorIN3c107complexINS4_4HalfEEEEEEEvRNS_18TensorIteratorBaseERKT_EUlibE_EEviT1_,"axG",@progbits,_ZN2at6native32elementwise_kernel_manual_unrollILi128ELi4EZNS0_15gpu_kernel_implINS0_11FillFunctorIN3c107complexINS4_4HalfEEEEEEEvRNS_18TensorIteratorBaseERKT_EUlibE_EEviT1_,comdat
	.protected	_ZN2at6native32elementwise_kernel_manual_unrollILi128ELi4EZNS0_15gpu_kernel_implINS0_11FillFunctorIN3c107complexINS4_4HalfEEEEEEEvRNS_18TensorIteratorBaseERKT_EUlibE_EEviT1_ ; -- Begin function _ZN2at6native32elementwise_kernel_manual_unrollILi128ELi4EZNS0_15gpu_kernel_implINS0_11FillFunctorIN3c107complexINS4_4HalfEEEEEEEvRNS_18TensorIteratorBaseERKT_EUlibE_EEviT1_
	.globl	_ZN2at6native32elementwise_kernel_manual_unrollILi128ELi4EZNS0_15gpu_kernel_implINS0_11FillFunctorIN3c107complexINS4_4HalfEEEEEEEvRNS_18TensorIteratorBaseERKT_EUlibE_EEviT1_
	.p2align	8
	.type	_ZN2at6native32elementwise_kernel_manual_unrollILi128ELi4EZNS0_15gpu_kernel_implINS0_11FillFunctorIN3c107complexINS4_4HalfEEEEEEEvRNS_18TensorIteratorBaseERKT_EUlibE_EEviT1_,@function
_ZN2at6native32elementwise_kernel_manual_unrollILi128ELi4EZNS0_15gpu_kernel_implINS0_11FillFunctorIN3c107complexINS4_4HalfEEEEEEEvRNS_18TensorIteratorBaseERKT_EUlibE_EEviT1_: ; @_ZN2at6native32elementwise_kernel_manual_unrollILi128ELi4EZNS0_15gpu_kernel_implINS0_11FillFunctorIN3c107complexINS4_4HalfEEEEEEEvRNS_18TensorIteratorBaseERKT_EUlibE_EEviT1_
; %bb.0:
	s_load_dword s48, s[4:5], 0x0
	s_load_dwordx4 s[8:11], s[4:5], 0x8
	s_load_dword s33, s[4:5], 0x18
	v_lshl_or_b32 v20, s6, 9, v0
	v_or_b32_e32 v0, 0x180, v20
	s_waitcnt lgkmcnt(0)
	v_cmp_le_i32_e32 vcc, s48, v0
	s_mov_b64 s[6:7], 0
	s_mov_b64 s[0:1], 0
	s_and_saveexec_b64 s[2:3], vcc
	s_xor_b64 s[12:13], exec, s[2:3]
	s_cbranch_execz .LBB78_404
; %bb.1:
	v_cvt_f32_f16_e32 v6, s11
	s_movk_i32 s0, 0xff
	v_mov_b32_e32 v10, 0x7fc00000
	v_mov_b32_e32 v9, 0
	v_and_b32_e32 v2, 0x400000, v6
	v_bfe_u32 v1, v6, 23, 8
	v_cmp_ne_u32_e32 vcc, 0, v2
	v_and_b32_e32 v2, 0x3fffff, v6
	v_cmp_eq_u32_e64 s[4:5], s0, v1
	v_or_b32_e32 v1, v1, v2
	v_cmp_ne_u32_e64 s[0:1], 0, v1
	v_readfirstlane_b32 s16, v6
	s_and_b64 s[0:1], vcc, s[0:1]
	s_and_b32 s30, s16, 0x7fffffff
	s_cmp_lt_u32 s30, 0x43800000
	s_cselect_b64 s[26:27], -1, 0
	s_cmp_gt_u32 s30, 0x3bffffff
	v_cndmask_b32_e64 v1, 0, 1, s[0:1]
	s_cselect_b64 s[2:3], -1, 0
	s_bfe_u32 s0, s16, 0x10014
	s_add_i32 s17, s16, s0
	s_add_i32 s0, s17, 0x487ffff
	s_lshr_b32 s59, s0, 20
	s_mov_b32 s0, 0x46000000
	v_add_f32_e64 v17, |v6|, s0
	v_readfirstlane_b32 s0, v17
	s_and_b32 s0, s0, 0xff
	s_cmp_lg_u32 s0, 0
	s_cselect_b64 s[28:29], -1, 0
	s_cmp_gt_u32 s30, 0x477fffff
	s_cselect_b64 s[14:15], -1, 0
	s_cmp_lt_u32 s30, 0x47800000
	s_movk_i32 s0, 0x80
	s_cselect_b64 s[22:23], -1, 0
	s_cmp_gt_u32 s30, 0x37ffffff
	v_and_b32_sdwa v14, v6, s0 dst_sel:DWORD dst_unused:UNUSED_PAD src0_sel:BYTE_3 src1_sel:DWORD
	s_cselect_b64 s[0:1], -1, 0
	s_bfe_u32 s18, s16, 0x10015
	s_add_i32 s31, s16, s18
	s_add_i32 s16, s31, 0x88fffff
	s_lshr_b32 s57, s16, 21
	s_mov_b32 s16, 0x42800000
	v_add_f32_e64 v16, |v6|, s16
	v_readfirstlane_b32 s16, v16
	s_and_b32 s16, s16, 0xff
	s_cmp_lg_u32 s16, 0
	s_cselect_b64 s[24:25], -1, 0
	s_cmp_gt_u32 s30, 0x43efffff
	s_cselect_b64 s[18:19], -1, 0
	s_cmp_lt_u32 s30, 0x3c800000
	s_cselect_b64 s[20:21], -1, 0
	s_add_i32 s17, s17, 0x407ffff
	s_lshr_b32 s16, s17, 20
	s_and_b32 s17, s17, 0xff00000
	s_cmp_lg_u32 s17, 0x7f00000
	v_lshrrev_b32_e32 v0, 23, v6
	s_cselect_b32 s55, s16, 0x7e
	s_mov_b32 s16, 0x46800000
	s_cmp_lt_u32 s30, 0x38800000
	v_add_u32_e32 v19, v0, v1
	v_add_f32_e64 v0, |v6|, s16
	s_cselect_b64 s[16:17], -1, 0
	s_add_i32 s31, s31, 0x80fffff
	s_lshr_b32 s52, s31, 21
	s_cmp_gt_u32 s30, 0x7f800000
	s_movk_i32 s30, 0x7f
	s_cselect_b32 s58, s30, 0x7e
	s_mov_b32 s30, 0x43000000
	v_readfirstlane_b32 s56, v0
	v_add_f32_e64 v0, |v6|, s30
	s_movk_i32 s30, 0x7c
	s_cselect_b32 s54, 0x7f, s30
	s_and_b32 s30, s11, 0x7fff7fff
	s_cmp_lg_u32 s30, 0
	s_cselect_b64 s[30:31], -1, 0
	s_lshr_b32 s34, s11, 16
	v_cvt_f32_f16_e32 v7, s34
	v_readfirstlane_b32 s53, v0
	v_bfe_u32 v0, v6, 16, 1
	v_add_u32_e32 v0, v6, v0
	v_bfe_u32 v4, v7, 16, 1
	v_add_u32_e32 v4, v7, v4
	v_add_u32_e32 v0, 0x7fff, v0
	;; [unrolled: 1-line block ×3, first 2 shown]
	v_lshrrev_b32_e32 v0, 16, v0
	v_mov_b32_e32 v1, 0x7fc0
	v_cmp_o_f16_e64 vcc, s11, s11
	v_and_b32_e32 v5, 0xffff0000, v4
	v_cvt_i32_f32_e32 v4, v6
	v_cvt_u32_f32_e32 v8, v6
	v_cndmask_b32_e32 v15, v1, v0, vcc
	v_cvt_f64_f32_e32 v[0:1], v6
	v_cvt_f64_f32_e32 v[2:3], v7
	v_cmp_o_f16_e64 vcc, s34, s34
	v_cndmask_b32_e32 v5, v10, v5, vcc
	v_cvt_u16_f16_e32 v18, s11
	v_cndmask_b32_e64 v13, 0, 1, s[30:31]
	v_or_b32_e32 v21, v5, v15
	v_ashrrev_i32_e32 v5, 31, v4
	v_cvt_i16_f16_e32 v12, s11
	v_cmp_gt_i32_e32 vcc, s48, v20
	s_mov_b64 s[36:37], -1
	s_mov_b64 s[38:39], 0
	s_mov_b64 s[30:31], 0
	s_and_saveexec_b64 s[34:35], vcc
	s_cbranch_execz .LBB78_100
; %bb.2:
	v_mul_lo_u32 v10, v20, s10
	v_mov_b32_e32 v11, s9
	s_and_b32 s42, s33, 0xff
	s_cmp_lt_i32 s42, 11
	v_ashrrev_i32_e32 v22, 31, v10
	v_add_co_u32_e32 v10, vcc, s8, v10
	v_addc_co_u32_e32 v11, vcc, v11, v22, vcc
	s_cbranch_scc1 .LBB78_9
; %bb.3:
	s_and_b32 s43, 0xffff, s42
	s_cmp_gt_i32 s43, 25
	s_cbranch_scc0 .LBB78_12
; %bb.4:
	s_cmp_gt_i32 s43, 28
	s_cbranch_scc0 .LBB78_13
; %bb.5:
	;; [unrolled: 3-line block ×4, first 2 shown]
	s_mov_b64 s[40:41], 0
	s_mov_b64 s[30:31], -1
	s_cmp_eq_u32 s43, 46
	s_mov_b64 s[36:37], 0
	s_cbranch_scc0 .LBB78_16
; %bb.8:
	global_store_dword v[10:11], v21, off
	s_mov_b64 s[36:37], -1
	s_mov_b64 s[30:31], 0
	s_branch .LBB78_16
.LBB78_9:
	s_mov_b64 s[36:37], 0
	s_cbranch_execnz .LBB78_60
.LBB78_10:
	s_andn2_b64 vcc, exec, s[36:37]
	s_cbranch_vccnz .LBB78_98
.LBB78_11:
	v_add_u32_e32 v20, 0x80, v20
	s_mov_b64 s[36:37], -1
	s_branch .LBB78_99
.LBB78_12:
	s_mov_b64 s[36:37], 0
	s_cbranch_execnz .LBB78_38
	s_branch .LBB78_59
.LBB78_13:
	s_mov_b64 s[40:41], -1
	s_mov_b64 s[36:37], 0
	s_branch .LBB78_24
.LBB78_14:
	s_mov_b64 s[40:41], -1
	s_mov_b64 s[36:37], 0
	s_branch .LBB78_20
.LBB78_15:
	s_mov_b64 s[40:41], -1
	s_mov_b64 s[36:37], 0
.LBB78_16:
	s_and_b64 vcc, exec, s[40:41]
	s_cbranch_vccz .LBB78_19
; %bb.17:
	s_cmp_eq_u32 s43, 44
	s_mov_b64 s[30:31], -1
	s_cbranch_scc0 .LBB78_19
; %bb.18:
	v_mov_b32_e32 v22, 0xffff
	v_cndmask_b32_e64 v22, v19, v22, s[4:5]
	global_store_byte v[10:11], v22, off
	s_mov_b64 s[36:37], -1
	s_mov_b64 s[30:31], 0
.LBB78_19:
	s_mov_b64 s[40:41], 0
.LBB78_20:
	s_and_b64 vcc, exec, s[40:41]
	s_cbranch_vccz .LBB78_23
; %bb.21:
	s_cmp_eq_u32 s43, 29
	s_mov_b64 s[30:31], -1
	s_cbranch_scc0 .LBB78_23
; %bb.22:
	global_store_dwordx2 v[10:11], v[8:9], off
	s_mov_b64 s[36:37], -1
	s_mov_b64 s[30:31], 0
.LBB78_23:
	s_mov_b64 s[40:41], 0
.LBB78_24:
	s_and_b64 vcc, exec, s[40:41]
	s_cbranch_vccz .LBB78_37
; %bb.25:
	s_cmp_lt_i32 s43, 27
	s_mov_b64 s[36:37], -1
	s_cbranch_scc1 .LBB78_31
; %bb.26:
	s_cmp_gt_i32 s43, 27
	s_cbranch_scc0 .LBB78_28
; %bb.27:
	s_mov_b64 s[36:37], 0
	global_store_dword v[10:11], v8, off
.LBB78_28:
	s_andn2_b64 vcc, exec, s[36:37]
	s_cbranch_vccnz .LBB78_30
; %bb.29:
	global_store_short v[10:11], v18, off
.LBB78_30:
	s_mov_b64 s[36:37], 0
.LBB78_31:
	s_andn2_b64 vcc, exec, s[36:37]
	s_cbranch_vccnz .LBB78_36
; %bb.32:
	s_andn2_b64 vcc, exec, s[26:27]
	v_mov_b32_e32 v22, 0x80
	s_cbranch_vccnz .LBB78_35
; %bb.33:
	s_or_b64 s[36:37], s[2:3], s[28:29]
	s_andn2_b64 vcc, exec, s[36:37]
	v_mov_b32_e32 v22, 0
	s_cbranch_vccnz .LBB78_35
; %bb.34:
	v_mov_b32_e32 v22, s59
	v_cndmask_b32_e64 v22, v17, v22, s[2:3]
	v_or_b32_e32 v22, v22, v14
.LBB78_35:
	global_store_byte v[10:11], v22, off
.LBB78_36:
	s_mov_b64 s[36:37], -1
.LBB78_37:
	s_branch .LBB78_59
.LBB78_38:
	s_cmp_gt_i32 s43, 22
	s_mov_b64 s[40:41], -1
	s_cbranch_scc0 .LBB78_51
; %bb.39:
	s_cmp_lt_i32 s43, 24
	s_mov_b64 s[36:37], -1
	s_cbranch_scc1 .LBB78_48
; %bb.40:
	s_cmp_gt_i32 s43, 24
	s_cbranch_scc0 .LBB78_45
; %bb.41:
	s_andn2_b64 vcc, exec, s[22:23]
	v_mov_b32_e32 v22, 0x80
	s_cbranch_vccnz .LBB78_44
; %bb.42:
	s_or_b64 s[36:37], s[0:1], s[24:25]
	s_andn2_b64 vcc, exec, s[36:37]
	v_mov_b32_e32 v22, 0
	s_cbranch_vccnz .LBB78_44
; %bb.43:
	v_mov_b32_e32 v22, s57
	v_cndmask_b32_e64 v22, v16, v22, s[0:1]
	v_or_b32_e32 v22, v22, v14
.LBB78_44:
	s_mov_b64 s[36:37], 0
	global_store_byte v[10:11], v22, off
.LBB78_45:
	s_and_b64 vcc, exec, s[36:37]
	s_cbranch_vccz .LBB78_47
; %bb.46:
	s_and_b64 s[36:37], s[20:21], exec
	s_cselect_b32 s40, s56, s55
	s_and_b64 s[36:37], s[18:19], exec
	s_cselect_b32 s36, s58, s40
	v_or_b32_e32 v22, s36, v14
	global_store_byte v[10:11], v22, off
.LBB78_47:
	s_mov_b64 s[36:37], 0
.LBB78_48:
	s_andn2_b64 vcc, exec, s[36:37]
	s_cbranch_vccnz .LBB78_50
; %bb.49:
	s_and_b64 s[36:37], s[16:17], exec
	s_cselect_b32 s40, s53, s52
	s_and_b64 s[36:37], s[14:15], exec
	s_cselect_b32 s36, s54, s40
	v_or_b32_e32 v22, s36, v14
	global_store_byte v[10:11], v22, off
.LBB78_50:
	s_mov_b64 s[40:41], 0
	s_mov_b64 s[36:37], -1
.LBB78_51:
	s_andn2_b64 vcc, exec, s[40:41]
	s_cbranch_vccnz .LBB78_59
; %bb.52:
	s_cmp_gt_i32 s43, 14
	s_mov_b64 s[40:41], -1
	s_cbranch_scc0 .LBB78_56
; %bb.53:
	s_cmp_eq_u32 s43, 15
	s_mov_b64 s[30:31], -1
	s_cbranch_scc0 .LBB78_55
; %bb.54:
	global_store_short v[10:11], v15, off
	s_mov_b64 s[36:37], -1
	s_mov_b64 s[30:31], 0
.LBB78_55:
	s_mov_b64 s[40:41], 0
.LBB78_56:
	s_and_b64 vcc, exec, s[40:41]
	s_cbranch_vccz .LBB78_59
; %bb.57:
	s_cmp_eq_u32 s43, 11
	s_mov_b64 s[30:31], -1
	s_cbranch_scc0 .LBB78_59
; %bb.58:
	s_mov_b64 s[36:37], -1
	s_mov_b64 s[30:31], 0
	global_store_byte v[10:11], v13, off
.LBB78_59:
	s_branch .LBB78_10
.LBB78_60:
	s_and_b32 s40, 0xffff, s42
	s_cmp_lt_i32 s40, 5
	s_mov_b64 s[36:37], -1
	s_cbranch_scc1 .LBB78_81
; %bb.61:
	s_cmp_lt_i32 s40, 8
	s_cbranch_scc1 .LBB78_71
; %bb.62:
	s_cmp_lt_i32 s40, 9
	s_cbranch_scc1 .LBB78_68
; %bb.63:
	s_cmp_gt_i32 s40, 9
	s_cbranch_scc0 .LBB78_65
; %bb.64:
	global_store_dwordx4 v[10:11], v[0:3], off
	s_mov_b64 s[36:37], 0
.LBB78_65:
	s_andn2_b64 vcc, exec, s[36:37]
	s_cbranch_vccnz .LBB78_67
; %bb.66:
	global_store_dwordx2 v[10:11], v[6:7], off
.LBB78_67:
	s_mov_b64 s[36:37], 0
.LBB78_68:
	s_andn2_b64 vcc, exec, s[36:37]
	s_cbranch_vccnz .LBB78_70
; %bb.69:
	v_mov_b32_e32 v22, s11
	global_store_dword v[10:11], v22, off
.LBB78_70:
	s_mov_b64 s[36:37], 0
.LBB78_71:
	s_andn2_b64 vcc, exec, s[36:37]
	s_cbranch_vccnz .LBB78_80
; %bb.72:
	s_cmp_lt_i32 s40, 6
	s_mov_b64 s[36:37], -1
	s_cbranch_scc1 .LBB78_78
; %bb.73:
	s_cmp_gt_i32 s40, 6
	s_cbranch_scc0 .LBB78_75
; %bb.74:
	global_store_dwordx2 v[10:11], v[0:1], off
	s_mov_b64 s[36:37], 0
.LBB78_75:
	s_andn2_b64 vcc, exec, s[36:37]
	s_cbranch_vccnz .LBB78_77
; %bb.76:
	global_store_dword v[10:11], v6, off
.LBB78_77:
	s_mov_b64 s[36:37], 0
.LBB78_78:
	s_andn2_b64 vcc, exec, s[36:37]
	s_cbranch_vccnz .LBB78_80
; %bb.79:
	v_mov_b32_e32 v22, s11
	global_store_short v[10:11], v22, off
.LBB78_80:
	s_mov_b64 s[36:37], 0
.LBB78_81:
	s_andn2_b64 vcc, exec, s[36:37]
	s_cbranch_vccnz .LBB78_97
; %bb.82:
	s_cmp_lt_i32 s40, 2
	s_mov_b64 s[36:37], -1
	s_cbranch_scc1 .LBB78_92
; %bb.83:
	s_cmp_lt_i32 s40, 3
	s_cbranch_scc1 .LBB78_89
; %bb.84:
	s_cmp_gt_i32 s40, 3
	s_cbranch_scc0 .LBB78_86
; %bb.85:
	global_store_dwordx2 v[10:11], v[4:5], off
	s_mov_b64 s[36:37], 0
.LBB78_86:
	s_andn2_b64 vcc, exec, s[36:37]
	s_cbranch_vccnz .LBB78_88
; %bb.87:
	global_store_dword v[10:11], v4, off
.LBB78_88:
	s_mov_b64 s[36:37], 0
.LBB78_89:
	s_andn2_b64 vcc, exec, s[36:37]
	s_cbranch_vccnz .LBB78_91
; %bb.90:
	global_store_short v[10:11], v12, off
.LBB78_91:
	s_mov_b64 s[36:37], 0
.LBB78_92:
	s_andn2_b64 vcc, exec, s[36:37]
	s_cbranch_vccnz .LBB78_97
; %bb.93:
	s_cmp_gt_i32 s40, 0
	s_mov_b64 s[36:37], -1
	s_cbranch_scc0 .LBB78_95
; %bb.94:
	global_store_byte v[10:11], v12, off
	s_mov_b64 s[36:37], 0
.LBB78_95:
	s_andn2_b64 vcc, exec, s[36:37]
	s_cbranch_vccnz .LBB78_97
; %bb.96:
	global_store_byte v[10:11], v4, off
.LBB78_97:
	s_branch .LBB78_11
.LBB78_98:
	s_mov_b64 s[36:37], 0
                                        ; implicit-def: $vgpr20
.LBB78_99:
	s_and_b64 s[30:31], s[30:31], exec
	s_orn2_b64 s[36:37], s[36:37], exec
.LBB78_100:
	s_or_b64 exec, exec, s[34:35]
	s_mov_b64 s[40:41], 0
                                        ; implicit-def: $sgpr60
                                        ; implicit-def: $vgpr10_vgpr11
	s_and_saveexec_b64 s[34:35], s[36:37]
	s_cbranch_execz .LBB78_109
; %bb.101:
	v_cmp_gt_i32_e32 vcc, s48, v20
	s_mov_b64 s[42:43], -1
	s_mov_b64 s[36:37], s[30:31]
	s_and_saveexec_b64 s[38:39], vcc
	s_cbranch_execz .LBB78_204
; %bb.102:
	v_mul_lo_u32 v10, v20, s10
	v_mov_b32_e32 v11, s9
	s_and_b32 s44, s33, 0xff
	s_cmp_lt_i32 s44, 11
	v_ashrrev_i32_e32 v22, 31, v10
	v_add_co_u32_e32 v10, vcc, s8, v10
	v_addc_co_u32_e32 v11, vcc, v11, v22, vcc
	s_cbranch_scc1 .LBB78_112
; %bb.103:
	s_and_b32 s45, 0xffff, s44
	s_cmp_gt_i32 s45, 25
	s_cbranch_scc0 .LBB78_115
; %bb.104:
	s_cmp_gt_i32 s45, 28
	s_cbranch_scc0 .LBB78_116
; %bb.105:
	;; [unrolled: 3-line block ×4, first 2 shown]
	s_mov_b64 s[42:43], 0
	s_mov_b64 s[36:37], -1
	s_cmp_eq_u32 s45, 46
	s_cbranch_scc0 .LBB78_119
; %bb.108:
	global_store_dword v[10:11], v21, off
	s_mov_b64 s[40:41], -1
	s_mov_b64 s[36:37], 0
	s_branch .LBB78_119
.LBB78_109:
	s_or_b64 exec, exec, s[34:35]
	s_mov_b64 s[0:1], 0
	s_and_saveexec_b64 s[2:3], s[30:31]
	s_cbranch_execnz .LBB78_364
.LBB78_110:
	s_or_b64 exec, exec, s[2:3]
	s_and_saveexec_b64 s[2:3], s[38:39]
	s_xor_b64 s[2:3], exec, s[2:3]
	s_cbranch_execz .LBB78_365
.LBB78_111:
	global_store_byte v[10:11], v13, off
	s_or_b64 exec, exec, s[2:3]
	s_and_saveexec_b64 s[2:3], s[40:41]
	s_xor_b64 s[2:3], exec, s[2:3]
	s_cbranch_execz .LBB78_403
	s_branch .LBB78_366
.LBB78_112:
	s_mov_b64 s[36:37], s[30:31]
	s_and_b64 vcc, exec, s[42:43]
	s_cbranch_vccnz .LBB78_164
.LBB78_113:
	s_andn2_b64 vcc, exec, s[40:41]
	s_cbranch_vccnz .LBB78_202
.LBB78_114:
	v_add_u32_e32 v20, 0x80, v20
	s_mov_b64 s[40:41], -1
	s_branch .LBB78_203
.LBB78_115:
	s_mov_b64 s[36:37], s[30:31]
	s_branch .LBB78_141
.LBB78_116:
	s_mov_b64 s[36:37], s[30:31]
	s_branch .LBB78_127
.LBB78_117:
	s_mov_b64 s[36:37], s[30:31]
	s_branch .LBB78_123
.LBB78_118:
	s_mov_b64 s[36:37], s[30:31]
.LBB78_119:
	s_and_b64 vcc, exec, s[42:43]
	s_cbranch_vccz .LBB78_122
; %bb.120:
	s_cmp_eq_u32 s45, 44
	s_mov_b64 s[36:37], -1
	s_cbranch_scc0 .LBB78_122
; %bb.121:
	v_mov_b32_e32 v22, 0xffff
	v_cndmask_b32_e64 v22, v19, v22, s[4:5]
	s_mov_b64 s[40:41], -1
	s_mov_b64 s[36:37], 0
	global_store_byte v[10:11], v22, off
.LBB78_122:
	s_mov_b64 s[42:43], 0
.LBB78_123:
	s_and_b64 vcc, exec, s[42:43]
	s_cbranch_vccz .LBB78_126
; %bb.124:
	s_cmp_eq_u32 s45, 29
	s_mov_b64 s[36:37], -1
	s_cbranch_scc0 .LBB78_126
; %bb.125:
	global_store_dwordx2 v[10:11], v[8:9], off
	s_mov_b64 s[40:41], -1
	s_mov_b64 s[36:37], 0
.LBB78_126:
	s_mov_b64 s[42:43], 0
.LBB78_127:
	s_and_b64 vcc, exec, s[42:43]
	s_cbranch_vccz .LBB78_140
; %bb.128:
	s_cmp_lt_i32 s45, 27
	s_mov_b64 s[40:41], -1
	s_cbranch_scc1 .LBB78_134
; %bb.129:
	s_cmp_gt_i32 s45, 27
	s_cbranch_scc0 .LBB78_131
; %bb.130:
	s_mov_b64 s[40:41], 0
	global_store_dword v[10:11], v8, off
.LBB78_131:
	s_andn2_b64 vcc, exec, s[40:41]
	s_cbranch_vccnz .LBB78_133
; %bb.132:
	global_store_short v[10:11], v18, off
.LBB78_133:
	s_mov_b64 s[40:41], 0
.LBB78_134:
	s_andn2_b64 vcc, exec, s[40:41]
	s_cbranch_vccnz .LBB78_139
; %bb.135:
	s_andn2_b64 vcc, exec, s[26:27]
	v_mov_b32_e32 v22, 0x80
	s_cbranch_vccnz .LBB78_138
; %bb.136:
	s_or_b64 s[40:41], s[2:3], s[28:29]
	s_andn2_b64 vcc, exec, s[40:41]
	v_mov_b32_e32 v22, 0
	s_cbranch_vccnz .LBB78_138
; %bb.137:
	v_mov_b32_e32 v22, s59
	v_cndmask_b32_e64 v22, v17, v22, s[2:3]
	v_or_b32_e32 v22, v22, v14
.LBB78_138:
	global_store_byte v[10:11], v22, off
.LBB78_139:
	s_mov_b64 s[40:41], -1
.LBB78_140:
	s_mov_b64 s[42:43], 0
.LBB78_141:
	s_and_b64 vcc, exec, s[42:43]
	s_cbranch_vccz .LBB78_163
; %bb.142:
	s_cmp_gt_i32 s45, 22
	s_mov_b64 s[42:43], -1
	s_cbranch_scc0 .LBB78_155
; %bb.143:
	s_cmp_lt_i32 s45, 24
	s_mov_b64 s[40:41], -1
	s_cbranch_scc1 .LBB78_152
; %bb.144:
	s_cmp_gt_i32 s45, 24
	s_cbranch_scc0 .LBB78_149
; %bb.145:
	s_andn2_b64 vcc, exec, s[22:23]
	v_mov_b32_e32 v22, 0x80
	s_cbranch_vccnz .LBB78_148
; %bb.146:
	s_or_b64 s[40:41], s[0:1], s[24:25]
	s_andn2_b64 vcc, exec, s[40:41]
	v_mov_b32_e32 v22, 0
	s_cbranch_vccnz .LBB78_148
; %bb.147:
	v_mov_b32_e32 v22, s57
	v_cndmask_b32_e64 v22, v16, v22, s[0:1]
	v_or_b32_e32 v22, v22, v14
.LBB78_148:
	s_mov_b64 s[40:41], 0
	global_store_byte v[10:11], v22, off
.LBB78_149:
	s_and_b64 vcc, exec, s[40:41]
	s_cbranch_vccz .LBB78_151
; %bb.150:
	s_and_b64 s[40:41], s[20:21], exec
	s_cselect_b32 s42, s56, s55
	s_and_b64 s[40:41], s[18:19], exec
	s_cselect_b32 s40, s58, s42
	v_or_b32_e32 v22, s40, v14
	global_store_byte v[10:11], v22, off
.LBB78_151:
	s_mov_b64 s[40:41], 0
.LBB78_152:
	s_andn2_b64 vcc, exec, s[40:41]
	s_cbranch_vccnz .LBB78_154
; %bb.153:
	s_and_b64 s[40:41], s[16:17], exec
	s_cselect_b32 s42, s53, s52
	s_and_b64 s[40:41], s[14:15], exec
	s_cselect_b32 s40, s54, s42
	v_or_b32_e32 v22, s40, v14
	global_store_byte v[10:11], v22, off
.LBB78_154:
	s_mov_b64 s[42:43], 0
	s_mov_b64 s[40:41], -1
.LBB78_155:
	s_andn2_b64 vcc, exec, s[42:43]
	s_cbranch_vccnz .LBB78_163
; %bb.156:
	s_cmp_gt_i32 s45, 14
	s_mov_b64 s[42:43], -1
	s_cbranch_scc0 .LBB78_160
; %bb.157:
	s_cmp_eq_u32 s45, 15
	s_mov_b64 s[36:37], -1
	s_cbranch_scc0 .LBB78_159
; %bb.158:
	global_store_short v[10:11], v15, off
	s_mov_b64 s[40:41], -1
	s_mov_b64 s[36:37], 0
.LBB78_159:
	s_mov_b64 s[42:43], 0
.LBB78_160:
	s_and_b64 vcc, exec, s[42:43]
	s_cbranch_vccz .LBB78_163
; %bb.161:
	s_cmp_eq_u32 s45, 11
	s_mov_b64 s[36:37], -1
	s_cbranch_scc0 .LBB78_163
; %bb.162:
	s_mov_b64 s[40:41], -1
	s_mov_b64 s[36:37], 0
	global_store_byte v[10:11], v13, off
.LBB78_163:
	s_branch .LBB78_113
.LBB78_164:
	s_and_b32 s42, 0xffff, s44
	s_cmp_lt_i32 s42, 5
	s_mov_b64 s[40:41], -1
	s_cbranch_scc1 .LBB78_185
; %bb.165:
	s_cmp_lt_i32 s42, 8
	s_cbranch_scc1 .LBB78_175
; %bb.166:
	s_cmp_lt_i32 s42, 9
	s_cbranch_scc1 .LBB78_172
; %bb.167:
	s_cmp_gt_i32 s42, 9
	s_cbranch_scc0 .LBB78_169
; %bb.168:
	s_mov_b64 s[40:41], 0
	global_store_dwordx4 v[10:11], v[0:3], off
.LBB78_169:
	s_andn2_b64 vcc, exec, s[40:41]
	s_cbranch_vccnz .LBB78_171
; %bb.170:
	global_store_dwordx2 v[10:11], v[6:7], off
.LBB78_171:
	s_mov_b64 s[40:41], 0
.LBB78_172:
	s_andn2_b64 vcc, exec, s[40:41]
	s_cbranch_vccnz .LBB78_174
; %bb.173:
	v_mov_b32_e32 v22, s11
	global_store_dword v[10:11], v22, off
.LBB78_174:
	s_mov_b64 s[40:41], 0
.LBB78_175:
	s_andn2_b64 vcc, exec, s[40:41]
	s_cbranch_vccnz .LBB78_184
; %bb.176:
	s_cmp_lt_i32 s42, 6
	s_mov_b64 s[40:41], -1
	s_cbranch_scc1 .LBB78_182
; %bb.177:
	s_cmp_gt_i32 s42, 6
	s_cbranch_scc0 .LBB78_179
; %bb.178:
	s_mov_b64 s[40:41], 0
	global_store_dwordx2 v[10:11], v[0:1], off
.LBB78_179:
	s_andn2_b64 vcc, exec, s[40:41]
	s_cbranch_vccnz .LBB78_181
; %bb.180:
	global_store_dword v[10:11], v6, off
.LBB78_181:
	s_mov_b64 s[40:41], 0
.LBB78_182:
	s_andn2_b64 vcc, exec, s[40:41]
	s_cbranch_vccnz .LBB78_184
; %bb.183:
	v_mov_b32_e32 v22, s11
	global_store_short v[10:11], v22, off
.LBB78_184:
	s_mov_b64 s[40:41], 0
.LBB78_185:
	s_andn2_b64 vcc, exec, s[40:41]
	s_cbranch_vccnz .LBB78_201
; %bb.186:
	s_cmp_lt_i32 s42, 2
	s_mov_b64 s[40:41], -1
	s_cbranch_scc1 .LBB78_196
; %bb.187:
	s_cmp_lt_i32 s42, 3
	s_cbranch_scc1 .LBB78_193
; %bb.188:
	s_cmp_gt_i32 s42, 3
	s_cbranch_scc0 .LBB78_190
; %bb.189:
	s_mov_b64 s[40:41], 0
	global_store_dwordx2 v[10:11], v[4:5], off
.LBB78_190:
	s_andn2_b64 vcc, exec, s[40:41]
	s_cbranch_vccnz .LBB78_192
; %bb.191:
	global_store_dword v[10:11], v4, off
.LBB78_192:
	s_mov_b64 s[40:41], 0
.LBB78_193:
	s_andn2_b64 vcc, exec, s[40:41]
	s_cbranch_vccnz .LBB78_195
; %bb.194:
	global_store_short v[10:11], v12, off
.LBB78_195:
	s_mov_b64 s[40:41], 0
.LBB78_196:
	s_andn2_b64 vcc, exec, s[40:41]
	s_cbranch_vccnz .LBB78_201
; %bb.197:
	s_cmp_gt_i32 s42, 0
	s_mov_b64 s[40:41], -1
	s_cbranch_scc0 .LBB78_199
; %bb.198:
	s_mov_b64 s[40:41], 0
	global_store_byte v[10:11], v12, off
.LBB78_199:
	s_andn2_b64 vcc, exec, s[40:41]
	s_cbranch_vccnz .LBB78_201
; %bb.200:
	global_store_byte v[10:11], v4, off
.LBB78_201:
	s_branch .LBB78_114
.LBB78_202:
	s_mov_b64 s[40:41], 0
                                        ; implicit-def: $vgpr20
.LBB78_203:
	s_andn2_b64 s[42:43], s[30:31], exec
	s_and_b64 s[36:37], s[36:37], exec
	s_or_b64 s[36:37], s[42:43], s[36:37]
	s_orn2_b64 s[42:43], s[40:41], exec
.LBB78_204:
	s_or_b64 exec, exec, s[38:39]
	s_mov_b64 s[44:45], 0
	s_mov_b64 s[40:41], 0
                                        ; implicit-def: $sgpr60
                                        ; implicit-def: $vgpr10_vgpr11
	s_and_saveexec_b64 s[38:39], s[42:43]
	s_cbranch_execz .LBB78_363
; %bb.205:
	v_cmp_gt_i32_e32 vcc, s48, v20
	s_mov_b64 s[46:47], -1
	s_mov_b64 s[42:43], s[36:37]
	s_and_saveexec_b64 s[40:41], vcc
	s_cbranch_execz .LBB78_306
; %bb.206:
	v_mul_lo_u32 v10, v20, s10
	v_mov_b32_e32 v11, s9
	s_and_b32 s49, s33, 0xff
	s_cmp_lt_i32 s49, 11
	v_ashrrev_i32_e32 v22, 31, v10
	v_add_co_u32_e32 v10, vcc, s8, v10
	v_addc_co_u32_e32 v11, vcc, v11, v22, vcc
	s_cbranch_scc1 .LBB78_213
; %bb.207:
	s_and_b32 s50, 0xffff, s49
	s_cmp_gt_i32 s50, 25
	s_cbranch_scc0 .LBB78_214
; %bb.208:
	s_cmp_gt_i32 s50, 28
	s_cbranch_scc0 .LBB78_215
; %bb.209:
	s_cmp_gt_i32 s50, 43
	s_cbranch_scc0 .LBB78_216
; %bb.210:
	s_cmp_gt_i32 s50, 45
	s_cbranch_scc0 .LBB78_217
; %bb.211:
	s_mov_b64 s[46:47], 0
	s_mov_b64 s[42:43], -1
	s_cmp_eq_u32 s50, 46
	s_cbranch_scc0 .LBB78_218
; %bb.212:
	global_store_dword v[10:11], v21, off
	s_mov_b64 s[44:45], -1
	s_mov_b64 s[42:43], 0
	s_branch .LBB78_218
.LBB78_213:
	s_mov_b64 s[42:43], s[36:37]
	s_branch .LBB78_263
.LBB78_214:
	s_mov_b64 s[42:43], s[36:37]
	s_branch .LBB78_240
.LBB78_215:
	s_mov_b64 s[42:43], s[36:37]
	s_branch .LBB78_226
.LBB78_216:
	s_mov_b64 s[42:43], s[36:37]
	s_branch .LBB78_222
.LBB78_217:
	s_mov_b64 s[42:43], s[36:37]
.LBB78_218:
	s_and_b64 vcc, exec, s[46:47]
	s_cbranch_vccz .LBB78_221
; %bb.219:
	s_cmp_eq_u32 s50, 44
	s_mov_b64 s[42:43], -1
	s_cbranch_scc0 .LBB78_221
; %bb.220:
	v_mov_b32_e32 v22, 0xffff
	v_cndmask_b32_e64 v22, v19, v22, s[4:5]
	s_mov_b64 s[44:45], -1
	s_mov_b64 s[42:43], 0
	global_store_byte v[10:11], v22, off
.LBB78_221:
	s_mov_b64 s[46:47], 0
.LBB78_222:
	s_and_b64 vcc, exec, s[46:47]
	s_cbranch_vccz .LBB78_225
; %bb.223:
	s_cmp_eq_u32 s50, 29
	s_mov_b64 s[42:43], -1
	s_cbranch_scc0 .LBB78_225
; %bb.224:
	global_store_dwordx2 v[10:11], v[8:9], off
	s_mov_b64 s[44:45], -1
	s_mov_b64 s[42:43], 0
.LBB78_225:
	s_mov_b64 s[46:47], 0
.LBB78_226:
	s_and_b64 vcc, exec, s[46:47]
	s_cbranch_vccz .LBB78_239
; %bb.227:
	s_cmp_lt_i32 s50, 27
	s_mov_b64 s[44:45], -1
	s_cbranch_scc1 .LBB78_233
; %bb.228:
	s_cmp_gt_i32 s50, 27
	s_cbranch_scc0 .LBB78_230
; %bb.229:
	s_mov_b64 s[44:45], 0
	global_store_dword v[10:11], v8, off
.LBB78_230:
	s_andn2_b64 vcc, exec, s[44:45]
	s_cbranch_vccnz .LBB78_232
; %bb.231:
	global_store_short v[10:11], v18, off
.LBB78_232:
	s_mov_b64 s[44:45], 0
.LBB78_233:
	s_andn2_b64 vcc, exec, s[44:45]
	s_cbranch_vccnz .LBB78_238
; %bb.234:
	s_andn2_b64 vcc, exec, s[26:27]
	v_mov_b32_e32 v22, 0x80
	s_cbranch_vccnz .LBB78_237
; %bb.235:
	s_or_b64 s[44:45], s[2:3], s[28:29]
	s_andn2_b64 vcc, exec, s[44:45]
	v_mov_b32_e32 v22, 0
	s_cbranch_vccnz .LBB78_237
; %bb.236:
	v_mov_b32_e32 v22, s59
	v_cndmask_b32_e64 v22, v17, v22, s[2:3]
	v_or_b32_e32 v22, v22, v14
.LBB78_237:
	global_store_byte v[10:11], v22, off
.LBB78_238:
	s_mov_b64 s[44:45], -1
.LBB78_239:
	s_mov_b64 s[46:47], 0
.LBB78_240:
	s_and_b64 vcc, exec, s[46:47]
	s_cbranch_vccz .LBB78_262
; %bb.241:
	s_cmp_gt_i32 s50, 22
	s_mov_b64 s[46:47], -1
	s_cbranch_scc0 .LBB78_254
; %bb.242:
	s_cmp_lt_i32 s50, 24
	s_mov_b64 s[44:45], -1
	s_cbranch_scc1 .LBB78_251
; %bb.243:
	s_cmp_gt_i32 s50, 24
	s_cbranch_scc0 .LBB78_248
; %bb.244:
	s_andn2_b64 vcc, exec, s[22:23]
	v_mov_b32_e32 v22, 0x80
	s_cbranch_vccnz .LBB78_247
; %bb.245:
	s_or_b64 s[44:45], s[0:1], s[24:25]
	s_andn2_b64 vcc, exec, s[44:45]
	v_mov_b32_e32 v22, 0
	s_cbranch_vccnz .LBB78_247
; %bb.246:
	v_mov_b32_e32 v22, s57
	v_cndmask_b32_e64 v22, v16, v22, s[0:1]
	v_or_b32_e32 v22, v22, v14
.LBB78_247:
	s_mov_b64 s[44:45], 0
	global_store_byte v[10:11], v22, off
.LBB78_248:
	s_and_b64 vcc, exec, s[44:45]
	s_cbranch_vccz .LBB78_250
; %bb.249:
	s_and_b64 s[44:45], s[20:21], exec
	s_cselect_b32 s46, s56, s55
	s_and_b64 s[44:45], s[18:19], exec
	s_cselect_b32 s44, s58, s46
	v_or_b32_e32 v22, s44, v14
	global_store_byte v[10:11], v22, off
.LBB78_250:
	s_mov_b64 s[44:45], 0
.LBB78_251:
	s_andn2_b64 vcc, exec, s[44:45]
	s_cbranch_vccnz .LBB78_253
; %bb.252:
	s_and_b64 s[44:45], s[16:17], exec
	s_cselect_b32 s46, s53, s52
	s_and_b64 s[44:45], s[14:15], exec
	s_cselect_b32 s44, s54, s46
	v_or_b32_e32 v22, s44, v14
	global_store_byte v[10:11], v22, off
.LBB78_253:
	s_mov_b64 s[46:47], 0
	s_mov_b64 s[44:45], -1
.LBB78_254:
	s_andn2_b64 vcc, exec, s[46:47]
	s_cbranch_vccnz .LBB78_262
; %bb.255:
	s_cmp_gt_i32 s50, 14
	s_mov_b64 s[46:47], -1
	s_cbranch_scc0 .LBB78_259
; %bb.256:
	s_cmp_eq_u32 s50, 15
	s_mov_b64 s[42:43], -1
	s_cbranch_scc0 .LBB78_258
; %bb.257:
	global_store_short v[10:11], v15, off
	s_mov_b64 s[44:45], -1
	s_mov_b64 s[42:43], 0
.LBB78_258:
	s_mov_b64 s[46:47], 0
.LBB78_259:
	s_and_b64 vcc, exec, s[46:47]
	s_cbranch_vccz .LBB78_262
; %bb.260:
	s_cmp_eq_u32 s50, 11
	s_mov_b64 s[42:43], -1
	s_cbranch_scc0 .LBB78_262
; %bb.261:
	s_mov_b64 s[44:45], -1
	s_mov_b64 s[42:43], 0
	global_store_byte v[10:11], v13, off
.LBB78_262:
	s_mov_b64 s[46:47], 0
.LBB78_263:
	s_and_b64 vcc, exec, s[46:47]
	s_cbranch_vccz .LBB78_302
; %bb.264:
	s_and_b32 s46, 0xffff, s49
	s_cmp_lt_i32 s46, 5
	s_mov_b64 s[44:45], -1
	s_cbranch_scc1 .LBB78_285
; %bb.265:
	s_cmp_lt_i32 s46, 8
	s_cbranch_scc1 .LBB78_275
; %bb.266:
	s_cmp_lt_i32 s46, 9
	s_cbranch_scc1 .LBB78_272
; %bb.267:
	s_cmp_gt_i32 s46, 9
	s_cbranch_scc0 .LBB78_269
; %bb.268:
	s_mov_b64 s[44:45], 0
	global_store_dwordx4 v[10:11], v[0:3], off
.LBB78_269:
	s_andn2_b64 vcc, exec, s[44:45]
	s_cbranch_vccnz .LBB78_271
; %bb.270:
	global_store_dwordx2 v[10:11], v[6:7], off
.LBB78_271:
	s_mov_b64 s[44:45], 0
.LBB78_272:
	s_andn2_b64 vcc, exec, s[44:45]
	s_cbranch_vccnz .LBB78_274
; %bb.273:
	v_mov_b32_e32 v22, s11
	global_store_dword v[10:11], v22, off
.LBB78_274:
	s_mov_b64 s[44:45], 0
.LBB78_275:
	s_andn2_b64 vcc, exec, s[44:45]
	s_cbranch_vccnz .LBB78_284
; %bb.276:
	s_cmp_lt_i32 s46, 6
	s_mov_b64 s[44:45], -1
	s_cbranch_scc1 .LBB78_282
; %bb.277:
	s_cmp_gt_i32 s46, 6
	s_cbranch_scc0 .LBB78_279
; %bb.278:
	s_mov_b64 s[44:45], 0
	global_store_dwordx2 v[10:11], v[0:1], off
.LBB78_279:
	s_andn2_b64 vcc, exec, s[44:45]
	s_cbranch_vccnz .LBB78_281
; %bb.280:
	global_store_dword v[10:11], v6, off
.LBB78_281:
	s_mov_b64 s[44:45], 0
.LBB78_282:
	s_andn2_b64 vcc, exec, s[44:45]
	s_cbranch_vccnz .LBB78_284
; %bb.283:
	v_mov_b32_e32 v22, s11
	global_store_short v[10:11], v22, off
.LBB78_284:
	s_mov_b64 s[44:45], 0
.LBB78_285:
	s_andn2_b64 vcc, exec, s[44:45]
	s_cbranch_vccnz .LBB78_301
; %bb.286:
	s_cmp_lt_i32 s46, 2
	s_mov_b64 s[44:45], -1
	s_cbranch_scc1 .LBB78_296
; %bb.287:
	s_cmp_lt_i32 s46, 3
	s_cbranch_scc1 .LBB78_293
; %bb.288:
	s_cmp_gt_i32 s46, 3
	s_cbranch_scc0 .LBB78_290
; %bb.289:
	s_mov_b64 s[44:45], 0
	global_store_dwordx2 v[10:11], v[4:5], off
.LBB78_290:
	s_andn2_b64 vcc, exec, s[44:45]
	s_cbranch_vccnz .LBB78_292
; %bb.291:
	global_store_dword v[10:11], v4, off
.LBB78_292:
	s_mov_b64 s[44:45], 0
.LBB78_293:
	s_andn2_b64 vcc, exec, s[44:45]
	s_cbranch_vccnz .LBB78_295
; %bb.294:
	global_store_short v[10:11], v12, off
.LBB78_295:
	s_mov_b64 s[44:45], 0
.LBB78_296:
	s_andn2_b64 vcc, exec, s[44:45]
	s_cbranch_vccnz .LBB78_301
; %bb.297:
	s_cmp_gt_i32 s46, 0
	s_mov_b64 s[44:45], -1
	s_cbranch_scc0 .LBB78_299
; %bb.298:
	s_mov_b64 s[44:45], 0
	global_store_byte v[10:11], v12, off
.LBB78_299:
	s_andn2_b64 vcc, exec, s[44:45]
	s_cbranch_vccnz .LBB78_301
; %bb.300:
	global_store_byte v[10:11], v4, off
.LBB78_301:
	s_mov_b64 s[44:45], -1
.LBB78_302:
	s_andn2_b64 vcc, exec, s[44:45]
	s_cbranch_vccnz .LBB78_304
; %bb.303:
	v_add_u32_e32 v20, 0x80, v20
	s_mov_b64 s[44:45], -1
	s_branch .LBB78_305
.LBB78_304:
	s_mov_b64 s[44:45], 0
                                        ; implicit-def: $vgpr20
.LBB78_305:
	s_andn2_b64 s[46:47], s[36:37], exec
	s_and_b64 s[42:43], s[42:43], exec
	s_or_b64 s[42:43], s[46:47], s[42:43]
	s_orn2_b64 s[46:47], s[44:45], exec
.LBB78_306:
	s_or_b64 exec, exec, s[40:41]
	s_mov_b64 s[44:45], 0
	s_mov_b64 s[50:51], 0
                                        ; implicit-def: $sgpr60
                                        ; implicit-def: $vgpr10_vgpr11
	s_and_saveexec_b64 s[40:41], s[46:47]
	s_cbranch_execz .LBB78_362
; %bb.307:
	v_cmp_gt_i32_e32 vcc, s48, v20
	s_mov_b64 s[48:49], 0
	s_mov_b64 s[46:47], s[42:43]
                                        ; implicit-def: $sgpr60
                                        ; implicit-def: $vgpr10_vgpr11
	s_and_saveexec_b64 s[44:45], vcc
	s_cbranch_execz .LBB78_361
; %bb.308:
	v_mul_lo_u32 v10, v20, s10
	v_mov_b32_e32 v11, s9
	s_and_b32 s60, s33, 0xff
	s_cmp_lt_i32 s60, 11
	v_ashrrev_i32_e32 v20, 31, v10
	v_add_co_u32_e32 v10, vcc, s8, v10
	v_addc_co_u32_e32 v11, vcc, v11, v20, vcc
	s_cbranch_scc1 .LBB78_358
; %bb.309:
	s_and_b32 s50, 0xffff, s60
	s_mov_b64 s[48:49], -1
	s_cmp_gt_i32 s50, 25
	s_mov_b64 s[46:47], s[42:43]
	s_cbranch_scc0 .LBB78_337
; %bb.310:
	s_cmp_gt_i32 s50, 28
	s_mov_b64 s[46:47], s[42:43]
	s_cbranch_scc0 .LBB78_324
; %bb.311:
	s_cmp_gt_i32 s50, 43
	s_mov_b64 s[46:47], s[42:43]
	s_cbranch_scc0 .LBB78_320
; %bb.312:
	s_cmp_gt_i32 s50, 45
	s_mov_b64 s[46:47], s[42:43]
	s_cbranch_scc0 .LBB78_316
; %bb.313:
	s_cmp_eq_u32 s50, 46
	s_mov_b64 s[46:47], -1
	s_cbranch_scc0 .LBB78_315
; %bb.314:
	global_store_dword v[10:11], v21, off
	s_mov_b64 s[46:47], 0
.LBB78_315:
	s_mov_b64 s[48:49], 0
.LBB78_316:
	s_and_b64 vcc, exec, s[48:49]
	s_cbranch_vccz .LBB78_319
; %bb.317:
	s_cmp_eq_u32 s50, 44
	s_mov_b64 s[46:47], -1
	s_cbranch_scc0 .LBB78_319
; %bb.318:
	v_mov_b32_e32 v20, 0xffff
	v_cndmask_b32_e64 v19, v19, v20, s[4:5]
	global_store_byte v[10:11], v19, off
	s_mov_b64 s[46:47], 0
.LBB78_319:
	s_mov_b64 s[48:49], 0
.LBB78_320:
	s_and_b64 vcc, exec, s[48:49]
	s_cbranch_vccz .LBB78_323
; %bb.321:
	s_cmp_eq_u32 s50, 29
	s_mov_b64 s[46:47], -1
	s_cbranch_scc0 .LBB78_323
; %bb.322:
	global_store_dwordx2 v[10:11], v[8:9], off
	s_mov_b64 s[46:47], 0
.LBB78_323:
	s_mov_b64 s[48:49], 0
.LBB78_324:
	s_and_b64 vcc, exec, s[48:49]
	s_cbranch_vccz .LBB78_336
; %bb.325:
	s_cmp_lt_i32 s50, 27
	s_mov_b64 s[4:5], -1
	s_cbranch_scc1 .LBB78_331
; %bb.326:
	s_cmp_gt_i32 s50, 27
	s_cbranch_scc0 .LBB78_328
; %bb.327:
	s_mov_b64 s[4:5], 0
	global_store_dword v[10:11], v8, off
.LBB78_328:
	s_andn2_b64 vcc, exec, s[4:5]
	s_cbranch_vccnz .LBB78_330
; %bb.329:
	global_store_short v[10:11], v18, off
.LBB78_330:
	s_mov_b64 s[4:5], 0
.LBB78_331:
	s_andn2_b64 vcc, exec, s[4:5]
	s_cbranch_vccnz .LBB78_336
; %bb.332:
	s_andn2_b64 vcc, exec, s[26:27]
	v_mov_b32_e32 v8, 0x80
	s_cbranch_vccnz .LBB78_335
; %bb.333:
	s_or_b64 s[4:5], s[2:3], s[28:29]
	s_andn2_b64 vcc, exec, s[4:5]
	v_mov_b32_e32 v8, 0
	s_cbranch_vccnz .LBB78_335
; %bb.334:
	v_mov_b32_e32 v8, s59
	v_cndmask_b32_e64 v8, v17, v8, s[2:3]
	v_or_b32_e32 v8, v8, v14
.LBB78_335:
	global_store_byte v[10:11], v8, off
.LBB78_336:
	s_mov_b64 s[48:49], 0
.LBB78_337:
	s_mov_b64 s[2:3], 0
	s_and_b64 vcc, exec, s[48:49]
	s_cbranch_vccz .LBB78_359
; %bb.338:
	s_cmp_gt_i32 s50, 22
	s_mov_b64 s[4:5], -1
	s_cbranch_scc0 .LBB78_351
; %bb.339:
	s_cmp_lt_i32 s50, 24
	s_cbranch_scc1 .LBB78_348
; %bb.340:
	s_cmp_gt_i32 s50, 24
	s_cbranch_scc0 .LBB78_345
; %bb.341:
	s_andn2_b64 vcc, exec, s[22:23]
	v_mov_b32_e32 v8, 0x80
	s_cbranch_vccnz .LBB78_344
; %bb.342:
	s_or_b64 s[4:5], s[0:1], s[24:25]
	s_andn2_b64 vcc, exec, s[4:5]
	v_mov_b32_e32 v8, 0
	s_cbranch_vccnz .LBB78_344
; %bb.343:
	v_mov_b32_e32 v8, s57
	v_cndmask_b32_e64 v8, v16, v8, s[0:1]
	v_or_b32_e32 v8, v8, v14
.LBB78_344:
	s_mov_b64 s[4:5], 0
	global_store_byte v[10:11], v8, off
.LBB78_345:
	s_and_b64 vcc, exec, s[4:5]
	s_cbranch_vccz .LBB78_347
; %bb.346:
	s_and_b64 s[0:1], s[20:21], exec
	s_cselect_b32 s4, s56, s55
	s_and_b64 s[0:1], s[18:19], exec
	s_cselect_b32 s0, s58, s4
	v_or_b32_e32 v8, s0, v14
	global_store_byte v[10:11], v8, off
.LBB78_347:
	s_mov_b64 s[4:5], 0
.LBB78_348:
	s_andn2_b64 vcc, exec, s[4:5]
	s_cbranch_vccnz .LBB78_350
; %bb.349:
	s_and_b64 s[0:1], s[16:17], exec
	s_cselect_b32 s4, s53, s52
	s_and_b64 s[0:1], s[14:15], exec
	s_cselect_b32 s0, s54, s4
	v_or_b32_e32 v8, s0, v14
	global_store_byte v[10:11], v8, off
.LBB78_350:
	s_mov_b64 s[4:5], 0
.LBB78_351:
	s_andn2_b64 vcc, exec, s[4:5]
	s_mov_b64 s[0:1], 0
	s_cbranch_vccnz .LBB78_360
; %bb.352:
	s_cmp_gt_i32 s50, 14
	s_mov_b64 s[4:5], -1
	s_cbranch_scc0 .LBB78_356
; %bb.353:
	s_cmp_eq_u32 s50, 15
	s_mov_b64 s[46:47], -1
	s_cbranch_scc0 .LBB78_355
; %bb.354:
	global_store_short v[10:11], v15, off
	s_mov_b64 s[46:47], 0
.LBB78_355:
	s_mov_b64 s[4:5], 0
.LBB78_356:
	s_and_b64 vcc, exec, s[4:5]
	s_cbranch_vccz .LBB78_360
; %bb.357:
	s_cmp_lg_u32 s50, 11
	s_cselect_b64 s[4:5], -1, 0
	s_andn2_b64 s[14:15], s[46:47], exec
	s_and_b64 s[4:5], s[4:5], exec
	s_mov_b64 s[0:1], -1
	s_or_b64 s[46:47], s[14:15], s[4:5]
	s_branch .LBB78_360
.LBB78_358:
	s_mov_b64 s[0:1], 0
	s_mov_b64 s[2:3], -1
	s_mov_b64 s[46:47], s[42:43]
	s_branch .LBB78_360
.LBB78_359:
	s_mov_b64 s[0:1], 0
.LBB78_360:
	s_and_b64 s[50:51], s[2:3], exec
	s_and_b64 s[48:49], s[0:1], exec
	s_andn2_b64 s[0:1], s[42:43], exec
	s_and_b64 s[2:3], s[46:47], exec
	s_or_b64 s[46:47], s[0:1], s[2:3]
.LBB78_361:
	s_or_b64 exec, exec, s[44:45]
	s_andn2_b64 s[0:1], s[42:43], exec
	s_and_b64 s[2:3], s[46:47], exec
	s_and_b64 s[50:51], s[50:51], exec
	;; [unrolled: 1-line block ×3, first 2 shown]
	s_or_b64 s[42:43], s[0:1], s[2:3]
.LBB78_362:
	s_or_b64 exec, exec, s[40:41]
	s_andn2_b64 s[0:1], s[36:37], exec
	s_and_b64 s[2:3], s[42:43], exec
	s_and_b64 s[40:41], s[50:51], exec
	;; [unrolled: 1-line block ×3, first 2 shown]
	s_or_b64 s[36:37], s[0:1], s[2:3]
.LBB78_363:
	s_or_b64 exec, exec, s[38:39]
	s_andn2_b64 s[0:1], s[30:31], exec
	s_and_b64 s[2:3], s[36:37], exec
	s_and_b64 s[40:41], s[40:41], exec
	;; [unrolled: 1-line block ×3, first 2 shown]
	s_or_b64 s[30:31], s[0:1], s[2:3]
	s_or_b64 exec, exec, s[34:35]
	s_mov_b64 s[0:1], 0
	s_and_saveexec_b64 s[2:3], s[30:31]
	s_cbranch_execz .LBB78_110
.LBB78_364:
	s_mov_b64 s[0:1], exec
	s_andn2_b64 s[38:39], s[38:39], exec
	s_trap 2
	s_or_b64 exec, exec, s[2:3]
	s_and_saveexec_b64 s[2:3], s[38:39]
	s_xor_b64 s[2:3], exec, s[2:3]
	s_cbranch_execnz .LBB78_111
.LBB78_365:
	s_or_b64 exec, exec, s[2:3]
	s_and_saveexec_b64 s[2:3], s[40:41]
	s_xor_b64 s[2:3], exec, s[2:3]
	s_cbranch_execz .LBB78_403
.LBB78_366:
	s_sext_i32_i16 s14, s60
	s_cmp_lt_i32 s14, 5
	s_mov_b64 s[4:5], -1
	s_cbranch_scc1 .LBB78_387
; %bb.367:
	s_cmp_lt_i32 s14, 8
	s_cbranch_scc1 .LBB78_377
; %bb.368:
	s_cmp_lt_i32 s14, 9
	s_cbranch_scc1 .LBB78_374
; %bb.369:
	s_cmp_gt_i32 s14, 9
	s_cbranch_scc0 .LBB78_371
; %bb.370:
	s_mov_b64 s[4:5], 0
	global_store_dwordx4 v[10:11], v[0:3], off
.LBB78_371:
	s_andn2_b64 vcc, exec, s[4:5]
	s_cbranch_vccnz .LBB78_373
; %bb.372:
	global_store_dwordx2 v[10:11], v[6:7], off
.LBB78_373:
	s_mov_b64 s[4:5], 0
.LBB78_374:
	s_andn2_b64 vcc, exec, s[4:5]
	s_cbranch_vccnz .LBB78_376
; %bb.375:
	v_mov_b32_e32 v2, s11
	global_store_dword v[10:11], v2, off
.LBB78_376:
	s_mov_b64 s[4:5], 0
.LBB78_377:
	s_andn2_b64 vcc, exec, s[4:5]
	s_cbranch_vccnz .LBB78_386
; %bb.378:
	s_sext_i32_i16 s14, s60
	s_cmp_lt_i32 s14, 6
	s_mov_b64 s[4:5], -1
	s_cbranch_scc1 .LBB78_384
; %bb.379:
	s_cmp_gt_i32 s14, 6
	s_cbranch_scc0 .LBB78_381
; %bb.380:
	s_mov_b64 s[4:5], 0
	global_store_dwordx2 v[10:11], v[0:1], off
.LBB78_381:
	s_andn2_b64 vcc, exec, s[4:5]
	s_cbranch_vccnz .LBB78_383
; %bb.382:
	global_store_dword v[10:11], v6, off
.LBB78_383:
	s_mov_b64 s[4:5], 0
.LBB78_384:
	s_andn2_b64 vcc, exec, s[4:5]
	s_cbranch_vccnz .LBB78_386
; %bb.385:
	v_mov_b32_e32 v0, s11
	global_store_short v[10:11], v0, off
.LBB78_386:
	s_mov_b64 s[4:5], 0
.LBB78_387:
	s_andn2_b64 vcc, exec, s[4:5]
	s_cbranch_vccnz .LBB78_403
; %bb.388:
	s_sext_i32_i16 s14, s60
	s_cmp_lt_i32 s14, 2
	s_mov_b64 s[4:5], -1
	s_cbranch_scc1 .LBB78_398
; %bb.389:
	s_cmp_lt_i32 s14, 3
	s_cbranch_scc1 .LBB78_395
; %bb.390:
	s_cmp_gt_i32 s14, 3
	s_cbranch_scc0 .LBB78_392
; %bb.391:
	s_mov_b64 s[4:5], 0
	global_store_dwordx2 v[10:11], v[4:5], off
.LBB78_392:
	s_andn2_b64 vcc, exec, s[4:5]
	s_cbranch_vccnz .LBB78_394
; %bb.393:
	global_store_dword v[10:11], v4, off
.LBB78_394:
	s_mov_b64 s[4:5], 0
.LBB78_395:
	s_andn2_b64 vcc, exec, s[4:5]
	s_cbranch_vccnz .LBB78_397
; %bb.396:
	global_store_short v[10:11], v12, off
.LBB78_397:
	s_mov_b64 s[4:5], 0
.LBB78_398:
	s_andn2_b64 vcc, exec, s[4:5]
	s_cbranch_vccnz .LBB78_403
; %bb.399:
	s_sext_i32_i16 s4, s60
	s_cmp_gt_i32 s4, 0
	s_mov_b64 s[4:5], -1
	s_cbranch_scc0 .LBB78_401
; %bb.400:
	s_mov_b64 s[4:5], 0
	global_store_byte v[10:11], v12, off
.LBB78_401:
	s_andn2_b64 vcc, exec, s[4:5]
	s_cbranch_vccnz .LBB78_403
; %bb.402:
	global_store_byte v[10:11], v4, off
.LBB78_403:
	s_or_b64 exec, exec, s[2:3]
	s_and_b64 s[0:1], s[0:1], exec
                                        ; implicit-def: $vgpr20
.LBB78_404:
	s_or_saveexec_b64 s[2:3], s[12:13]
	s_mov_b64 s[12:13], 0
                                        ; implicit-def: $sgpr18
                                        ; implicit-def: $vgpr0_vgpr1
	s_xor_b64 exec, exec, s[2:3]
	s_cbranch_execz .LBB78_433
; %bb.405:
	v_mul_lo_u32 v2, s10, v20
	v_mov_b32_e32 v1, s9
	s_and_b32 s18, s33, 0xff
	s_cmp_lt_i32 s18, 11
	v_ashrrev_i32_e32 v3, 31, v2
	v_add_co_u32_e32 v0, vcc, s8, v2
	v_addc_co_u32_e32 v1, vcc, v1, v3, vcc
	s_cbranch_scc1 .LBB78_436
; %bb.406:
	s_and_b32 s16, 0xffff, s18
	s_mov_b64 s[14:15], -1
	s_cmp_gt_i32 s16, 25
	s_mov_b64 s[4:5], 0
	s_cbranch_scc0 .LBB78_446
; %bb.407:
	s_cmp_gt_i32 s16, 28
	s_cbranch_scc0 .LBB78_422
; %bb.408:
	s_cmp_gt_i32 s16, 43
	;; [unrolled: 3-line block ×3, first 2 shown]
	s_cbranch_scc0 .LBB78_412
; %bb.410:
	s_mov_b64 s[4:5], -1
	s_mov_b64 s[14:15], 0
	s_cmp_eq_u32 s16, 46
	s_cbranch_scc0 .LBB78_412
; %bb.411:
	v_cvt_f32_f16_e32 v3, s11
	s_lshr_b32 s4, s11, 16
	v_cvt_f32_f16_e32 v4, s4
	v_cmp_o_f16_e64 vcc, s4, s4
	v_bfe_u32 v5, v3, 16, 1
	v_add_u32_e32 v3, v3, v5
	v_bfe_u32 v5, v4, 16, 1
	v_add_u32_e32 v4, v4, v5
	v_add_u32_e32 v4, 0x7fff, v4
	v_and_b32_e32 v4, 0xffff0000, v4
	v_mov_b32_e32 v5, 0x7fc00000
	v_add_u32_e32 v3, 0x7fff, v3
	v_cndmask_b32_e32 v4, v5, v4, vcc
	v_cmp_o_f16_e64 vcc, s11, s11
	v_mov_b32_e32 v5, 0x7fc0
	v_cndmask_b32_sdwa v3, v5, v3, vcc dst_sel:DWORD dst_unused:UNUSED_PAD src0_sel:DWORD src1_sel:WORD_1
	v_or_b32_e32 v3, v4, v3
	global_store_dword v[0:1], v3, off
	s_mov_b64 s[4:5], 0
	s_mov_b64 s[12:13], -1
.LBB78_412:
	s_and_b64 vcc, exec, s[14:15]
	s_cbranch_vccz .LBB78_417
; %bb.413:
	s_cmp_eq_u32 s16, 44
	s_mov_b64 s[4:5], -1
	s_cbranch_scc0 .LBB78_417
; %bb.414:
	v_cvt_f32_f16_e32 v3, s11
	v_mov_b32_e32 v4, 0xff
	v_readfirstlane_b32 s4, v3
	s_bfe_u32 s5, s4, 0x80017
	s_cmpk_eq_i32 s5, 0xff
	s_cbranch_scc1 .LBB78_416
; %bb.415:
	s_bitcmp1_b32 s4, 22
	s_cselect_b64 s[12:13], -1, 0
	s_and_b32 s4, s4, 0x3fffff
	s_or_b32 s4, s5, s4
	s_cmp_lg_u32 s4, 0
	s_cselect_b64 s[4:5], -1, 0
	s_and_b64 s[4:5], s[12:13], s[4:5]
	v_lshrrev_b32_e32 v3, 23, v3
	v_cndmask_b32_e64 v4, 0, 1, s[4:5]
	v_add_u32_e32 v4, v3, v4
.LBB78_416:
	s_mov_b64 s[4:5], 0
	s_mov_b64 s[12:13], -1
	global_store_byte v[0:1], v4, off
.LBB78_417:
	s_mov_b64 s[14:15], 0
.LBB78_418:
	s_and_b64 vcc, exec, s[14:15]
	s_cbranch_vccz .LBB78_421
; %bb.419:
	s_cmp_eq_u32 s16, 29
	s_mov_b64 s[4:5], -1
	s_cbranch_scc0 .LBB78_421
; %bb.420:
	v_cvt_f32_f16_e32 v3, s11
	v_mov_b32_e32 v4, 0
	s_mov_b64 s[4:5], 0
	s_mov_b64 s[12:13], -1
	v_cvt_u32_f32_e32 v3, v3
	global_store_dwordx2 v[0:1], v[3:4], off
.LBB78_421:
	s_mov_b64 s[14:15], 0
.LBB78_422:
	s_and_b64 vcc, exec, s[14:15]
	s_cbranch_vccz .LBB78_445
; %bb.423:
	s_cmp_lt_i32 s16, 27
	s_mov_b64 s[12:13], -1
	s_cbranch_scc1 .LBB78_429
; %bb.424:
	s_cmp_gt_i32 s16, 27
	s_cbranch_scc0 .LBB78_426
; %bb.425:
	v_cvt_f32_f16_e32 v3, s11
	s_mov_b64 s[12:13], 0
	v_cvt_u32_f32_e32 v3, v3
	global_store_dword v[0:1], v3, off
.LBB78_426:
	s_andn2_b64 vcc, exec, s[12:13]
	s_cbranch_vccnz .LBB78_428
; %bb.427:
	v_cvt_u16_f16_e32 v3, s11
	global_store_short v[0:1], v3, off
.LBB78_428:
	s_mov_b64 s[12:13], 0
.LBB78_429:
	s_andn2_b64 vcc, exec, s[12:13]
	s_cbranch_vccnz .LBB78_444
; %bb.430:
	v_cvt_f32_f16_e32 v3, s11
	v_mov_b32_e32 v4, 0x80
	v_readfirstlane_b32 s17, v3
	s_and_b32 s12, s17, 0x7fffffff
	s_cmp_gt_u32 s12, 0x437fffff
	s_cbranch_scc1 .LBB78_443
; %bb.431:
	s_cmp_gt_u32 s12, 0x3bffffff
	s_cbranch_scc0 .LBB78_438
; %bb.432:
	s_bfe_u32 s12, s17, 0x10014
	s_add_i32 s12, s17, s12
	s_add_i32 s12, s12, 0x487ffff
	s_lshr_b32 s19, s12, 20
	s_mov_b64 s[14:15], 0
	s_mov_b64 s[12:13], -1
	s_branch .LBB78_439
.LBB78_433:
	s_or_b64 exec, exec, s[2:3]
	s_and_saveexec_b64 s[2:3], s[0:1]
	s_cbranch_execz .LBB78_834
.LBB78_434:
	; divergent unreachable
	s_or_b64 exec, exec, s[2:3]
	s_and_saveexec_b64 s[0:1], s[6:7]
	s_xor_b64 s[0:1], exec, s[0:1]
	s_cbranch_execnz .LBB78_835
.LBB78_435:
	s_or_b64 exec, exec, s[0:1]
	s_and_saveexec_b64 s[0:1], s[12:13]
	s_cbranch_execnz .LBB78_836
	s_branch .LBB78_873
.LBB78_436:
	s_mov_b64 s[4:5], s[0:1]
	s_cbranch_execnz .LBB78_496
.LBB78_437:
	s_andn2_b64 vcc, exec, s[12:13]
	s_cbranch_vccz .LBB78_534
	s_branch .LBB78_832
.LBB78_438:
	s_mov_b64 s[14:15], -1
	s_mov_b64 s[12:13], 0
                                        ; implicit-def: $sgpr19
.LBB78_439:
	s_andn2_b64 vcc, exec, s[14:15]
	v_mov_b32_e32 v3, s19
	s_cbranch_vccnz .LBB78_441
; %bb.440:
	v_mov_b32_e32 v3, 0x46000000
	v_add_f32_e64 v3, |s17|, v3
	v_and_b32_e32 v3, 0xff, v3
	v_cmp_ne_u32_e64 s[12:13], 0, v3
.LBB78_441:
	s_andn2_b64 vcc, exec, s[12:13]
	v_mov_b32_e32 v4, 0
	s_cbranch_vccnz .LBB78_443
; %bb.442:
	s_lshr_b32 s12, s17, 24
	s_and_b32 s12, s12, 0x80
	v_or_b32_e32 v4, s12, v3
.LBB78_443:
	global_store_byte v[0:1], v4, off
.LBB78_444:
	s_mov_b64 s[12:13], -1
.LBB78_445:
	s_mov_b64 s[14:15], 0
.LBB78_446:
	s_and_b64 vcc, exec, s[14:15]
	s_cbranch_vccz .LBB78_492
; %bb.447:
	s_cmp_gt_i32 s16, 22
	s_mov_b64 s[6:7], -1
	s_cbranch_scc0 .LBB78_485
; %bb.448:
	s_cmp_lt_i32 s16, 24
	s_cbranch_scc1 .LBB78_472
; %bb.449:
	s_cmp_gt_i32 s16, 24
	s_cbranch_scc0 .LBB78_459
; %bb.450:
	v_cvt_f32_f16_e32 v3, s11
	v_mov_b32_e32 v4, 0x80
	v_readfirstlane_b32 s14, v3
	s_and_b32 s6, s14, 0x7fffffff
	s_cmp_gt_u32 s6, 0x477fffff
	s_cbranch_scc1 .LBB78_458
; %bb.451:
	s_cmp_gt_u32 s6, 0x37ffffff
	s_cbranch_scc0 .LBB78_453
; %bb.452:
	s_bfe_u32 s6, s14, 0x10015
	s_add_i32 s6, s14, s6
	s_add_i32 s6, s6, 0x88fffff
	s_lshr_b32 s15, s6, 21
	s_mov_b64 s[12:13], 0
	s_mov_b64 s[6:7], -1
	s_branch .LBB78_454
.LBB78_453:
	s_mov_b64 s[12:13], -1
	s_mov_b64 s[6:7], 0
                                        ; implicit-def: $sgpr15
.LBB78_454:
	s_andn2_b64 vcc, exec, s[12:13]
	v_mov_b32_e32 v3, s15
	s_cbranch_vccnz .LBB78_456
; %bb.455:
	v_mov_b32_e32 v3, 0x42800000
	v_add_f32_e64 v3, |s14|, v3
	v_and_b32_e32 v3, 0xff, v3
	v_cmp_ne_u32_e64 s[6:7], 0, v3
.LBB78_456:
	s_andn2_b64 vcc, exec, s[6:7]
	v_mov_b32_e32 v4, 0
	s_cbranch_vccnz .LBB78_458
; %bb.457:
	s_lshr_b32 s6, s14, 24
	s_and_b32 s6, s6, 0x80
	v_or_b32_e32 v4, s6, v3
.LBB78_458:
	s_mov_b64 s[6:7], 0
	global_store_byte v[0:1], v4, off
.LBB78_459:
	s_and_b64 vcc, exec, s[6:7]
	s_cbranch_vccz .LBB78_471
; %bb.460:
	v_cvt_f32_f16_e32 v3, s11
	v_readfirstlane_b32 s12, v3
	s_and_b32 s13, s12, 0x7fffffff
	s_cmp_lt_u32 s13, 0x43f00000
	s_cbranch_scc0 .LBB78_463
; %bb.461:
	s_cmp_gt_u32 s13, 0x3c7fffff
	s_cbranch_scc0 .LBB78_464
; %bb.462:
	s_bfe_u32 s6, s12, 0x10014
	s_add_i32 s6, s12, s6
	s_add_i32 s6, s6, 0x407ffff
	s_lshr_b32 s7, s6, 20
	s_and_b32 s6, s6, 0xff00000
	s_cmp_lg_u32 s6, 0x7f00000
	s_cselect_b32 s14, s7, 0x7e
	s_mov_b64 s[6:7], 0
	s_branch .LBB78_465
.LBB78_463:
	s_mov_b64 s[6:7], -1
                                        ; implicit-def: $vgpr4
	s_branch .LBB78_468
.LBB78_464:
	s_mov_b64 s[6:7], -1
                                        ; implicit-def: $sgpr14
.LBB78_465:
	s_andn2_b64 vcc, exec, s[6:7]
	v_mov_b32_e32 v4, s14
	s_cbranch_vccnz .LBB78_467
; %bb.466:
	s_mov_b32 s6, 0x46800000
	v_add_f32_e64 v4, |v3|, s6
.LBB78_467:
	s_mov_b64 s[6:7], 0
.LBB78_468:
	s_andn2_b64 vcc, exec, s[6:7]
	s_cbranch_vccnz .LBB78_470
; %bb.469:
	s_cmp_gt_u32 s13, 0x7f800000
	s_movk_i32 s6, 0x7f
	s_cselect_b32 s6, s6, 0x7e
	v_mov_b32_e32 v4, s6
.LBB78_470:
	s_lshr_b32 s6, s12, 24
	s_and_b32 s6, s6, 0x80
	v_or_b32_e32 v3, s6, v4
	global_store_byte v[0:1], v3, off
.LBB78_471:
	s_mov_b64 s[6:7], 0
.LBB78_472:
	s_andn2_b64 vcc, exec, s[6:7]
	s_cbranch_vccnz .LBB78_484
; %bb.473:
	v_cvt_f32_f16_e32 v3, s11
	v_readfirstlane_b32 s12, v3
	s_and_b32 s13, s12, 0x7fffffff
	s_cmp_lt_u32 s13, 0x47800000
	s_cbranch_scc0 .LBB78_476
; %bb.474:
	s_cmp_gt_u32 s13, 0x387fffff
	s_cbranch_scc0 .LBB78_477
; %bb.475:
	s_bfe_u32 s6, s12, 0x10015
	s_add_i32 s6, s12, s6
	s_add_i32 s6, s6, 0x80fffff
	s_lshr_b32 s14, s6, 21
	s_mov_b64 s[6:7], 0
	s_branch .LBB78_478
.LBB78_476:
	s_mov_b64 s[6:7], -1
                                        ; implicit-def: $vgpr4
	s_branch .LBB78_481
.LBB78_477:
	s_mov_b64 s[6:7], -1
                                        ; implicit-def: $sgpr14
.LBB78_478:
	s_andn2_b64 vcc, exec, s[6:7]
	v_mov_b32_e32 v4, s14
	s_cbranch_vccnz .LBB78_480
; %bb.479:
	s_mov_b32 s6, 0x43000000
	v_add_f32_e64 v4, |v3|, s6
.LBB78_480:
	s_mov_b64 s[6:7], 0
.LBB78_481:
	s_andn2_b64 vcc, exec, s[6:7]
	s_cbranch_vccnz .LBB78_483
; %bb.482:
	s_cmp_gt_u32 s13, 0x7f800000
	s_movk_i32 s6, 0x7f
	s_cselect_b32 s6, s6, 0x7c
	v_mov_b32_e32 v4, s6
.LBB78_483:
	s_lshr_b32 s6, s12, 24
	s_and_b32 s6, s6, 0x80
	v_or_b32_e32 v3, s6, v4
	global_store_byte v[0:1], v3, off
.LBB78_484:
	s_mov_b64 s[6:7], 0
	s_mov_b64 s[12:13], -1
.LBB78_485:
	s_andn2_b64 vcc, exec, s[6:7]
	s_mov_b64 s[6:7], 0
	s_cbranch_vccnz .LBB78_492
; %bb.486:
	s_cmp_gt_i32 s16, 14
	s_mov_b64 s[14:15], -1
	s_cbranch_scc0 .LBB78_490
; %bb.487:
	s_cmp_eq_u32 s16, 15
	s_mov_b64 s[4:5], -1
	s_cbranch_scc0 .LBB78_489
; %bb.488:
	v_cvt_f32_f16_e32 v3, s11
	v_cmp_o_f16_e64 vcc, s11, s11
	v_mov_b32_e32 v4, 0x7fc0
	s_mov_b64 s[4:5], 0
	v_bfe_u32 v5, v3, 16, 1
	v_add_u32_e32 v3, v3, v5
	v_add_u32_e32 v3, 0x7fff, v3
	v_cndmask_b32_sdwa v3, v4, v3, vcc dst_sel:DWORD dst_unused:UNUSED_PAD src0_sel:DWORD src1_sel:WORD_1
	global_store_short v[0:1], v3, off
	s_mov_b64 s[12:13], -1
.LBB78_489:
	s_mov_b64 s[14:15], 0
.LBB78_490:
	s_and_b64 vcc, exec, s[14:15]
	s_cbranch_vccz .LBB78_492
; %bb.491:
	s_cmp_lg_u32 s16, 11
	s_mov_b64 s[6:7], -1
	s_cselect_b64 s[4:5], -1, 0
.LBB78_492:
	s_and_b64 vcc, exec, s[4:5]
	s_mov_b64 s[4:5], s[0:1]
	s_cbranch_vccnz .LBB78_564
; %bb.493:
	s_andn2_b64 vcc, exec, s[6:7]
	s_cbranch_vccnz .LBB78_495
.LBB78_494:
	s_and_b32 s6, s11, 0x7fff7fff
	s_cmp_lg_u32 s6, 0
	s_cselect_b64 s[6:7], -1, 0
	v_cndmask_b32_e64 v3, 0, 1, s[6:7]
	s_mov_b64 s[12:13], -1
	global_store_byte v[0:1], v3, off
.LBB78_495:
	s_branch .LBB78_437
.LBB78_496:
	s_and_b32 s12, 0xffff, s18
	s_cmp_lt_i32 s12, 5
	s_mov_b64 s[6:7], -1
	s_cbranch_scc1 .LBB78_517
; %bb.497:
	s_cmp_lt_i32 s12, 8
	s_cbranch_scc1 .LBB78_507
; %bb.498:
	s_cmp_lt_i32 s12, 9
	s_cbranch_scc1 .LBB78_504
; %bb.499:
	s_cmp_gt_i32 s12, 9
	s_cbranch_scc0 .LBB78_501
; %bb.500:
	s_lshr_b32 s6, s11, 16
	v_cvt_f32_f16_e32 v3, s11
	v_cvt_f32_f16_e32 v5, s6
	s_mov_b64 s[6:7], 0
	v_cvt_f64_f32_e32 v[3:4], v3
	v_cvt_f64_f32_e32 v[5:6], v5
	global_store_dwordx4 v[0:1], v[3:6], off
.LBB78_501:
	s_andn2_b64 vcc, exec, s[6:7]
	s_cbranch_vccnz .LBB78_503
; %bb.502:
	s_lshr_b32 s6, s11, 16
	v_cvt_f32_f16_e32 v3, s11
	v_cvt_f32_f16_e32 v4, s6
	global_store_dwordx2 v[0:1], v[3:4], off
.LBB78_503:
	s_mov_b64 s[6:7], 0
.LBB78_504:
	s_andn2_b64 vcc, exec, s[6:7]
	s_cbranch_vccnz .LBB78_506
; %bb.505:
	v_mov_b32_e32 v3, s11
	global_store_dword v[0:1], v3, off
.LBB78_506:
	s_mov_b64 s[6:7], 0
.LBB78_507:
	s_andn2_b64 vcc, exec, s[6:7]
	s_cbranch_vccnz .LBB78_516
; %bb.508:
	s_cmp_lt_i32 s12, 6
	s_mov_b64 s[6:7], -1
	s_cbranch_scc1 .LBB78_514
; %bb.509:
	s_cmp_gt_i32 s12, 6
	s_cbranch_scc0 .LBB78_511
; %bb.510:
	v_cvt_f32_f16_e32 v3, s11
	s_mov_b64 s[6:7], 0
	v_cvt_f64_f32_e32 v[3:4], v3
	global_store_dwordx2 v[0:1], v[3:4], off
.LBB78_511:
	s_andn2_b64 vcc, exec, s[6:7]
	s_cbranch_vccnz .LBB78_513
; %bb.512:
	v_cvt_f32_f16_e32 v3, s11
	global_store_dword v[0:1], v3, off
.LBB78_513:
	s_mov_b64 s[6:7], 0
.LBB78_514:
	s_andn2_b64 vcc, exec, s[6:7]
	s_cbranch_vccnz .LBB78_516
; %bb.515:
	v_mov_b32_e32 v3, s11
	global_store_short v[0:1], v3, off
.LBB78_516:
	s_mov_b64 s[6:7], 0
.LBB78_517:
	s_andn2_b64 vcc, exec, s[6:7]
	s_cbranch_vccnz .LBB78_533
; %bb.518:
	s_cmp_lt_i32 s12, 2
	s_mov_b64 s[6:7], -1
	s_cbranch_scc1 .LBB78_528
; %bb.519:
	s_cmp_lt_i32 s12, 3
	s_cbranch_scc1 .LBB78_525
; %bb.520:
	s_cmp_gt_i32 s12, 3
	s_cbranch_scc0 .LBB78_522
; %bb.521:
	v_cvt_f32_f16_e32 v3, s11
	s_mov_b64 s[6:7], 0
	v_cvt_i32_f32_e32 v3, v3
	v_ashrrev_i32_e32 v4, 31, v3
	global_store_dwordx2 v[0:1], v[3:4], off
.LBB78_522:
	s_andn2_b64 vcc, exec, s[6:7]
	s_cbranch_vccnz .LBB78_524
; %bb.523:
	v_cvt_f32_f16_e32 v3, s11
	v_cvt_i32_f32_e32 v3, v3
	global_store_dword v[0:1], v3, off
.LBB78_524:
	s_mov_b64 s[6:7], 0
.LBB78_525:
	s_andn2_b64 vcc, exec, s[6:7]
	s_cbranch_vccnz .LBB78_527
; %bb.526:
	v_cvt_i16_f16_e32 v3, s11
	global_store_short v[0:1], v3, off
.LBB78_527:
	s_mov_b64 s[6:7], 0
.LBB78_528:
	s_andn2_b64 vcc, exec, s[6:7]
	s_cbranch_vccnz .LBB78_533
; %bb.529:
	s_cmp_gt_i32 s12, 0
	s_mov_b64 s[6:7], -1
	s_cbranch_scc0 .LBB78_531
; %bb.530:
	v_cvt_i16_f16_e32 v3, s11
	global_store_byte v[0:1], v3, off
	s_mov_b64 s[6:7], 0
.LBB78_531:
	s_andn2_b64 vcc, exec, s[6:7]
	s_cbranch_vccnz .LBB78_533
; %bb.532:
	v_cvt_f32_f16_e32 v3, s11
	v_cvt_i32_f32_e32 v3, v3
	global_store_byte v[0:1], v3, off
.LBB78_533:
.LBB78_534:
	s_lshl_b32 s10, s10, 7
	v_add_u32_e32 v2, s10, v2
	v_ashrrev_i32_e32 v1, 31, v2
	v_mov_b32_e32 v3, s9
	v_add_co_u32_e32 v0, vcc, s8, v2
	s_cmp_lt_i32 s18, 11
	v_addc_co_u32_e32 v1, vcc, v3, v1, vcc
	s_cbranch_scc1 .LBB78_562
; %bb.535:
	s_and_b32 s19, 0xffff, s18
	s_mov_b64 s[16:17], -1
	s_mov_b64 s[12:13], 0
	s_cmp_gt_i32 s19, 25
	s_mov_b64 s[14:15], 0
	s_mov_b64 s[6:7], 0
	s_cbranch_scc0 .LBB78_573
; %bb.536:
	s_cmp_gt_i32 s19, 28
	s_cbranch_scc0 .LBB78_551
; %bb.537:
	s_cmp_gt_i32 s19, 43
	;; [unrolled: 3-line block ×3, first 2 shown]
	s_cbranch_scc0 .LBB78_541
; %bb.539:
	s_mov_b64 s[6:7], -1
	s_mov_b64 s[16:17], 0
	s_cmp_eq_u32 s19, 46
	s_cbranch_scc0 .LBB78_541
; %bb.540:
	v_cvt_f32_f16_e32 v3, s11
	s_lshr_b32 s6, s11, 16
	v_cvt_f32_f16_e32 v4, s6
	v_cmp_o_f16_e64 vcc, s6, s6
	v_bfe_u32 v5, v3, 16, 1
	v_add_u32_e32 v3, v3, v5
	v_bfe_u32 v5, v4, 16, 1
	v_add_u32_e32 v4, v4, v5
	v_add_u32_e32 v4, 0x7fff, v4
	v_and_b32_e32 v4, 0xffff0000, v4
	v_mov_b32_e32 v5, 0x7fc00000
	v_add_u32_e32 v3, 0x7fff, v3
	v_cndmask_b32_e32 v4, v5, v4, vcc
	v_cmp_o_f16_e64 vcc, s11, s11
	v_mov_b32_e32 v5, 0x7fc0
	v_cndmask_b32_sdwa v3, v5, v3, vcc dst_sel:DWORD dst_unused:UNUSED_PAD src0_sel:DWORD src1_sel:WORD_1
	v_or_b32_e32 v3, v4, v3
	global_store_dword v[0:1], v3, off
	s_mov_b64 s[6:7], 0
	s_mov_b64 s[14:15], -1
.LBB78_541:
	s_and_b64 vcc, exec, s[16:17]
	s_cbranch_vccz .LBB78_546
; %bb.542:
	s_cmp_eq_u32 s19, 44
	s_mov_b64 s[6:7], -1
	s_cbranch_scc0 .LBB78_546
; %bb.543:
	v_cvt_f32_f16_e32 v3, s11
	v_mov_b32_e32 v4, 0xff
	v_readfirstlane_b32 s6, v3
	s_bfe_u32 s7, s6, 0x80017
	s_cmpk_eq_i32 s7, 0xff
	s_cbranch_scc1 .LBB78_545
; %bb.544:
	s_bitcmp1_b32 s6, 22
	s_cselect_b64 s[14:15], -1, 0
	s_and_b32 s6, s6, 0x3fffff
	s_or_b32 s6, s7, s6
	s_cmp_lg_u32 s6, 0
	s_cselect_b64 s[6:7], -1, 0
	s_and_b64 s[6:7], s[14:15], s[6:7]
	v_lshrrev_b32_e32 v3, 23, v3
	v_cndmask_b32_e64 v4, 0, 1, s[6:7]
	v_add_u32_e32 v4, v3, v4
.LBB78_545:
	s_mov_b64 s[6:7], 0
	s_mov_b64 s[14:15], -1
	global_store_byte v[0:1], v4, off
.LBB78_546:
	s_mov_b64 s[16:17], 0
.LBB78_547:
	s_and_b64 vcc, exec, s[16:17]
	s_cbranch_vccz .LBB78_550
; %bb.548:
	s_cmp_eq_u32 s19, 29
	s_mov_b64 s[6:7], -1
	s_cbranch_scc0 .LBB78_550
; %bb.549:
	v_cvt_f32_f16_e32 v3, s11
	v_mov_b32_e32 v4, 0
	s_mov_b64 s[6:7], 0
	s_mov_b64 s[14:15], -1
	v_cvt_u32_f32_e32 v3, v3
	global_store_dwordx2 v[0:1], v[3:4], off
.LBB78_550:
	s_mov_b64 s[16:17], 0
.LBB78_551:
	s_and_b64 vcc, exec, s[16:17]
	s_cbranch_vccz .LBB78_572
; %bb.552:
	s_cmp_lt_i32 s19, 27
	s_mov_b64 s[14:15], -1
	s_cbranch_scc1 .LBB78_558
; %bb.553:
	s_cmp_gt_i32 s19, 27
	s_cbranch_scc0 .LBB78_555
; %bb.554:
	v_cvt_f32_f16_e32 v3, s11
	s_mov_b64 s[14:15], 0
	v_cvt_u32_f32_e32 v3, v3
	global_store_dword v[0:1], v3, off
.LBB78_555:
	s_andn2_b64 vcc, exec, s[14:15]
	s_cbranch_vccnz .LBB78_557
; %bb.556:
	v_cvt_u16_f16_e32 v3, s11
	global_store_short v[0:1], v3, off
.LBB78_557:
	s_mov_b64 s[14:15], 0
.LBB78_558:
	s_andn2_b64 vcc, exec, s[14:15]
	s_cbranch_vccnz .LBB78_571
; %bb.559:
	v_cvt_f32_f16_e32 v3, s11
	v_mov_b32_e32 v4, 0x80
	v_readfirstlane_b32 s20, v3
	s_and_b32 s14, s20, 0x7fffffff
	s_cmp_gt_u32 s14, 0x437fffff
	s_cbranch_scc1 .LBB78_570
; %bb.560:
	s_cmp_gt_u32 s14, 0x3bffffff
	s_cbranch_scc0 .LBB78_565
; %bb.561:
	s_bfe_u32 s14, s20, 0x10014
	s_add_i32 s14, s20, s14
	s_add_i32 s14, s14, 0x487ffff
	s_lshr_b32 s21, s14, 20
	s_mov_b64 s[16:17], 0
	s_mov_b64 s[14:15], -1
	s_branch .LBB78_566
.LBB78_562:
	s_mov_b64 s[14:15], 0
	s_cbranch_execnz .LBB78_623
.LBB78_563:
	s_andn2_b64 vcc, exec, s[14:15]
	s_cbranch_vccz .LBB78_661
	s_branch .LBB78_832
.LBB78_564:
	s_or_b64 s[4:5], s[0:1], exec
	s_trap 2
	s_cbranch_execz .LBB78_494
	s_branch .LBB78_495
.LBB78_565:
	s_mov_b64 s[16:17], -1
	s_mov_b64 s[14:15], 0
                                        ; implicit-def: $sgpr21
.LBB78_566:
	s_andn2_b64 vcc, exec, s[16:17]
	v_mov_b32_e32 v3, s21
	s_cbranch_vccnz .LBB78_568
; %bb.567:
	v_mov_b32_e32 v3, 0x46000000
	v_add_f32_e64 v3, |s20|, v3
	v_and_b32_e32 v3, 0xff, v3
	v_cmp_ne_u32_e64 s[14:15], 0, v3
.LBB78_568:
	s_andn2_b64 vcc, exec, s[14:15]
	v_mov_b32_e32 v4, 0
	s_cbranch_vccnz .LBB78_570
; %bb.569:
	s_lshr_b32 s14, s20, 24
	s_and_b32 s14, s14, 0x80
	v_or_b32_e32 v4, s14, v3
.LBB78_570:
	global_store_byte v[0:1], v4, off
.LBB78_571:
	s_mov_b64 s[14:15], -1
.LBB78_572:
	s_mov_b64 s[16:17], 0
.LBB78_573:
	s_and_b64 vcc, exec, s[16:17]
	s_cbranch_vccz .LBB78_619
; %bb.574:
	s_cmp_gt_i32 s19, 22
	s_mov_b64 s[12:13], -1
	s_cbranch_scc0 .LBB78_612
; %bb.575:
	s_cmp_lt_i32 s19, 24
	s_cbranch_scc1 .LBB78_599
; %bb.576:
	s_cmp_gt_i32 s19, 24
	s_cbranch_scc0 .LBB78_586
; %bb.577:
	v_cvt_f32_f16_e32 v3, s11
	v_mov_b32_e32 v4, 0x80
	v_readfirstlane_b32 s16, v3
	s_and_b32 s12, s16, 0x7fffffff
	s_cmp_gt_u32 s12, 0x477fffff
	s_cbranch_scc1 .LBB78_585
; %bb.578:
	s_cmp_gt_u32 s12, 0x37ffffff
	s_cbranch_scc0 .LBB78_580
; %bb.579:
	s_bfe_u32 s12, s16, 0x10015
	s_add_i32 s12, s16, s12
	s_add_i32 s12, s12, 0x88fffff
	s_lshr_b32 s17, s12, 21
	s_mov_b64 s[14:15], 0
	s_mov_b64 s[12:13], -1
	s_branch .LBB78_581
.LBB78_580:
	s_mov_b64 s[14:15], -1
	s_mov_b64 s[12:13], 0
                                        ; implicit-def: $sgpr17
.LBB78_581:
	s_andn2_b64 vcc, exec, s[14:15]
	v_mov_b32_e32 v3, s17
	s_cbranch_vccnz .LBB78_583
; %bb.582:
	v_mov_b32_e32 v3, 0x42800000
	v_add_f32_e64 v3, |s16|, v3
	v_and_b32_e32 v3, 0xff, v3
	v_cmp_ne_u32_e64 s[12:13], 0, v3
.LBB78_583:
	s_andn2_b64 vcc, exec, s[12:13]
	v_mov_b32_e32 v4, 0
	s_cbranch_vccnz .LBB78_585
; %bb.584:
	s_lshr_b32 s12, s16, 24
	s_and_b32 s12, s12, 0x80
	v_or_b32_e32 v4, s12, v3
.LBB78_585:
	s_mov_b64 s[12:13], 0
	global_store_byte v[0:1], v4, off
.LBB78_586:
	s_and_b64 vcc, exec, s[12:13]
	s_cbranch_vccz .LBB78_598
; %bb.587:
	v_cvt_f32_f16_e32 v3, s11
	v_readfirstlane_b32 s14, v3
	s_and_b32 s15, s14, 0x7fffffff
	s_cmp_lt_u32 s15, 0x43f00000
	s_cbranch_scc0 .LBB78_590
; %bb.588:
	s_cmp_gt_u32 s15, 0x3c7fffff
	s_cbranch_scc0 .LBB78_591
; %bb.589:
	s_bfe_u32 s12, s14, 0x10014
	s_add_i32 s12, s14, s12
	s_add_i32 s12, s12, 0x407ffff
	s_lshr_b32 s13, s12, 20
	s_and_b32 s12, s12, 0xff00000
	s_cmp_lg_u32 s12, 0x7f00000
	s_cselect_b32 s16, s13, 0x7e
	s_mov_b64 s[12:13], 0
	s_branch .LBB78_592
.LBB78_590:
	s_mov_b64 s[12:13], -1
                                        ; implicit-def: $vgpr4
	s_branch .LBB78_595
.LBB78_591:
	s_mov_b64 s[12:13], -1
                                        ; implicit-def: $sgpr16
.LBB78_592:
	s_andn2_b64 vcc, exec, s[12:13]
	v_mov_b32_e32 v4, s16
	s_cbranch_vccnz .LBB78_594
; %bb.593:
	s_mov_b32 s12, 0x46800000
	v_add_f32_e64 v4, |v3|, s12
.LBB78_594:
	s_mov_b64 s[12:13], 0
.LBB78_595:
	s_andn2_b64 vcc, exec, s[12:13]
	s_cbranch_vccnz .LBB78_597
; %bb.596:
	s_cmp_gt_u32 s15, 0x7f800000
	s_movk_i32 s12, 0x7f
	s_cselect_b32 s12, s12, 0x7e
	v_mov_b32_e32 v4, s12
.LBB78_597:
	s_lshr_b32 s12, s14, 24
	s_and_b32 s12, s12, 0x80
	v_or_b32_e32 v3, s12, v4
	global_store_byte v[0:1], v3, off
.LBB78_598:
	s_mov_b64 s[12:13], 0
.LBB78_599:
	s_andn2_b64 vcc, exec, s[12:13]
	s_cbranch_vccnz .LBB78_611
; %bb.600:
	v_cvt_f32_f16_e32 v3, s11
	v_readfirstlane_b32 s14, v3
	s_and_b32 s15, s14, 0x7fffffff
	s_cmp_lt_u32 s15, 0x47800000
	s_cbranch_scc0 .LBB78_603
; %bb.601:
	s_cmp_gt_u32 s15, 0x387fffff
	s_cbranch_scc0 .LBB78_604
; %bb.602:
	s_bfe_u32 s12, s14, 0x10015
	s_add_i32 s12, s14, s12
	s_add_i32 s12, s12, 0x80fffff
	s_lshr_b32 s16, s12, 21
	s_mov_b64 s[12:13], 0
	s_branch .LBB78_605
.LBB78_603:
	s_mov_b64 s[12:13], -1
                                        ; implicit-def: $vgpr4
	s_branch .LBB78_608
.LBB78_604:
	s_mov_b64 s[12:13], -1
                                        ; implicit-def: $sgpr16
.LBB78_605:
	s_andn2_b64 vcc, exec, s[12:13]
	v_mov_b32_e32 v4, s16
	s_cbranch_vccnz .LBB78_607
; %bb.606:
	s_mov_b32 s12, 0x43000000
	v_add_f32_e64 v4, |v3|, s12
.LBB78_607:
	s_mov_b64 s[12:13], 0
.LBB78_608:
	s_andn2_b64 vcc, exec, s[12:13]
	s_cbranch_vccnz .LBB78_610
; %bb.609:
	s_cmp_gt_u32 s15, 0x7f800000
	s_movk_i32 s12, 0x7f
	s_cselect_b32 s12, s12, 0x7c
	v_mov_b32_e32 v4, s12
.LBB78_610:
	s_lshr_b32 s12, s14, 24
	s_and_b32 s12, s12, 0x80
	v_or_b32_e32 v3, s12, v4
	global_store_byte v[0:1], v3, off
.LBB78_611:
	s_mov_b64 s[12:13], 0
	s_mov_b64 s[14:15], -1
.LBB78_612:
	s_andn2_b64 vcc, exec, s[12:13]
	s_mov_b64 s[12:13], 0
	s_cbranch_vccnz .LBB78_619
; %bb.613:
	s_cmp_gt_i32 s19, 14
	s_mov_b64 s[16:17], -1
	s_cbranch_scc0 .LBB78_617
; %bb.614:
	s_cmp_eq_u32 s19, 15
	s_mov_b64 s[6:7], -1
	s_cbranch_scc0 .LBB78_616
; %bb.615:
	v_cvt_f32_f16_e32 v3, s11
	v_cmp_o_f16_e64 vcc, s11, s11
	v_mov_b32_e32 v4, 0x7fc0
	s_mov_b64 s[6:7], 0
	v_bfe_u32 v5, v3, 16, 1
	v_add_u32_e32 v3, v3, v5
	v_add_u32_e32 v3, 0x7fff, v3
	v_cndmask_b32_sdwa v3, v4, v3, vcc dst_sel:DWORD dst_unused:UNUSED_PAD src0_sel:DWORD src1_sel:WORD_1
	global_store_short v[0:1], v3, off
	s_mov_b64 s[14:15], -1
.LBB78_616:
	s_mov_b64 s[16:17], 0
.LBB78_617:
	s_and_b64 vcc, exec, s[16:17]
	s_cbranch_vccz .LBB78_619
; %bb.618:
	s_cmp_lg_u32 s19, 11
	s_mov_b64 s[12:13], -1
	s_cselect_b64 s[6:7], -1, 0
.LBB78_619:
	s_and_b64 vcc, exec, s[6:7]
	s_cbranch_vccnz .LBB78_721
; %bb.620:
	s_andn2_b64 vcc, exec, s[12:13]
	s_cbranch_vccnz .LBB78_622
.LBB78_621:
	s_and_b32 s6, s11, 0x7fff7fff
	s_cmp_lg_u32 s6, 0
	s_cselect_b64 s[6:7], -1, 0
	v_cndmask_b32_e64 v3, 0, 1, s[6:7]
	s_mov_b64 s[14:15], -1
	global_store_byte v[0:1], v3, off
.LBB78_622:
	s_branch .LBB78_563
.LBB78_623:
	s_and_b32 s12, 0xffff, s18
	s_cmp_lt_i32 s12, 5
	s_mov_b64 s[6:7], -1
	s_cbranch_scc1 .LBB78_644
; %bb.624:
	s_cmp_lt_i32 s12, 8
	s_cbranch_scc1 .LBB78_634
; %bb.625:
	s_cmp_lt_i32 s12, 9
	s_cbranch_scc1 .LBB78_631
; %bb.626:
	s_cmp_gt_i32 s12, 9
	s_cbranch_scc0 .LBB78_628
; %bb.627:
	s_lshr_b32 s6, s11, 16
	v_cvt_f32_f16_e32 v3, s11
	v_cvt_f32_f16_e32 v5, s6
	s_mov_b64 s[6:7], 0
	v_cvt_f64_f32_e32 v[3:4], v3
	v_cvt_f64_f32_e32 v[5:6], v5
	global_store_dwordx4 v[0:1], v[3:6], off
.LBB78_628:
	s_andn2_b64 vcc, exec, s[6:7]
	s_cbranch_vccnz .LBB78_630
; %bb.629:
	s_lshr_b32 s6, s11, 16
	v_cvt_f32_f16_e32 v3, s11
	v_cvt_f32_f16_e32 v4, s6
	global_store_dwordx2 v[0:1], v[3:4], off
.LBB78_630:
	s_mov_b64 s[6:7], 0
.LBB78_631:
	s_andn2_b64 vcc, exec, s[6:7]
	s_cbranch_vccnz .LBB78_633
; %bb.632:
	v_mov_b32_e32 v3, s11
	global_store_dword v[0:1], v3, off
.LBB78_633:
	s_mov_b64 s[6:7], 0
.LBB78_634:
	s_andn2_b64 vcc, exec, s[6:7]
	s_cbranch_vccnz .LBB78_643
; %bb.635:
	s_cmp_lt_i32 s12, 6
	s_mov_b64 s[6:7], -1
	s_cbranch_scc1 .LBB78_641
; %bb.636:
	s_cmp_gt_i32 s12, 6
	s_cbranch_scc0 .LBB78_638
; %bb.637:
	v_cvt_f32_f16_e32 v3, s11
	s_mov_b64 s[6:7], 0
	v_cvt_f64_f32_e32 v[3:4], v3
	global_store_dwordx2 v[0:1], v[3:4], off
.LBB78_638:
	s_andn2_b64 vcc, exec, s[6:7]
	s_cbranch_vccnz .LBB78_640
; %bb.639:
	v_cvt_f32_f16_e32 v3, s11
	global_store_dword v[0:1], v3, off
.LBB78_640:
	s_mov_b64 s[6:7], 0
.LBB78_641:
	s_andn2_b64 vcc, exec, s[6:7]
	s_cbranch_vccnz .LBB78_643
; %bb.642:
	v_mov_b32_e32 v3, s11
	global_store_short v[0:1], v3, off
.LBB78_643:
	s_mov_b64 s[6:7], 0
.LBB78_644:
	s_andn2_b64 vcc, exec, s[6:7]
	s_cbranch_vccnz .LBB78_660
; %bb.645:
	s_cmp_lt_i32 s12, 2
	s_mov_b64 s[6:7], -1
	s_cbranch_scc1 .LBB78_655
; %bb.646:
	s_cmp_lt_i32 s12, 3
	s_cbranch_scc1 .LBB78_652
; %bb.647:
	s_cmp_gt_i32 s12, 3
	s_cbranch_scc0 .LBB78_649
; %bb.648:
	v_cvt_f32_f16_e32 v3, s11
	s_mov_b64 s[6:7], 0
	v_cvt_i32_f32_e32 v3, v3
	v_ashrrev_i32_e32 v4, 31, v3
	global_store_dwordx2 v[0:1], v[3:4], off
.LBB78_649:
	s_andn2_b64 vcc, exec, s[6:7]
	s_cbranch_vccnz .LBB78_651
; %bb.650:
	v_cvt_f32_f16_e32 v3, s11
	v_cvt_i32_f32_e32 v3, v3
	global_store_dword v[0:1], v3, off
.LBB78_651:
	s_mov_b64 s[6:7], 0
.LBB78_652:
	s_andn2_b64 vcc, exec, s[6:7]
	s_cbranch_vccnz .LBB78_654
; %bb.653:
	v_cvt_i16_f16_e32 v3, s11
	global_store_short v[0:1], v3, off
.LBB78_654:
	s_mov_b64 s[6:7], 0
.LBB78_655:
	s_andn2_b64 vcc, exec, s[6:7]
	s_cbranch_vccnz .LBB78_660
; %bb.656:
	s_cmp_gt_i32 s12, 0
	s_mov_b64 s[6:7], -1
	s_cbranch_scc0 .LBB78_658
; %bb.657:
	v_cvt_i16_f16_e32 v3, s11
	global_store_byte v[0:1], v3, off
	s_mov_b64 s[6:7], 0
.LBB78_658:
	s_andn2_b64 vcc, exec, s[6:7]
	s_cbranch_vccnz .LBB78_660
; %bb.659:
	v_cvt_f32_f16_e32 v3, s11
	v_cvt_i32_f32_e32 v3, v3
	global_store_byte v[0:1], v3, off
.LBB78_660:
.LBB78_661:
	v_add_u32_e32 v2, s10, v2
	v_ashrrev_i32_e32 v1, 31, v2
	v_mov_b32_e32 v3, s9
	v_add_co_u32_e32 v0, vcc, s8, v2
	s_cmp_lt_i32 s18, 11
	v_addc_co_u32_e32 v1, vcc, v3, v1, vcc
	s_cbranch_scc1 .LBB78_689
; %bb.662:
	s_and_b32 s19, 0xffff, s18
	s_mov_b64 s[16:17], -1
	s_mov_b64 s[12:13], 0
	s_cmp_gt_i32 s19, 25
	s_mov_b64 s[14:15], 0
	s_mov_b64 s[6:7], 0
	s_cbranch_scc0 .LBB78_730
; %bb.663:
	s_cmp_gt_i32 s19, 28
	s_cbranch_scc0 .LBB78_678
; %bb.664:
	s_cmp_gt_i32 s19, 43
	;; [unrolled: 3-line block ×3, first 2 shown]
	s_cbranch_scc0 .LBB78_668
; %bb.666:
	s_mov_b64 s[6:7], -1
	s_mov_b64 s[16:17], 0
	s_cmp_eq_u32 s19, 46
	s_cbranch_scc0 .LBB78_668
; %bb.667:
	v_cvt_f32_f16_e32 v3, s11
	s_lshr_b32 s6, s11, 16
	v_cvt_f32_f16_e32 v4, s6
	v_cmp_o_f16_e64 vcc, s6, s6
	v_bfe_u32 v5, v3, 16, 1
	v_add_u32_e32 v3, v3, v5
	v_bfe_u32 v5, v4, 16, 1
	v_add_u32_e32 v4, v4, v5
	v_add_u32_e32 v4, 0x7fff, v4
	v_and_b32_e32 v4, 0xffff0000, v4
	v_mov_b32_e32 v5, 0x7fc00000
	v_add_u32_e32 v3, 0x7fff, v3
	v_cndmask_b32_e32 v4, v5, v4, vcc
	v_cmp_o_f16_e64 vcc, s11, s11
	v_mov_b32_e32 v5, 0x7fc0
	v_cndmask_b32_sdwa v3, v5, v3, vcc dst_sel:DWORD dst_unused:UNUSED_PAD src0_sel:DWORD src1_sel:WORD_1
	v_or_b32_e32 v3, v4, v3
	global_store_dword v[0:1], v3, off
	s_mov_b64 s[6:7], 0
	s_mov_b64 s[14:15], -1
.LBB78_668:
	s_and_b64 vcc, exec, s[16:17]
	s_cbranch_vccz .LBB78_673
; %bb.669:
	s_cmp_eq_u32 s19, 44
	s_mov_b64 s[6:7], -1
	s_cbranch_scc0 .LBB78_673
; %bb.670:
	v_cvt_f32_f16_e32 v3, s11
	v_mov_b32_e32 v4, 0xff
	v_readfirstlane_b32 s6, v3
	s_bfe_u32 s7, s6, 0x80017
	s_cmpk_eq_i32 s7, 0xff
	s_cbranch_scc1 .LBB78_672
; %bb.671:
	s_bitcmp1_b32 s6, 22
	s_cselect_b64 s[14:15], -1, 0
	s_and_b32 s6, s6, 0x3fffff
	s_or_b32 s6, s7, s6
	s_cmp_lg_u32 s6, 0
	s_cselect_b64 s[6:7], -1, 0
	s_and_b64 s[6:7], s[14:15], s[6:7]
	v_lshrrev_b32_e32 v3, 23, v3
	v_cndmask_b32_e64 v4, 0, 1, s[6:7]
	v_add_u32_e32 v4, v3, v4
.LBB78_672:
	s_mov_b64 s[6:7], 0
	s_mov_b64 s[14:15], -1
	global_store_byte v[0:1], v4, off
.LBB78_673:
	s_mov_b64 s[16:17], 0
.LBB78_674:
	s_and_b64 vcc, exec, s[16:17]
	s_cbranch_vccz .LBB78_677
; %bb.675:
	s_cmp_eq_u32 s19, 29
	s_mov_b64 s[6:7], -1
	s_cbranch_scc0 .LBB78_677
; %bb.676:
	v_cvt_f32_f16_e32 v3, s11
	v_mov_b32_e32 v4, 0
	s_mov_b64 s[6:7], 0
	s_mov_b64 s[14:15], -1
	v_cvt_u32_f32_e32 v3, v3
	global_store_dwordx2 v[0:1], v[3:4], off
.LBB78_677:
	s_mov_b64 s[16:17], 0
.LBB78_678:
	s_and_b64 vcc, exec, s[16:17]
	s_cbranch_vccz .LBB78_729
; %bb.679:
	s_cmp_lt_i32 s19, 27
	s_mov_b64 s[14:15], -1
	s_cbranch_scc1 .LBB78_685
; %bb.680:
	s_cmp_gt_i32 s19, 27
	s_cbranch_scc0 .LBB78_682
; %bb.681:
	v_cvt_f32_f16_e32 v3, s11
	s_mov_b64 s[14:15], 0
	v_cvt_u32_f32_e32 v3, v3
	global_store_dword v[0:1], v3, off
.LBB78_682:
	s_andn2_b64 vcc, exec, s[14:15]
	s_cbranch_vccnz .LBB78_684
; %bb.683:
	v_cvt_u16_f16_e32 v3, s11
	global_store_short v[0:1], v3, off
.LBB78_684:
	s_mov_b64 s[14:15], 0
.LBB78_685:
	s_andn2_b64 vcc, exec, s[14:15]
	s_cbranch_vccnz .LBB78_728
; %bb.686:
	v_cvt_f32_f16_e32 v3, s11
	v_mov_b32_e32 v4, 0x80
	v_readfirstlane_b32 s20, v3
	s_and_b32 s14, s20, 0x7fffffff
	s_cmp_gt_u32 s14, 0x437fffff
	s_cbranch_scc1 .LBB78_727
; %bb.687:
	s_cmp_gt_u32 s14, 0x3bffffff
	s_cbranch_scc0 .LBB78_722
; %bb.688:
	s_bfe_u32 s14, s20, 0x10014
	s_add_i32 s14, s20, s14
	s_add_i32 s14, s14, 0x487ffff
	s_lshr_b32 s21, s14, 20
	s_mov_b64 s[16:17], 0
	s_mov_b64 s[14:15], -1
	s_branch .LBB78_723
.LBB78_689:
	s_mov_b64 s[14:15], 0
	s_cbranch_execnz .LBB78_794
.LBB78_690:
	s_andn2_b64 vcc, exec, s[14:15]
	s_cbranch_vccnz .LBB78_832
.LBB78_691:
	v_add_u32_e32 v0, s10, v2
	v_ashrrev_i32_e32 v1, 31, v0
	v_mov_b32_e32 v2, s9
	v_add_co_u32_e32 v0, vcc, s8, v0
	s_cmp_lt_i32 s18, 11
	v_addc_co_u32_e32 v1, vcc, v2, v1, vcc
	s_cbranch_scc1 .LBB78_720
; %bb.692:
	s_and_b32 s10, 0xffff, s18
	s_mov_b64 s[12:13], -1
	s_mov_b64 s[8:9], 0
	s_cmp_gt_i32 s10, 25
	s_mov_b64 s[6:7], 0
	s_cbranch_scc0 .LBB78_744
; %bb.693:
	s_cmp_gt_i32 s10, 28
	s_cbranch_scc0 .LBB78_709
; %bb.694:
	s_cmp_gt_i32 s10, 43
	;; [unrolled: 3-line block ×3, first 2 shown]
	s_cbranch_scc0 .LBB78_699
; %bb.696:
	s_cmp_eq_u32 s10, 46
	s_mov_b64 s[6:7], -1
	s_cbranch_scc0 .LBB78_698
; %bb.697:
	v_cvt_f32_f16_e32 v2, s11
	s_lshr_b32 s6, s11, 16
	v_cvt_f32_f16_e32 v3, s6
	v_cmp_o_f16_e64 vcc, s6, s6
	v_bfe_u32 v4, v2, 16, 1
	v_add_u32_e32 v2, v2, v4
	v_bfe_u32 v4, v3, 16, 1
	v_add_u32_e32 v3, v3, v4
	v_add_u32_e32 v3, 0x7fff, v3
	v_and_b32_e32 v3, 0xffff0000, v3
	v_mov_b32_e32 v4, 0x7fc00000
	v_add_u32_e32 v2, 0x7fff, v2
	v_cndmask_b32_e32 v3, v4, v3, vcc
	v_cmp_o_f16_e64 vcc, s11, s11
	v_mov_b32_e32 v4, 0x7fc0
	v_cndmask_b32_sdwa v2, v4, v2, vcc dst_sel:DWORD dst_unused:UNUSED_PAD src0_sel:DWORD src1_sel:WORD_1
	v_or_b32_e32 v2, v3, v2
	global_store_dword v[0:1], v2, off
	s_mov_b64 s[6:7], 0
.LBB78_698:
	s_mov_b64 s[12:13], 0
.LBB78_699:
	s_and_b64 vcc, exec, s[12:13]
	s_cbranch_vccz .LBB78_704
; %bb.700:
	s_cmp_eq_u32 s10, 44
	s_mov_b64 s[6:7], -1
	s_cbranch_scc0 .LBB78_704
; %bb.701:
	v_cvt_f32_f16_e32 v2, s11
	v_mov_b32_e32 v3, 0xff
	v_readfirstlane_b32 s6, v2
	s_bfe_u32 s7, s6, 0x80017
	s_cmpk_eq_i32 s7, 0xff
	s_cbranch_scc1 .LBB78_703
; %bb.702:
	s_bitcmp1_b32 s6, 22
	s_cselect_b64 s[12:13], -1, 0
	s_and_b32 s6, s6, 0x3fffff
	s_or_b32 s6, s7, s6
	s_cmp_lg_u32 s6, 0
	s_cselect_b64 s[6:7], -1, 0
	s_and_b64 s[6:7], s[12:13], s[6:7]
	v_lshrrev_b32_e32 v2, 23, v2
	v_cndmask_b32_e64 v3, 0, 1, s[6:7]
	v_add_u32_e32 v3, v2, v3
.LBB78_703:
	s_mov_b64 s[6:7], 0
	global_store_byte v[0:1], v3, off
.LBB78_704:
	s_mov_b64 s[12:13], 0
.LBB78_705:
	s_and_b64 vcc, exec, s[12:13]
	s_cbranch_vccz .LBB78_708
; %bb.706:
	s_cmp_eq_u32 s10, 29
	s_mov_b64 s[6:7], -1
	s_cbranch_scc0 .LBB78_708
; %bb.707:
	v_cvt_f32_f16_e32 v2, s11
	v_mov_b32_e32 v3, 0
	s_mov_b64 s[6:7], 0
	v_cvt_u32_f32_e32 v2, v2
	global_store_dwordx2 v[0:1], v[2:3], off
.LBB78_708:
	s_mov_b64 s[12:13], 0
.LBB78_709:
	s_and_b64 vcc, exec, s[12:13]
	s_cbranch_vccz .LBB78_743
; %bb.710:
	s_cmp_lt_i32 s10, 27
	s_mov_b64 s[12:13], -1
	s_cbranch_scc1 .LBB78_716
; %bb.711:
	s_cmp_gt_i32 s10, 27
	s_cbranch_scc0 .LBB78_713
; %bb.712:
	v_cvt_f32_f16_e32 v2, s11
	s_mov_b64 s[12:13], 0
	v_cvt_u32_f32_e32 v2, v2
	global_store_dword v[0:1], v2, off
.LBB78_713:
	s_andn2_b64 vcc, exec, s[12:13]
	s_cbranch_vccnz .LBB78_715
; %bb.714:
	v_cvt_u16_f16_e32 v2, s11
	global_store_short v[0:1], v2, off
.LBB78_715:
	s_mov_b64 s[12:13], 0
.LBB78_716:
	s_andn2_b64 vcc, exec, s[12:13]
	s_cbranch_vccnz .LBB78_743
; %bb.717:
	v_cvt_f32_f16_e32 v2, s11
	v_mov_b32_e32 v3, 0x80
	v_readfirstlane_b32 s16, v2
	s_and_b32 s12, s16, 0x7fffffff
	s_cmp_gt_u32 s12, 0x437fffff
	s_cbranch_scc1 .LBB78_742
; %bb.718:
	s_cmp_gt_u32 s12, 0x3bffffff
	s_cbranch_scc0 .LBB78_737
; %bb.719:
	s_bfe_u32 s12, s16, 0x10014
	s_add_i32 s12, s16, s12
	s_add_i32 s12, s12, 0x487ffff
	s_lshr_b32 s17, s12, 20
	s_mov_b64 s[14:15], 0
	s_mov_b64 s[12:13], -1
	s_branch .LBB78_738
.LBB78_720:
	s_mov_b64 s[8:9], 0
	s_mov_b64 s[6:7], -1
	s_branch .LBB78_833
.LBB78_721:
	s_trap 2
	s_or_b64 s[4:5], s[4:5], exec
	s_cbranch_execz .LBB78_621
	s_branch .LBB78_622
.LBB78_722:
	s_mov_b64 s[16:17], -1
	s_mov_b64 s[14:15], 0
                                        ; implicit-def: $sgpr21
.LBB78_723:
	s_andn2_b64 vcc, exec, s[16:17]
	v_mov_b32_e32 v3, s21
	s_cbranch_vccnz .LBB78_725
; %bb.724:
	v_mov_b32_e32 v3, 0x46000000
	v_add_f32_e64 v3, |s20|, v3
	v_and_b32_e32 v3, 0xff, v3
	v_cmp_ne_u32_e64 s[14:15], 0, v3
.LBB78_725:
	s_andn2_b64 vcc, exec, s[14:15]
	v_mov_b32_e32 v4, 0
	s_cbranch_vccnz .LBB78_727
; %bb.726:
	s_lshr_b32 s14, s20, 24
	s_and_b32 s14, s14, 0x80
	v_or_b32_e32 v4, s14, v3
.LBB78_727:
	global_store_byte v[0:1], v4, off
.LBB78_728:
	s_mov_b64 s[14:15], -1
.LBB78_729:
	s_mov_b64 s[16:17], 0
.LBB78_730:
	s_and_b64 vcc, exec, s[16:17]
	s_cbranch_vccz .LBB78_790
; %bb.731:
	s_cmp_gt_i32 s19, 22
	s_mov_b64 s[12:13], -1
	s_cbranch_scc0 .LBB78_783
; %bb.732:
	s_cmp_lt_i32 s19, 24
	s_cbranch_scc1 .LBB78_770
; %bb.733:
	s_cmp_gt_i32 s19, 24
	s_cbranch_scc0 .LBB78_757
; %bb.734:
	v_cvt_f32_f16_e32 v3, s11
	v_mov_b32_e32 v4, 0x80
	v_readfirstlane_b32 s16, v3
	s_and_b32 s12, s16, 0x7fffffff
	s_cmp_gt_u32 s12, 0x477fffff
	s_cbranch_scc1 .LBB78_756
; %bb.735:
	s_cmp_gt_u32 s12, 0x37ffffff
	s_cbranch_scc0 .LBB78_751
; %bb.736:
	s_bfe_u32 s12, s16, 0x10015
	s_add_i32 s12, s16, s12
	s_add_i32 s12, s12, 0x88fffff
	s_lshr_b32 s17, s12, 21
	s_mov_b64 s[14:15], 0
	s_mov_b64 s[12:13], -1
	s_branch .LBB78_752
.LBB78_737:
	s_mov_b64 s[14:15], -1
	s_mov_b64 s[12:13], 0
                                        ; implicit-def: $sgpr17
.LBB78_738:
	s_andn2_b64 vcc, exec, s[14:15]
	v_mov_b32_e32 v2, s17
	s_cbranch_vccnz .LBB78_740
; %bb.739:
	v_mov_b32_e32 v2, 0x46000000
	v_add_f32_e64 v2, |s16|, v2
	v_and_b32_e32 v2, 0xff, v2
	v_cmp_ne_u32_e64 s[12:13], 0, v2
.LBB78_740:
	s_andn2_b64 vcc, exec, s[12:13]
	v_mov_b32_e32 v3, 0
	s_cbranch_vccnz .LBB78_742
; %bb.741:
	s_lshr_b32 s12, s16, 24
	s_and_b32 s12, s12, 0x80
	v_or_b32_e32 v3, s12, v2
.LBB78_742:
	global_store_byte v[0:1], v3, off
.LBB78_743:
	s_mov_b64 s[12:13], 0
.LBB78_744:
	s_and_b64 vcc, exec, s[12:13]
	s_cbranch_vccz .LBB78_914
; %bb.745:
	s_cmp_gt_i32 s10, 22
	s_mov_b64 s[8:9], -1
	s_cbranch_scc0 .LBB78_907
; %bb.746:
	s_cmp_lt_i32 s10, 24
	s_cbranch_scc1 .LBB78_894
; %bb.747:
	s_cmp_gt_i32 s10, 24
	s_cbranch_scc0 .LBB78_881
; %bb.748:
	v_cvt_f32_f16_e32 v2, s11
	v_mov_b32_e32 v3, 0x80
	v_readfirstlane_b32 s14, v2
	s_and_b32 s8, s14, 0x7fffffff
	s_cmp_gt_u32 s8, 0x477fffff
	s_cbranch_scc1 .LBB78_880
; %bb.749:
	s_cmp_gt_u32 s8, 0x37ffffff
	s_cbranch_scc0 .LBB78_875
; %bb.750:
	s_bfe_u32 s8, s14, 0x10015
	s_add_i32 s8, s14, s8
	s_add_i32 s8, s8, 0x88fffff
	s_lshr_b32 s15, s8, 21
	s_mov_b64 s[12:13], 0
	s_mov_b64 s[8:9], -1
	s_branch .LBB78_876
.LBB78_751:
	s_mov_b64 s[14:15], -1
	s_mov_b64 s[12:13], 0
                                        ; implicit-def: $sgpr17
.LBB78_752:
	s_andn2_b64 vcc, exec, s[14:15]
	v_mov_b32_e32 v3, s17
	s_cbranch_vccnz .LBB78_754
; %bb.753:
	v_mov_b32_e32 v3, 0x42800000
	v_add_f32_e64 v3, |s16|, v3
	v_and_b32_e32 v3, 0xff, v3
	v_cmp_ne_u32_e64 s[12:13], 0, v3
.LBB78_754:
	s_andn2_b64 vcc, exec, s[12:13]
	v_mov_b32_e32 v4, 0
	s_cbranch_vccnz .LBB78_756
; %bb.755:
	s_lshr_b32 s12, s16, 24
	s_and_b32 s12, s12, 0x80
	v_or_b32_e32 v4, s12, v3
.LBB78_756:
	s_mov_b64 s[12:13], 0
	global_store_byte v[0:1], v4, off
.LBB78_757:
	s_and_b64 vcc, exec, s[12:13]
	s_cbranch_vccz .LBB78_769
; %bb.758:
	v_cvt_f32_f16_e32 v3, s11
	v_readfirstlane_b32 s14, v3
	s_and_b32 s15, s14, 0x7fffffff
	s_cmp_lt_u32 s15, 0x43f00000
	s_cbranch_scc0 .LBB78_761
; %bb.759:
	s_cmp_gt_u32 s15, 0x3c7fffff
	s_cbranch_scc0 .LBB78_762
; %bb.760:
	s_bfe_u32 s12, s14, 0x10014
	s_add_i32 s12, s14, s12
	s_add_i32 s12, s12, 0x407ffff
	s_lshr_b32 s13, s12, 20
	s_and_b32 s12, s12, 0xff00000
	s_cmp_lg_u32 s12, 0x7f00000
	s_cselect_b32 s16, s13, 0x7e
	s_mov_b64 s[12:13], 0
	s_branch .LBB78_763
.LBB78_761:
	s_mov_b64 s[12:13], -1
                                        ; implicit-def: $vgpr4
	s_branch .LBB78_766
.LBB78_762:
	s_mov_b64 s[12:13], -1
                                        ; implicit-def: $sgpr16
.LBB78_763:
	s_andn2_b64 vcc, exec, s[12:13]
	v_mov_b32_e32 v4, s16
	s_cbranch_vccnz .LBB78_765
; %bb.764:
	s_mov_b32 s12, 0x46800000
	v_add_f32_e64 v4, |v3|, s12
.LBB78_765:
	s_mov_b64 s[12:13], 0
.LBB78_766:
	s_andn2_b64 vcc, exec, s[12:13]
	s_cbranch_vccnz .LBB78_768
; %bb.767:
	s_cmp_gt_u32 s15, 0x7f800000
	s_movk_i32 s12, 0x7f
	s_cselect_b32 s12, s12, 0x7e
	v_mov_b32_e32 v4, s12
.LBB78_768:
	s_lshr_b32 s12, s14, 24
	s_and_b32 s12, s12, 0x80
	v_or_b32_e32 v3, s12, v4
	global_store_byte v[0:1], v3, off
.LBB78_769:
	s_mov_b64 s[12:13], 0
.LBB78_770:
	s_andn2_b64 vcc, exec, s[12:13]
	s_cbranch_vccnz .LBB78_782
; %bb.771:
	v_cvt_f32_f16_e32 v3, s11
	v_readfirstlane_b32 s14, v3
	s_and_b32 s15, s14, 0x7fffffff
	s_cmp_lt_u32 s15, 0x47800000
	s_cbranch_scc0 .LBB78_774
; %bb.772:
	s_cmp_gt_u32 s15, 0x387fffff
	s_cbranch_scc0 .LBB78_775
; %bb.773:
	s_bfe_u32 s12, s14, 0x10015
	s_add_i32 s12, s14, s12
	s_add_i32 s12, s12, 0x80fffff
	s_lshr_b32 s16, s12, 21
	s_mov_b64 s[12:13], 0
	s_branch .LBB78_776
.LBB78_774:
	s_mov_b64 s[12:13], -1
                                        ; implicit-def: $vgpr4
	s_branch .LBB78_779
.LBB78_775:
	s_mov_b64 s[12:13], -1
                                        ; implicit-def: $sgpr16
.LBB78_776:
	s_andn2_b64 vcc, exec, s[12:13]
	v_mov_b32_e32 v4, s16
	s_cbranch_vccnz .LBB78_778
; %bb.777:
	s_mov_b32 s12, 0x43000000
	v_add_f32_e64 v4, |v3|, s12
.LBB78_778:
	s_mov_b64 s[12:13], 0
.LBB78_779:
	s_andn2_b64 vcc, exec, s[12:13]
	s_cbranch_vccnz .LBB78_781
; %bb.780:
	s_cmp_gt_u32 s15, 0x7f800000
	s_movk_i32 s12, 0x7f
	s_cselect_b32 s12, s12, 0x7c
	v_mov_b32_e32 v4, s12
.LBB78_781:
	s_lshr_b32 s12, s14, 24
	s_and_b32 s12, s12, 0x80
	v_or_b32_e32 v3, s12, v4
	global_store_byte v[0:1], v3, off
.LBB78_782:
	s_mov_b64 s[12:13], 0
	s_mov_b64 s[14:15], -1
.LBB78_783:
	s_andn2_b64 vcc, exec, s[12:13]
	s_mov_b64 s[12:13], 0
	s_cbranch_vccnz .LBB78_790
; %bb.784:
	s_cmp_gt_i32 s19, 14
	s_mov_b64 s[16:17], -1
	s_cbranch_scc0 .LBB78_788
; %bb.785:
	s_cmp_eq_u32 s19, 15
	s_mov_b64 s[6:7], -1
	s_cbranch_scc0 .LBB78_787
; %bb.786:
	v_cvt_f32_f16_e32 v3, s11
	v_cmp_o_f16_e64 vcc, s11, s11
	v_mov_b32_e32 v4, 0x7fc0
	s_mov_b64 s[6:7], 0
	v_bfe_u32 v5, v3, 16, 1
	v_add_u32_e32 v3, v3, v5
	v_add_u32_e32 v3, 0x7fff, v3
	v_cndmask_b32_sdwa v3, v4, v3, vcc dst_sel:DWORD dst_unused:UNUSED_PAD src0_sel:DWORD src1_sel:WORD_1
	global_store_short v[0:1], v3, off
	s_mov_b64 s[14:15], -1
.LBB78_787:
	s_mov_b64 s[16:17], 0
.LBB78_788:
	s_and_b64 vcc, exec, s[16:17]
	s_cbranch_vccz .LBB78_790
; %bb.789:
	s_cmp_lg_u32 s19, 11
	s_mov_b64 s[12:13], -1
	s_cselect_b64 s[6:7], -1, 0
.LBB78_790:
	s_and_b64 vcc, exec, s[6:7]
	s_cbranch_vccnz .LBB78_874
; %bb.791:
	s_andn2_b64 vcc, exec, s[12:13]
	s_cbranch_vccnz .LBB78_793
.LBB78_792:
	s_and_b32 s6, s11, 0x7fff7fff
	s_cmp_lg_u32 s6, 0
	s_cselect_b64 s[6:7], -1, 0
	v_cndmask_b32_e64 v3, 0, 1, s[6:7]
	s_mov_b64 s[14:15], -1
	global_store_byte v[0:1], v3, off
.LBB78_793:
	s_branch .LBB78_690
.LBB78_794:
	s_and_b32 s12, 0xffff, s18
	s_cmp_lt_i32 s12, 5
	s_mov_b64 s[6:7], -1
	s_cbranch_scc1 .LBB78_815
; %bb.795:
	s_cmp_lt_i32 s12, 8
	s_cbranch_scc1 .LBB78_805
; %bb.796:
	s_cmp_lt_i32 s12, 9
	s_cbranch_scc1 .LBB78_802
; %bb.797:
	s_cmp_gt_i32 s12, 9
	s_cbranch_scc0 .LBB78_799
; %bb.798:
	s_lshr_b32 s6, s11, 16
	v_cvt_f32_f16_e32 v3, s11
	v_cvt_f32_f16_e32 v5, s6
	s_mov_b64 s[6:7], 0
	v_cvt_f64_f32_e32 v[3:4], v3
	v_cvt_f64_f32_e32 v[5:6], v5
	global_store_dwordx4 v[0:1], v[3:6], off
.LBB78_799:
	s_andn2_b64 vcc, exec, s[6:7]
	s_cbranch_vccnz .LBB78_801
; %bb.800:
	s_lshr_b32 s6, s11, 16
	v_cvt_f32_f16_e32 v3, s11
	v_cvt_f32_f16_e32 v4, s6
	global_store_dwordx2 v[0:1], v[3:4], off
.LBB78_801:
	s_mov_b64 s[6:7], 0
.LBB78_802:
	s_andn2_b64 vcc, exec, s[6:7]
	s_cbranch_vccnz .LBB78_804
; %bb.803:
	v_mov_b32_e32 v3, s11
	global_store_dword v[0:1], v3, off
.LBB78_804:
	s_mov_b64 s[6:7], 0
.LBB78_805:
	s_andn2_b64 vcc, exec, s[6:7]
	s_cbranch_vccnz .LBB78_814
; %bb.806:
	s_cmp_lt_i32 s12, 6
	s_mov_b64 s[6:7], -1
	s_cbranch_scc1 .LBB78_812
; %bb.807:
	s_cmp_gt_i32 s12, 6
	s_cbranch_scc0 .LBB78_809
; %bb.808:
	v_cvt_f32_f16_e32 v3, s11
	s_mov_b64 s[6:7], 0
	v_cvt_f64_f32_e32 v[3:4], v3
	global_store_dwordx2 v[0:1], v[3:4], off
.LBB78_809:
	s_andn2_b64 vcc, exec, s[6:7]
	s_cbranch_vccnz .LBB78_811
; %bb.810:
	v_cvt_f32_f16_e32 v3, s11
	global_store_dword v[0:1], v3, off
.LBB78_811:
	s_mov_b64 s[6:7], 0
.LBB78_812:
	s_andn2_b64 vcc, exec, s[6:7]
	s_cbranch_vccnz .LBB78_814
; %bb.813:
	v_mov_b32_e32 v3, s11
	global_store_short v[0:1], v3, off
.LBB78_814:
	s_mov_b64 s[6:7], 0
.LBB78_815:
	s_andn2_b64 vcc, exec, s[6:7]
	s_cbranch_vccnz .LBB78_831
; %bb.816:
	s_cmp_lt_i32 s12, 2
	s_mov_b64 s[6:7], -1
	s_cbranch_scc1 .LBB78_826
; %bb.817:
	s_cmp_lt_i32 s12, 3
	s_cbranch_scc1 .LBB78_823
; %bb.818:
	s_cmp_gt_i32 s12, 3
	s_cbranch_scc0 .LBB78_820
; %bb.819:
	v_cvt_f32_f16_e32 v3, s11
	s_mov_b64 s[6:7], 0
	v_cvt_i32_f32_e32 v3, v3
	v_ashrrev_i32_e32 v4, 31, v3
	global_store_dwordx2 v[0:1], v[3:4], off
.LBB78_820:
	s_andn2_b64 vcc, exec, s[6:7]
	s_cbranch_vccnz .LBB78_822
; %bb.821:
	v_cvt_f32_f16_e32 v3, s11
	v_cvt_i32_f32_e32 v3, v3
	global_store_dword v[0:1], v3, off
.LBB78_822:
	s_mov_b64 s[6:7], 0
.LBB78_823:
	s_andn2_b64 vcc, exec, s[6:7]
	s_cbranch_vccnz .LBB78_825
; %bb.824:
	v_cvt_i16_f16_e32 v3, s11
	global_store_short v[0:1], v3, off
.LBB78_825:
	s_mov_b64 s[6:7], 0
.LBB78_826:
	s_andn2_b64 vcc, exec, s[6:7]
	s_cbranch_vccnz .LBB78_831
; %bb.827:
	s_cmp_gt_i32 s12, 0
	s_mov_b64 s[6:7], -1
	s_cbranch_scc0 .LBB78_829
; %bb.828:
	v_cvt_i16_f16_e32 v3, s11
	global_store_byte v[0:1], v3, off
	s_mov_b64 s[6:7], 0
.LBB78_829:
	s_andn2_b64 vcc, exec, s[6:7]
	s_cbranch_vccnz .LBB78_831
; %bb.830:
	v_cvt_f32_f16_e32 v3, s11
	v_cvt_i32_f32_e32 v3, v3
	global_store_byte v[0:1], v3, off
.LBB78_831:
	s_branch .LBB78_691
.LBB78_832:
	s_mov_b64 s[6:7], 0
	s_mov_b64 s[8:9], 0
                                        ; implicit-def: $sgpr18
                                        ; implicit-def: $vgpr0_vgpr1
.LBB78_833:
	s_andn2_b64 s[0:1], s[0:1], exec
	s_and_b64 s[4:5], s[4:5], exec
	s_and_b64 s[12:13], s[6:7], exec
	;; [unrolled: 1-line block ×3, first 2 shown]
	s_or_b64 s[0:1], s[0:1], s[4:5]
	s_or_b64 exec, exec, s[2:3]
	s_and_saveexec_b64 s[2:3], s[0:1]
	s_cbranch_execnz .LBB78_434
.LBB78_834:
	s_or_b64 exec, exec, s[2:3]
	s_and_saveexec_b64 s[0:1], s[6:7]
	s_xor_b64 s[0:1], exec, s[0:1]
	s_cbranch_execz .LBB78_435
.LBB78_835:
	s_and_b32 s2, s11, 0x7fff7fff
	s_cmp_lg_u32 s2, 0
	s_cselect_b64 s[2:3], -1, 0
	v_cndmask_b32_e64 v2, 0, 1, s[2:3]
	global_store_byte v[0:1], v2, off
	s_or_b64 exec, exec, s[0:1]
	s_and_saveexec_b64 s[0:1], s[12:13]
	s_cbranch_execz .LBB78_873
.LBB78_836:
	s_sext_i32_i16 s2, s18
	s_cmp_lt_i32 s2, 5
	s_mov_b64 s[0:1], -1
	s_cbranch_scc1 .LBB78_857
; %bb.837:
	s_cmp_lt_i32 s2, 8
	s_cbranch_scc1 .LBB78_847
; %bb.838:
	s_cmp_lt_i32 s2, 9
	s_cbranch_scc1 .LBB78_844
; %bb.839:
	s_cmp_gt_i32 s2, 9
	s_cbranch_scc0 .LBB78_841
; %bb.840:
	s_lshr_b32 s0, s11, 16
	v_cvt_f32_f16_e32 v2, s11
	v_cvt_f32_f16_e32 v4, s0
	s_mov_b64 s[0:1], 0
	v_cvt_f64_f32_e32 v[2:3], v2
	v_cvt_f64_f32_e32 v[4:5], v4
	global_store_dwordx4 v[0:1], v[2:5], off
.LBB78_841:
	s_andn2_b64 vcc, exec, s[0:1]
	s_cbranch_vccnz .LBB78_843
; %bb.842:
	s_lshr_b32 s0, s11, 16
	v_cvt_f32_f16_e32 v2, s11
	v_cvt_f32_f16_e32 v3, s0
	global_store_dwordx2 v[0:1], v[2:3], off
.LBB78_843:
	s_mov_b64 s[0:1], 0
.LBB78_844:
	s_andn2_b64 vcc, exec, s[0:1]
	s_cbranch_vccnz .LBB78_846
; %bb.845:
	v_mov_b32_e32 v2, s11
	global_store_dword v[0:1], v2, off
.LBB78_846:
	s_mov_b64 s[0:1], 0
.LBB78_847:
	s_andn2_b64 vcc, exec, s[0:1]
	s_cbranch_vccnz .LBB78_856
; %bb.848:
	s_sext_i32_i16 s2, s18
	s_cmp_lt_i32 s2, 6
	s_mov_b64 s[0:1], -1
	s_cbranch_scc1 .LBB78_854
; %bb.849:
	s_cmp_gt_i32 s2, 6
	s_cbranch_scc0 .LBB78_851
; %bb.850:
	v_cvt_f32_f16_e32 v2, s11
	s_mov_b64 s[0:1], 0
	v_cvt_f64_f32_e32 v[2:3], v2
	global_store_dwordx2 v[0:1], v[2:3], off
.LBB78_851:
	s_andn2_b64 vcc, exec, s[0:1]
	s_cbranch_vccnz .LBB78_853
; %bb.852:
	v_cvt_f32_f16_e32 v2, s11
	global_store_dword v[0:1], v2, off
.LBB78_853:
	s_mov_b64 s[0:1], 0
.LBB78_854:
	s_andn2_b64 vcc, exec, s[0:1]
	s_cbranch_vccnz .LBB78_856
; %bb.855:
	v_mov_b32_e32 v2, s11
	global_store_short v[0:1], v2, off
.LBB78_856:
	s_mov_b64 s[0:1], 0
.LBB78_857:
	s_andn2_b64 vcc, exec, s[0:1]
	s_cbranch_vccnz .LBB78_873
; %bb.858:
	s_sext_i32_i16 s2, s18
	s_cmp_lt_i32 s2, 2
	s_mov_b64 s[0:1], -1
	s_cbranch_scc1 .LBB78_868
; %bb.859:
	s_cmp_lt_i32 s2, 3
	s_cbranch_scc1 .LBB78_865
; %bb.860:
	s_cmp_gt_i32 s2, 3
	s_cbranch_scc0 .LBB78_862
; %bb.861:
	v_cvt_f32_f16_e32 v2, s11
	s_mov_b64 s[0:1], 0
	v_cvt_i32_f32_e32 v2, v2
	v_ashrrev_i32_e32 v3, 31, v2
	global_store_dwordx2 v[0:1], v[2:3], off
.LBB78_862:
	s_andn2_b64 vcc, exec, s[0:1]
	s_cbranch_vccnz .LBB78_864
; %bb.863:
	v_cvt_f32_f16_e32 v2, s11
	v_cvt_i32_f32_e32 v2, v2
	global_store_dword v[0:1], v2, off
.LBB78_864:
	s_mov_b64 s[0:1], 0
.LBB78_865:
	s_andn2_b64 vcc, exec, s[0:1]
	s_cbranch_vccnz .LBB78_867
; %bb.866:
	v_cvt_i16_f16_e32 v2, s11
	global_store_short v[0:1], v2, off
.LBB78_867:
	s_mov_b64 s[0:1], 0
.LBB78_868:
	s_andn2_b64 vcc, exec, s[0:1]
	s_cbranch_vccnz .LBB78_873
; %bb.869:
	s_sext_i32_i16 s0, s18
	s_cmp_gt_i32 s0, 0
	s_mov_b64 s[0:1], -1
	s_cbranch_scc0 .LBB78_871
; %bb.870:
	v_cvt_i16_f16_e32 v2, s11
	global_store_byte v[0:1], v2, off
	s_mov_b64 s[0:1], 0
.LBB78_871:
	s_andn2_b64 vcc, exec, s[0:1]
	s_cbranch_vccnz .LBB78_873
; %bb.872:
	v_cvt_f32_f16_e32 v2, s11
	v_cvt_i32_f32_e32 v2, v2
	global_store_byte v[0:1], v2, off
	s_endpgm
.LBB78_873:
	s_endpgm
.LBB78_874:
	s_trap 2
	s_or_b64 s[4:5], s[4:5], exec
	s_cbranch_execz .LBB78_792
	s_branch .LBB78_793
.LBB78_875:
	s_mov_b64 s[12:13], -1
	s_mov_b64 s[8:9], 0
                                        ; implicit-def: $sgpr15
.LBB78_876:
	s_andn2_b64 vcc, exec, s[12:13]
	v_mov_b32_e32 v2, s15
	s_cbranch_vccnz .LBB78_878
; %bb.877:
	v_mov_b32_e32 v2, 0x42800000
	v_add_f32_e64 v2, |s14|, v2
	v_and_b32_e32 v2, 0xff, v2
	v_cmp_ne_u32_e64 s[8:9], 0, v2
.LBB78_878:
	s_andn2_b64 vcc, exec, s[8:9]
	v_mov_b32_e32 v3, 0
	s_cbranch_vccnz .LBB78_880
; %bb.879:
	s_lshr_b32 s8, s14, 24
	s_and_b32 s8, s8, 0x80
	v_or_b32_e32 v3, s8, v2
.LBB78_880:
	s_mov_b64 s[8:9], 0
	global_store_byte v[0:1], v3, off
.LBB78_881:
	s_and_b64 vcc, exec, s[8:9]
	s_cbranch_vccz .LBB78_893
; %bb.882:
	v_cvt_f32_f16_e32 v2, s11
	v_readfirstlane_b32 s12, v2
	s_and_b32 s13, s12, 0x7fffffff
	s_cmp_lt_u32 s13, 0x43f00000
	s_cbranch_scc0 .LBB78_885
; %bb.883:
	s_cmp_gt_u32 s13, 0x3c7fffff
	s_cbranch_scc0 .LBB78_886
; %bb.884:
	s_bfe_u32 s8, s12, 0x10014
	s_add_i32 s8, s12, s8
	s_add_i32 s8, s8, 0x407ffff
	s_lshr_b32 s9, s8, 20
	s_and_b32 s8, s8, 0xff00000
	s_cmp_lg_u32 s8, 0x7f00000
	s_cselect_b32 s14, s9, 0x7e
	s_mov_b64 s[8:9], 0
	s_branch .LBB78_887
.LBB78_885:
	s_mov_b64 s[8:9], -1
                                        ; implicit-def: $vgpr3
	s_branch .LBB78_890
.LBB78_886:
	s_mov_b64 s[8:9], -1
                                        ; implicit-def: $sgpr14
.LBB78_887:
	s_andn2_b64 vcc, exec, s[8:9]
	v_mov_b32_e32 v3, s14
	s_cbranch_vccnz .LBB78_889
; %bb.888:
	s_mov_b32 s8, 0x46800000
	v_add_f32_e64 v3, |v2|, s8
.LBB78_889:
	s_mov_b64 s[8:9], 0
.LBB78_890:
	s_andn2_b64 vcc, exec, s[8:9]
	s_cbranch_vccnz .LBB78_892
; %bb.891:
	s_cmp_gt_u32 s13, 0x7f800000
	s_movk_i32 s8, 0x7f
	s_cselect_b32 s8, s8, 0x7e
	v_mov_b32_e32 v3, s8
.LBB78_892:
	s_lshr_b32 s8, s12, 24
	s_and_b32 s8, s8, 0x80
	v_or_b32_e32 v2, s8, v3
	global_store_byte v[0:1], v2, off
.LBB78_893:
	s_mov_b64 s[8:9], 0
.LBB78_894:
	s_andn2_b64 vcc, exec, s[8:9]
	s_cbranch_vccnz .LBB78_906
; %bb.895:
	v_cvt_f32_f16_e32 v2, s11
	v_readfirstlane_b32 s12, v2
	s_and_b32 s13, s12, 0x7fffffff
	s_cmp_lt_u32 s13, 0x47800000
	s_cbranch_scc0 .LBB78_898
; %bb.896:
	s_cmp_gt_u32 s13, 0x387fffff
	s_cbranch_scc0 .LBB78_899
; %bb.897:
	s_bfe_u32 s8, s12, 0x10015
	s_add_i32 s8, s12, s8
	s_add_i32 s8, s8, 0x80fffff
	s_lshr_b32 s14, s8, 21
	s_mov_b64 s[8:9], 0
	s_branch .LBB78_900
.LBB78_898:
	s_mov_b64 s[8:9], -1
                                        ; implicit-def: $vgpr3
	s_branch .LBB78_903
.LBB78_899:
	s_mov_b64 s[8:9], -1
                                        ; implicit-def: $sgpr14
.LBB78_900:
	s_andn2_b64 vcc, exec, s[8:9]
	v_mov_b32_e32 v3, s14
	s_cbranch_vccnz .LBB78_902
; %bb.901:
	s_mov_b32 s8, 0x43000000
	v_add_f32_e64 v3, |v2|, s8
.LBB78_902:
	s_mov_b64 s[8:9], 0
.LBB78_903:
	s_andn2_b64 vcc, exec, s[8:9]
	s_cbranch_vccnz .LBB78_905
; %bb.904:
	s_cmp_gt_u32 s13, 0x7f800000
	s_movk_i32 s8, 0x7f
	s_cselect_b32 s8, s8, 0x7c
	v_mov_b32_e32 v3, s8
.LBB78_905:
	s_lshr_b32 s8, s12, 24
	s_and_b32 s8, s8, 0x80
	v_or_b32_e32 v2, s8, v3
	global_store_byte v[0:1], v2, off
.LBB78_906:
	s_mov_b64 s[8:9], 0
.LBB78_907:
	s_andn2_b64 vcc, exec, s[8:9]
	s_mov_b64 s[8:9], 0
	s_cbranch_vccnz .LBB78_914
; %bb.908:
	s_cmp_gt_i32 s10, 14
	s_mov_b64 s[12:13], -1
	s_cbranch_scc0 .LBB78_912
; %bb.909:
	s_cmp_eq_u32 s10, 15
	s_mov_b64 s[6:7], -1
	s_cbranch_scc0 .LBB78_911
; %bb.910:
	v_cvt_f32_f16_e32 v2, s11
	v_cmp_o_f16_e64 vcc, s11, s11
	v_mov_b32_e32 v3, 0x7fc0
	s_mov_b64 s[6:7], 0
	v_bfe_u32 v4, v2, 16, 1
	v_add_u32_e32 v2, v2, v4
	v_add_u32_e32 v2, 0x7fff, v2
	v_cndmask_b32_sdwa v2, v3, v2, vcc dst_sel:DWORD dst_unused:UNUSED_PAD src0_sel:DWORD src1_sel:WORD_1
	global_store_short v[0:1], v2, off
.LBB78_911:
	s_mov_b64 s[12:13], 0
.LBB78_912:
	s_and_b64 vcc, exec, s[12:13]
	s_cbranch_vccz .LBB78_914
; %bb.913:
	s_cmp_lg_u32 s10, 11
	s_mov_b64 s[8:9], -1
	s_cselect_b64 s[6:7], -1, 0
.LBB78_914:
	s_and_b64 vcc, exec, s[6:7]
	s_cbranch_vccnz .LBB78_916
.LBB78_915:
	s_mov_b64 s[6:7], 0
	s_branch .LBB78_833
.LBB78_916:
	s_mov_b64 s[8:9], 0
	s_or_b64 s[4:5], s[4:5], exec
	s_trap 2
	s_branch .LBB78_915
	.section	.rodata,"a",@progbits
	.p2align	6, 0x0
	.amdhsa_kernel _ZN2at6native32elementwise_kernel_manual_unrollILi128ELi4EZNS0_15gpu_kernel_implINS0_11FillFunctorIN3c107complexINS4_4HalfEEEEEEEvRNS_18TensorIteratorBaseERKT_EUlibE_EEviT1_
		.amdhsa_group_segment_fixed_size 0
		.amdhsa_private_segment_fixed_size 0
		.amdhsa_kernarg_size 32
		.amdhsa_user_sgpr_count 6
		.amdhsa_user_sgpr_private_segment_buffer 1
		.amdhsa_user_sgpr_dispatch_ptr 0
		.amdhsa_user_sgpr_queue_ptr 0
		.amdhsa_user_sgpr_kernarg_segment_ptr 1
		.amdhsa_user_sgpr_dispatch_id 0
		.amdhsa_user_sgpr_flat_scratch_init 0
		.amdhsa_user_sgpr_private_segment_size 0
		.amdhsa_uses_dynamic_stack 0
		.amdhsa_system_sgpr_private_segment_wavefront_offset 0
		.amdhsa_system_sgpr_workgroup_id_x 1
		.amdhsa_system_sgpr_workgroup_id_y 0
		.amdhsa_system_sgpr_workgroup_id_z 0
		.amdhsa_system_sgpr_workgroup_info 0
		.amdhsa_system_vgpr_workitem_id 0
		.amdhsa_next_free_vgpr 23
		.amdhsa_next_free_sgpr 61
		.amdhsa_reserve_vcc 1
		.amdhsa_reserve_flat_scratch 0
		.amdhsa_float_round_mode_32 0
		.amdhsa_float_round_mode_16_64 0
		.amdhsa_float_denorm_mode_32 3
		.amdhsa_float_denorm_mode_16_64 3
		.amdhsa_dx10_clamp 1
		.amdhsa_ieee_mode 1
		.amdhsa_fp16_overflow 0
		.amdhsa_exception_fp_ieee_invalid_op 0
		.amdhsa_exception_fp_denorm_src 0
		.amdhsa_exception_fp_ieee_div_zero 0
		.amdhsa_exception_fp_ieee_overflow 0
		.amdhsa_exception_fp_ieee_underflow 0
		.amdhsa_exception_fp_ieee_inexact 0
		.amdhsa_exception_int_div_zero 0
	.end_amdhsa_kernel
	.section	.text._ZN2at6native32elementwise_kernel_manual_unrollILi128ELi4EZNS0_15gpu_kernel_implINS0_11FillFunctorIN3c107complexINS4_4HalfEEEEEEEvRNS_18TensorIteratorBaseERKT_EUlibE_EEviT1_,"axG",@progbits,_ZN2at6native32elementwise_kernel_manual_unrollILi128ELi4EZNS0_15gpu_kernel_implINS0_11FillFunctorIN3c107complexINS4_4HalfEEEEEEEvRNS_18TensorIteratorBaseERKT_EUlibE_EEviT1_,comdat
.Lfunc_end78:
	.size	_ZN2at6native32elementwise_kernel_manual_unrollILi128ELi4EZNS0_15gpu_kernel_implINS0_11FillFunctorIN3c107complexINS4_4HalfEEEEEEEvRNS_18TensorIteratorBaseERKT_EUlibE_EEviT1_, .Lfunc_end78-_ZN2at6native32elementwise_kernel_manual_unrollILi128ELi4EZNS0_15gpu_kernel_implINS0_11FillFunctorIN3c107complexINS4_4HalfEEEEEEEvRNS_18TensorIteratorBaseERKT_EUlibE_EEviT1_
                                        ; -- End function
	.set _ZN2at6native32elementwise_kernel_manual_unrollILi128ELi4EZNS0_15gpu_kernel_implINS0_11FillFunctorIN3c107complexINS4_4HalfEEEEEEEvRNS_18TensorIteratorBaseERKT_EUlibE_EEviT1_.num_vgpr, 23
	.set _ZN2at6native32elementwise_kernel_manual_unrollILi128ELi4EZNS0_15gpu_kernel_implINS0_11FillFunctorIN3c107complexINS4_4HalfEEEEEEEvRNS_18TensorIteratorBaseERKT_EUlibE_EEviT1_.num_agpr, 0
	.set _ZN2at6native32elementwise_kernel_manual_unrollILi128ELi4EZNS0_15gpu_kernel_implINS0_11FillFunctorIN3c107complexINS4_4HalfEEEEEEEvRNS_18TensorIteratorBaseERKT_EUlibE_EEviT1_.numbered_sgpr, 61
	.set _ZN2at6native32elementwise_kernel_manual_unrollILi128ELi4EZNS0_15gpu_kernel_implINS0_11FillFunctorIN3c107complexINS4_4HalfEEEEEEEvRNS_18TensorIteratorBaseERKT_EUlibE_EEviT1_.num_named_barrier, 0
	.set _ZN2at6native32elementwise_kernel_manual_unrollILi128ELi4EZNS0_15gpu_kernel_implINS0_11FillFunctorIN3c107complexINS4_4HalfEEEEEEEvRNS_18TensorIteratorBaseERKT_EUlibE_EEviT1_.private_seg_size, 0
	.set _ZN2at6native32elementwise_kernel_manual_unrollILi128ELi4EZNS0_15gpu_kernel_implINS0_11FillFunctorIN3c107complexINS4_4HalfEEEEEEEvRNS_18TensorIteratorBaseERKT_EUlibE_EEviT1_.uses_vcc, 1
	.set _ZN2at6native32elementwise_kernel_manual_unrollILi128ELi4EZNS0_15gpu_kernel_implINS0_11FillFunctorIN3c107complexINS4_4HalfEEEEEEEvRNS_18TensorIteratorBaseERKT_EUlibE_EEviT1_.uses_flat_scratch, 0
	.set _ZN2at6native32elementwise_kernel_manual_unrollILi128ELi4EZNS0_15gpu_kernel_implINS0_11FillFunctorIN3c107complexINS4_4HalfEEEEEEEvRNS_18TensorIteratorBaseERKT_EUlibE_EEviT1_.has_dyn_sized_stack, 0
	.set _ZN2at6native32elementwise_kernel_manual_unrollILi128ELi4EZNS0_15gpu_kernel_implINS0_11FillFunctorIN3c107complexINS4_4HalfEEEEEEEvRNS_18TensorIteratorBaseERKT_EUlibE_EEviT1_.has_recursion, 0
	.set _ZN2at6native32elementwise_kernel_manual_unrollILi128ELi4EZNS0_15gpu_kernel_implINS0_11FillFunctorIN3c107complexINS4_4HalfEEEEEEEvRNS_18TensorIteratorBaseERKT_EUlibE_EEviT1_.has_indirect_call, 0
	.section	.AMDGPU.csdata,"",@progbits
; Kernel info:
; codeLenInByte = 12704
; TotalNumSgprs: 65
; NumVgprs: 23
; ScratchSize: 0
; MemoryBound: 0
; FloatMode: 240
; IeeeMode: 1
; LDSByteSize: 0 bytes/workgroup (compile time only)
; SGPRBlocks: 8
; VGPRBlocks: 5
; NumSGPRsForWavesPerEU: 65
; NumVGPRsForWavesPerEU: 23
; Occupancy: 10
; WaveLimiterHint : 0
; COMPUTE_PGM_RSRC2:SCRATCH_EN: 0
; COMPUTE_PGM_RSRC2:USER_SGPR: 6
; COMPUTE_PGM_RSRC2:TRAP_HANDLER: 0
; COMPUTE_PGM_RSRC2:TGID_X_EN: 1
; COMPUTE_PGM_RSRC2:TGID_Y_EN: 0
; COMPUTE_PGM_RSRC2:TGID_Z_EN: 0
; COMPUTE_PGM_RSRC2:TIDIG_COMP_CNT: 0
	.section	.text._ZN2at6native32elementwise_kernel_manual_unrollILi128ELi4EZNS0_15gpu_kernel_implINS0_11FillFunctorIN3c107complexINS4_4HalfEEEEEEEvRNS_18TensorIteratorBaseERKT_EUlibE0_EEviT1_,"axG",@progbits,_ZN2at6native32elementwise_kernel_manual_unrollILi128ELi4EZNS0_15gpu_kernel_implINS0_11FillFunctorIN3c107complexINS4_4HalfEEEEEEEvRNS_18TensorIteratorBaseERKT_EUlibE0_EEviT1_,comdat
	.protected	_ZN2at6native32elementwise_kernel_manual_unrollILi128ELi4EZNS0_15gpu_kernel_implINS0_11FillFunctorIN3c107complexINS4_4HalfEEEEEEEvRNS_18TensorIteratorBaseERKT_EUlibE0_EEviT1_ ; -- Begin function _ZN2at6native32elementwise_kernel_manual_unrollILi128ELi4EZNS0_15gpu_kernel_implINS0_11FillFunctorIN3c107complexINS4_4HalfEEEEEEEvRNS_18TensorIteratorBaseERKT_EUlibE0_EEviT1_
	.globl	_ZN2at6native32elementwise_kernel_manual_unrollILi128ELi4EZNS0_15gpu_kernel_implINS0_11FillFunctorIN3c107complexINS4_4HalfEEEEEEEvRNS_18TensorIteratorBaseERKT_EUlibE0_EEviT1_
	.p2align	8
	.type	_ZN2at6native32elementwise_kernel_manual_unrollILi128ELi4EZNS0_15gpu_kernel_implINS0_11FillFunctorIN3c107complexINS4_4HalfEEEEEEEvRNS_18TensorIteratorBaseERKT_EUlibE0_EEviT1_,@function
_ZN2at6native32elementwise_kernel_manual_unrollILi128ELi4EZNS0_15gpu_kernel_implINS0_11FillFunctorIN3c107complexINS4_4HalfEEEEEEEvRNS_18TensorIteratorBaseERKT_EUlibE0_EEviT1_: ; @_ZN2at6native32elementwise_kernel_manual_unrollILi128ELi4EZNS0_15gpu_kernel_implINS0_11FillFunctorIN3c107complexINS4_4HalfEEEEEEEvRNS_18TensorIteratorBaseERKT_EUlibE0_EEviT1_
; %bb.0:
	s_load_dword s89, s[4:5], 0x0
	s_load_dword s33, s[4:5], 0x8
	s_add_u32 s34, s4, 8
	s_addc_u32 s35, s5, 0
	v_lshl_or_b32 v13, s6, 9, v0
	v_or_b32_e32 v8, 0x180, v13
	s_waitcnt lgkmcnt(0)
	s_add_i32 s80, s33, -1
	s_cmp_gt_u32 s80, 1
	v_cmp_le_i32_e32 vcc, s89, v8
	s_cselect_b64 s[36:37], -1, 0
	s_mov_b64 s[6:7], 0
	s_mov_b64 s[20:21], 0
	s_and_saveexec_b64 s[0:1], vcc
	s_xor_b64 s[38:39], exec, s[0:1]
	s_cbranch_execz .LBB79_462
; %bb.1:
	s_load_dwordx2 s[56:57], s[34:35], 0xc4
	s_load_dwordx4 s[16:19], s[34:35], 0x108
	s_cmp_lg_u32 s33, 0
	s_cselect_b64 s[64:65], -1, 0
	s_add_u32 s62, s34, 0xc4
	s_movk_i32 s0, 0xff
	s_waitcnt lgkmcnt(0)
	v_cvt_f32_f16_e32 v6, s18
	s_addc_u32 s63, s35, 0
	s_min_u32 s90, s80, 15
	s_cmp_gt_u32 s33, 1
	v_and_b32_e32 v2, 0x400000, v6
	v_bfe_u32 v1, v6, 23, 8
	v_cmp_ne_u32_e32 vcc, 0, v2
	v_and_b32_e32 v2, 0x3fffff, v6
	v_cmp_eq_u32_e64 s[4:5], s0, v1
	v_or_b32_e32 v1, v1, v2
	v_cmp_ne_u32_e64 s[0:1], 0, v1
	v_readfirstlane_b32 s8, v6
	s_cselect_b64 s[60:61], -1, 0
	s_and_b64 s[0:1], vcc, s[0:1]
	s_and_b32 s9, s8, 0x7fffffff
	s_cmp_lt_u32 s9, 0x43800000
	s_cselect_b64 s[52:53], -1, 0
	s_cmp_gt_u32 s9, 0x3bffffff
	v_cndmask_b32_e64 v1, 0, 1, s[0:1]
	s_cselect_b64 s[2:3], -1, 0
	s_bfe_u32 s0, s8, 0x10014
	s_add_i32 s10, s8, s0
	s_add_i32 s0, s10, 0x487ffff
	s_lshr_b32 s88, s0, 20
	s_mov_b32 s0, 0x46000000
	v_add_f32_e64 v18, |v6|, s0
	v_readfirstlane_b32 s0, v18
	s_and_b32 s0, s0, 0xff
	s_cmp_lg_u32 s0, 0
	s_cselect_b64 s[54:55], -1, 0
	s_cmp_gt_u32 s9, 0x477fffff
	s_cselect_b64 s[40:41], -1, 0
	s_cmp_lt_u32 s9, 0x47800000
	s_movk_i32 s0, 0x80
	s_cselect_b64 s[48:49], -1, 0
	s_cmp_gt_u32 s9, 0x37ffffff
	v_and_b32_sdwa v15, v6, s0 dst_sel:DWORD dst_unused:UNUSED_PAD src0_sel:BYTE_3 src1_sel:DWORD
	s_cselect_b64 s[0:1], -1, 0
	s_bfe_u32 s11, s8, 0x10015
	s_add_i32 s8, s8, s11
	s_add_i32 s11, s8, 0x88fffff
	s_lshr_b32 s86, s11, 21
	s_mov_b32 s11, 0x42800000
	v_add_f32_e64 v17, |v6|, s11
	v_readfirstlane_b32 s11, v17
	s_and_b32 s11, s11, 0xff
	s_cmp_lg_u32 s11, 0
	s_cselect_b64 s[50:51], -1, 0
	s_cmp_gt_u32 s9, 0x43efffff
	s_cselect_b64 s[44:45], -1, 0
	s_cmp_lt_u32 s9, 0x3c800000
	s_cselect_b64 s[46:47], -1, 0
	s_add_i32 s10, s10, 0x407ffff
	s_lshr_b32 s11, s10, 20
	s_and_b32 s10, s10, 0xff00000
	s_cmp_lg_u32 s10, 0x7f00000
	s_cselect_b32 s84, s11, 0x7e
	s_cmp_lt_u32 s9, 0x38800000
	s_cselect_b64 s[42:43], -1, 0
	s_add_i32 s8, s8, 0x80fffff
	s_lshr_b32 s81, s8, 21
	v_lshrrev_b32_e32 v0, 23, v6
	s_mov_b32 s10, 0x46800000
	s_cmp_gt_u32 s9, 0x7f800000
	s_movk_i32 s8, 0x7f
	v_add_u32_e32 v20, v0, v1
	v_add_f32_e64 v0, |v6|, s10
	s_cselect_b32 s87, s8, 0x7e
	s_mov_b32 s8, 0x43000000
	v_readfirstlane_b32 s85, v0
	v_add_f32_e64 v0, |v6|, s8
	s_movk_i32 s8, 0x7c
	s_cselect_b32 s83, 0x7f, s8
	s_and_b32 s8, s18, 0x7fff7fff
	s_cmp_lg_u32 s8, 0
	s_cselect_b64 s[8:9], -1, 0
	s_lshr_b32 s10, s18, 16
	v_cvt_f32_f16_e32 v7, s10
	v_readfirstlane_b32 s82, v0
	v_bfe_u32 v0, v6, 16, 1
	v_add_u32_e32 v0, v6, v0
	v_bfe_u32 v4, v7, 16, 1
	v_add_u32_e32 v4, v7, v4
	v_add_u32_e32 v0, 0x7fff, v0
	;; [unrolled: 1-line block ×3, first 2 shown]
	s_load_dwordx4 s[20:23], s[34:35], 0x4
	s_load_dwordx2 s[58:59], s[34:35], 0x14
	v_lshrrev_b32_e32 v0, 16, v0
	v_mov_b32_e32 v1, 0x7fc0
	v_cmp_o_f16_e64 vcc, s18, s18
	v_and_b32_e32 v5, 0xffff0000, v4
	v_cvt_i32_f32_e32 v4, v6
	v_cvt_u32_f32_e32 v8, v6
	v_cndmask_b32_e32 v16, v1, v0, vcc
	v_cvt_f64_f32_e32 v[0:1], v6
	v_cvt_f64_f32_e32 v[2:3], v7
	v_mov_b32_e32 v10, 0x7fc00000
	v_cmp_o_f16_e64 vcc, s10, s10
	v_cndmask_b32_e32 v5, v10, v5, vcc
	v_mov_b32_e32 v9, 0
	v_cvt_u16_f16_e32 v19, s18
	v_cndmask_b32_e64 v14, 0, 1, s[8:9]
	v_or_b32_e32 v21, v5, v16
	v_ashrrev_i32_e32 v5, 31, v4
	v_cvt_i16_f16_e32 v12, s18
	v_cmp_gt_i32_e32 vcc, s89, v13
	s_mov_b64 s[10:11], -1
	s_mov_b64 s[72:73], 0
	s_mov_b64 s[66:67], 0
	s_and_saveexec_b64 s[68:69], vcc
	s_cbranch_execz .LBB79_114
; %bb.2:
	s_andn2_b64 vcc, exec, s[36:37]
	s_cbranch_vccnz .LBB79_7
; %bb.3:
	s_andn2_b64 vcc, exec, s[64:65]
	s_cbranch_vccnz .LBB79_8
; %bb.4:
	s_add_i32 s75, s90, 1
	s_cmp_eq_u32 s80, 2
	s_cbranch_scc1 .LBB79_9
; %bb.5:
	s_and_b32 s74, s75, 28
	s_mov_b32 s76, 0
	v_mov_b32_e32 v10, 0
	s_mov_b64 s[66:67], s[34:35]
	s_mov_b64 s[70:71], s[62:63]
	v_mov_b32_e32 v11, v13
.LBB79_6:                               ; =>This Inner Loop Header: Depth=1
	s_load_dwordx8 s[8:15], s[66:67], 0x4
	s_load_dwordx4 s[24:27], s[66:67], 0x24
	s_load_dwordx4 s[28:31], s[70:71], 0x0
	s_add_u32 s66, s66, 48
	s_addc_u32 s67, s67, 0
	s_waitcnt lgkmcnt(0)
	v_mul_hi_u32 v22, s9, v11
	s_add_i32 s76, s76, 4
	s_add_u32 s70, s70, 16
	s_addc_u32 s71, s71, 0
	v_add_u32_e32 v22, v11, v22
	v_lshrrev_b32_e32 v22, s10, v22
	v_mul_lo_u32 v23, v22, s8
	v_mul_hi_u32 v24, s12, v22
	s_cmp_lg_u32 s74, s76
	v_sub_u32_e32 v11, v11, v23
	v_add_u32_e32 v23, v22, v24
	v_lshrrev_b32_e32 v23, s13, v23
	v_mul_lo_u32 v24, v11, s28
	v_mul_hi_u32 v11, s15, v23
	v_mul_lo_u32 v26, v23, s11
	v_add_u32_e32 v11, v23, v11
	v_lshrrev_b32_e32 v25, s24, v11
	v_mul_hi_u32 v11, s26, v25
	v_sub_u32_e32 v22, v22, v26
	v_mul_lo_u32 v26, v25, s14
	v_mul_lo_u32 v22, v22, s29
	v_add_u32_e32 v11, v25, v11
	v_lshrrev_b32_e32 v11, s27, v11
	v_mul_lo_u32 v27, v11, s25
	v_sub_u32_e32 v23, v23, v26
	v_mul_lo_u32 v23, v23, s30
	v_add3_u32 v10, v24, v10, v22
	v_sub_u32_e32 v25, v25, v27
	v_mul_lo_u32 v25, v25, s31
	v_add3_u32 v10, v23, v10, v25
	s_cbranch_scc1 .LBB79_6
	s_branch .LBB79_10
.LBB79_7:
                                        ; implicit-def: $vgpr10
	s_branch .LBB79_14
.LBB79_8:
	v_mov_b32_e32 v10, 0
	s_branch .LBB79_13
.LBB79_9:
	v_mov_b32_e32 v10, 0
	s_mov_b32 s74, 0
	v_mov_b32_e32 v11, v13
.LBB79_10:
	s_and_b32 s12, s75, 3
	s_cmp_eq_u32 s12, 0
	s_cbranch_scc1 .LBB79_13
; %bb.11:
	s_lshl_b32 s8, s74, 2
	s_add_u32 s8, s34, s8
	s_addc_u32 s9, s35, 0
	s_add_u32 s8, s8, 0xc4
	s_addc_u32 s9, s9, 0
	s_mul_i32 s10, s74, 12
	s_add_u32 s10, s34, s10
	s_addc_u32 s11, s35, 0
.LBB79_12:                              ; =>This Inner Loop Header: Depth=1
	s_load_dwordx2 s[14:15], s[10:11], 0x4
	s_load_dword s13, s[10:11], 0xc
	s_add_u32 s10, s10, 12
	s_addc_u32 s11, s11, 0
	s_waitcnt lgkmcnt(0)
	v_mul_hi_u32 v22, s15, v11
	s_load_dword s15, s[8:9], 0x0
	s_add_u32 s8, s8, 4
	s_addc_u32 s9, s9, 0
	v_add_u32_e32 v22, v11, v22
	v_lshrrev_b32_e32 v22, s13, v22
	v_mul_lo_u32 v23, v22, s14
	s_add_i32 s12, s12, -1
	s_cmp_lg_u32 s12, 0
	v_sub_u32_e32 v11, v11, v23
	s_waitcnt lgkmcnt(0)
	v_mad_u64_u32 v[10:11], s[14:15], v11, s15, v[10:11]
	v_mov_b32_e32 v11, v22
	s_cbranch_scc1 .LBB79_12
.LBB79_13:
	s_cbranch_execnz .LBB79_16
.LBB79_14:
	s_waitcnt lgkmcnt(0)
	v_mul_hi_u32 v10, s21, v13
	s_andn2_b64 vcc, exec, s[60:61]
	v_add_u32_e32 v10, v13, v10
	v_lshrrev_b32_e32 v11, s22, v10
	v_mul_lo_u32 v10, v11, s20
	v_sub_u32_e32 v10, v13, v10
	v_mul_lo_u32 v10, v10, s56
	s_cbranch_vccnz .LBB79_16
; %bb.15:
	v_mul_hi_u32 v22, s58, v11
	v_add_u32_e32 v22, v11, v22
	v_lshrrev_b32_e32 v22, s59, v22
	v_mul_lo_u32 v22, v22, s23
	v_sub_u32_e32 v11, v11, v22
	v_mad_u64_u32 v[10:11], s[8:9], v11, s57, v[10:11]
.LBB79_16:
	v_mov_b32_e32 v11, s17
	s_and_b32 s14, s19, 0xff
	v_add_co_u32_e32 v10, vcc, s16, v10
	s_cmp_lt_i32 s14, 11
	v_addc_co_u32_e32 v11, vcc, 0, v11, vcc
	s_cbranch_scc1 .LBB79_23
; %bb.17:
	s_and_b32 s15, 0xffff, s14
	s_cmp_gt_i32 s15, 25
	s_cbranch_scc0 .LBB79_26
; %bb.18:
	s_cmp_gt_i32 s15, 28
	s_cbranch_scc0 .LBB79_27
; %bb.19:
	;; [unrolled: 3-line block ×4, first 2 shown]
	s_mov_b64 s[12:13], 0
	s_mov_b64 s[8:9], -1
	s_cmp_eq_u32 s15, 46
	s_mov_b64 s[10:11], 0
	s_cbranch_scc0 .LBB79_30
; %bb.22:
	global_store_dword v[10:11], v21, off
	s_mov_b64 s[10:11], -1
	s_mov_b64 s[8:9], 0
	s_branch .LBB79_30
.LBB79_23:
	s_mov_b64 s[8:9], 0
	s_mov_b64 s[10:11], 0
	s_cbranch_execnz .LBB79_74
.LBB79_24:
	s_andn2_b64 vcc, exec, s[10:11]
	s_cbranch_vccnz .LBB79_112
.LBB79_25:
	v_add_u32_e32 v13, 0x80, v13
	s_mov_b64 s[10:11], -1
	s_branch .LBB79_113
.LBB79_26:
	s_mov_b64 s[8:9], 0
	s_mov_b64 s[10:11], 0
	s_cbranch_execnz .LBB79_52
	s_branch .LBB79_73
.LBB79_27:
	s_mov_b64 s[12:13], -1
	s_mov_b64 s[8:9], 0
	s_mov_b64 s[10:11], 0
	s_branch .LBB79_38
.LBB79_28:
	s_mov_b64 s[12:13], -1
	s_mov_b64 s[8:9], 0
	s_mov_b64 s[10:11], 0
	s_branch .LBB79_34
.LBB79_29:
	s_mov_b64 s[12:13], -1
	s_mov_b64 s[8:9], 0
	s_mov_b64 s[10:11], 0
.LBB79_30:
	s_and_b64 vcc, exec, s[12:13]
	s_cbranch_vccz .LBB79_33
; %bb.31:
	s_cmp_eq_u32 s15, 44
	s_mov_b64 s[8:9], -1
	s_cbranch_scc0 .LBB79_33
; %bb.32:
	v_mov_b32_e32 v22, 0xffff
	v_cndmask_b32_e64 v22, v20, v22, s[4:5]
	global_store_byte v[10:11], v22, off
	s_mov_b64 s[10:11], -1
	s_mov_b64 s[8:9], 0
.LBB79_33:
	s_mov_b64 s[12:13], 0
.LBB79_34:
	s_and_b64 vcc, exec, s[12:13]
	s_cbranch_vccz .LBB79_37
; %bb.35:
	s_cmp_eq_u32 s15, 29
	s_mov_b64 s[8:9], -1
	s_cbranch_scc0 .LBB79_37
; %bb.36:
	global_store_dwordx2 v[10:11], v[8:9], off
	s_mov_b64 s[10:11], -1
	s_mov_b64 s[8:9], 0
.LBB79_37:
	s_mov_b64 s[12:13], 0
.LBB79_38:
	s_and_b64 vcc, exec, s[12:13]
	s_cbranch_vccz .LBB79_51
; %bb.39:
	s_cmp_lt_i32 s15, 27
	s_mov_b64 s[10:11], -1
	s_cbranch_scc1 .LBB79_45
; %bb.40:
	s_cmp_gt_i32 s15, 27
	s_cbranch_scc0 .LBB79_42
; %bb.41:
	s_mov_b64 s[10:11], 0
	global_store_dword v[10:11], v8, off
.LBB79_42:
	s_andn2_b64 vcc, exec, s[10:11]
	s_cbranch_vccnz .LBB79_44
; %bb.43:
	global_store_short v[10:11], v19, off
.LBB79_44:
	s_mov_b64 s[10:11], 0
.LBB79_45:
	s_andn2_b64 vcc, exec, s[10:11]
	s_cbranch_vccnz .LBB79_50
; %bb.46:
	s_andn2_b64 vcc, exec, s[52:53]
	v_mov_b32_e32 v22, 0x80
	s_cbranch_vccnz .LBB79_49
; %bb.47:
	s_or_b64 s[10:11], s[2:3], s[54:55]
	s_andn2_b64 vcc, exec, s[10:11]
	v_mov_b32_e32 v22, 0
	s_cbranch_vccnz .LBB79_49
; %bb.48:
	v_mov_b32_e32 v22, s88
	v_cndmask_b32_e64 v22, v18, v22, s[2:3]
	v_or_b32_e32 v22, v22, v15
.LBB79_49:
	global_store_byte v[10:11], v22, off
.LBB79_50:
	s_mov_b64 s[10:11], -1
.LBB79_51:
	s_branch .LBB79_73
.LBB79_52:
	s_cmp_gt_i32 s15, 22
	s_mov_b64 s[12:13], -1
	s_cbranch_scc0 .LBB79_65
; %bb.53:
	s_cmp_lt_i32 s15, 24
	s_mov_b64 s[10:11], -1
	s_cbranch_scc1 .LBB79_62
; %bb.54:
	s_cmp_gt_i32 s15, 24
	s_cbranch_scc0 .LBB79_59
; %bb.55:
	s_andn2_b64 vcc, exec, s[48:49]
	v_mov_b32_e32 v22, 0x80
	s_cbranch_vccnz .LBB79_58
; %bb.56:
	s_or_b64 s[10:11], s[0:1], s[50:51]
	s_andn2_b64 vcc, exec, s[10:11]
	v_mov_b32_e32 v22, 0
	s_cbranch_vccnz .LBB79_58
; %bb.57:
	v_mov_b32_e32 v22, s86
	v_cndmask_b32_e64 v22, v17, v22, s[0:1]
	v_or_b32_e32 v22, v22, v15
.LBB79_58:
	s_mov_b64 s[10:11], 0
	global_store_byte v[10:11], v22, off
.LBB79_59:
	s_and_b64 vcc, exec, s[10:11]
	s_cbranch_vccz .LBB79_61
; %bb.60:
	s_and_b64 s[10:11], s[46:47], exec
	s_cselect_b32 s12, s85, s84
	s_and_b64 s[10:11], s[44:45], exec
	s_cselect_b32 s10, s87, s12
	v_or_b32_e32 v22, s10, v15
	global_store_byte v[10:11], v22, off
.LBB79_61:
	s_mov_b64 s[10:11], 0
.LBB79_62:
	s_andn2_b64 vcc, exec, s[10:11]
	s_cbranch_vccnz .LBB79_64
; %bb.63:
	s_and_b64 s[10:11], s[42:43], exec
	s_cselect_b32 s12, s82, s81
	s_and_b64 s[10:11], s[40:41], exec
	s_cselect_b32 s10, s83, s12
	v_or_b32_e32 v22, s10, v15
	global_store_byte v[10:11], v22, off
.LBB79_64:
	s_mov_b64 s[12:13], 0
	s_mov_b64 s[10:11], -1
.LBB79_65:
	s_andn2_b64 vcc, exec, s[12:13]
	s_cbranch_vccnz .LBB79_73
; %bb.66:
	s_cmp_gt_i32 s15, 14
	s_mov_b64 s[12:13], -1
	s_cbranch_scc0 .LBB79_70
; %bb.67:
	s_cmp_eq_u32 s15, 15
	s_mov_b64 s[8:9], -1
	s_cbranch_scc0 .LBB79_69
; %bb.68:
	global_store_short v[10:11], v16, off
	s_mov_b64 s[10:11], -1
	s_mov_b64 s[8:9], 0
.LBB79_69:
	s_mov_b64 s[12:13], 0
.LBB79_70:
	s_and_b64 vcc, exec, s[12:13]
	s_cbranch_vccz .LBB79_73
; %bb.71:
	s_cmp_eq_u32 s15, 11
	s_mov_b64 s[8:9], -1
	s_cbranch_scc0 .LBB79_73
; %bb.72:
	s_mov_b64 s[10:11], -1
	s_mov_b64 s[8:9], 0
	global_store_byte v[10:11], v14, off
.LBB79_73:
	s_branch .LBB79_24
.LBB79_74:
	s_and_b32 s12, 0xffff, s14
	s_cmp_lt_i32 s12, 5
	s_mov_b64 s[10:11], -1
	s_cbranch_scc1 .LBB79_95
; %bb.75:
	s_cmp_lt_i32 s12, 8
	s_cbranch_scc1 .LBB79_85
; %bb.76:
	s_cmp_lt_i32 s12, 9
	s_cbranch_scc1 .LBB79_82
; %bb.77:
	s_cmp_gt_i32 s12, 9
	s_cbranch_scc0 .LBB79_79
; %bb.78:
	global_store_dwordx4 v[10:11], v[0:3], off
	s_mov_b64 s[10:11], 0
.LBB79_79:
	s_andn2_b64 vcc, exec, s[10:11]
	s_cbranch_vccnz .LBB79_81
; %bb.80:
	global_store_dwordx2 v[10:11], v[6:7], off
.LBB79_81:
	s_mov_b64 s[10:11], 0
.LBB79_82:
	s_andn2_b64 vcc, exec, s[10:11]
	s_cbranch_vccnz .LBB79_84
; %bb.83:
	v_mov_b32_e32 v22, s18
	global_store_dword v[10:11], v22, off
.LBB79_84:
	s_mov_b64 s[10:11], 0
.LBB79_85:
	s_andn2_b64 vcc, exec, s[10:11]
	s_cbranch_vccnz .LBB79_94
; %bb.86:
	s_cmp_lt_i32 s12, 6
	s_mov_b64 s[10:11], -1
	s_cbranch_scc1 .LBB79_92
; %bb.87:
	s_cmp_gt_i32 s12, 6
	s_cbranch_scc0 .LBB79_89
; %bb.88:
	global_store_dwordx2 v[10:11], v[0:1], off
	s_mov_b64 s[10:11], 0
.LBB79_89:
	s_andn2_b64 vcc, exec, s[10:11]
	s_cbranch_vccnz .LBB79_91
; %bb.90:
	global_store_dword v[10:11], v6, off
.LBB79_91:
	s_mov_b64 s[10:11], 0
.LBB79_92:
	s_andn2_b64 vcc, exec, s[10:11]
	s_cbranch_vccnz .LBB79_94
; %bb.93:
	v_mov_b32_e32 v22, s18
	global_store_short v[10:11], v22, off
.LBB79_94:
	s_mov_b64 s[10:11], 0
.LBB79_95:
	s_andn2_b64 vcc, exec, s[10:11]
	s_cbranch_vccnz .LBB79_111
; %bb.96:
	s_cmp_lt_i32 s12, 2
	s_mov_b64 s[10:11], -1
	s_cbranch_scc1 .LBB79_106
; %bb.97:
	s_cmp_lt_i32 s12, 3
	s_cbranch_scc1 .LBB79_103
; %bb.98:
	s_cmp_gt_i32 s12, 3
	s_cbranch_scc0 .LBB79_100
; %bb.99:
	global_store_dwordx2 v[10:11], v[4:5], off
	s_mov_b64 s[10:11], 0
.LBB79_100:
	s_andn2_b64 vcc, exec, s[10:11]
	s_cbranch_vccnz .LBB79_102
; %bb.101:
	global_store_dword v[10:11], v4, off
.LBB79_102:
	s_mov_b64 s[10:11], 0
.LBB79_103:
	s_andn2_b64 vcc, exec, s[10:11]
	s_cbranch_vccnz .LBB79_105
; %bb.104:
	global_store_short v[10:11], v12, off
.LBB79_105:
	s_mov_b64 s[10:11], 0
.LBB79_106:
	s_andn2_b64 vcc, exec, s[10:11]
	s_cbranch_vccnz .LBB79_111
; %bb.107:
	s_cmp_gt_i32 s12, 0
	s_mov_b64 s[10:11], -1
	s_cbranch_scc0 .LBB79_109
; %bb.108:
	global_store_byte v[10:11], v12, off
	s_mov_b64 s[10:11], 0
.LBB79_109:
	s_andn2_b64 vcc, exec, s[10:11]
	s_cbranch_vccnz .LBB79_111
; %bb.110:
	global_store_byte v[10:11], v4, off
.LBB79_111:
	s_branch .LBB79_25
.LBB79_112:
	s_mov_b64 s[10:11], 0
                                        ; implicit-def: $vgpr13
.LBB79_113:
	s_and_b64 s[66:67], s[8:9], exec
	s_orn2_b64 s[10:11], s[10:11], exec
.LBB79_114:
	s_or_b64 exec, exec, s[68:69]
	s_mov_b64 s[8:9], 0
                                        ; implicit-def: $sgpr24
                                        ; implicit-def: $vgpr10_vgpr11
	s_and_saveexec_b64 s[68:69], s[10:11]
	s_cbranch_execz .LBB79_121
; %bb.115:
	v_cmp_gt_i32_e32 vcc, s89, v13
	s_mov_b64 s[8:9], -1
	s_mov_b64 s[70:71], s[66:67]
	s_and_saveexec_b64 s[72:73], vcc
	s_cbranch_execz .LBB79_232
; %bb.116:
	s_andn2_b64 vcc, exec, s[36:37]
	s_cbranch_vccnz .LBB79_124
; %bb.117:
	s_andn2_b64 vcc, exec, s[64:65]
	s_cbranch_vccnz .LBB79_125
; %bb.118:
	s_add_i32 s77, s90, 1
	s_cmp_eq_u32 s80, 2
	s_cbranch_scc1 .LBB79_126
; %bb.119:
	s_and_b32 s76, s77, 28
	s_mov_b32 s78, 0
	v_mov_b32_e32 v10, 0
	s_mov_b64 s[70:71], s[34:35]
	s_mov_b64 s[74:75], s[62:63]
	v_mov_b32_e32 v11, v13
.LBB79_120:                             ; =>This Inner Loop Header: Depth=1
	s_load_dwordx8 s[8:15], s[70:71], 0x4
	s_load_dwordx4 s[24:27], s[70:71], 0x24
	s_load_dwordx4 s[28:31], s[74:75], 0x0
	s_add_u32 s70, s70, 48
	s_addc_u32 s71, s71, 0
	s_waitcnt lgkmcnt(0)
	v_mul_hi_u32 v22, s9, v11
	s_add_i32 s78, s78, 4
	s_add_u32 s74, s74, 16
	s_addc_u32 s75, s75, 0
	v_add_u32_e32 v22, v11, v22
	v_lshrrev_b32_e32 v22, s10, v22
	v_mul_lo_u32 v23, v22, s8
	v_mul_hi_u32 v24, s12, v22
	s_cmp_eq_u32 s76, s78
	v_sub_u32_e32 v11, v11, v23
	v_add_u32_e32 v23, v22, v24
	v_lshrrev_b32_e32 v23, s13, v23
	v_mul_lo_u32 v24, v11, s28
	v_mul_hi_u32 v11, s15, v23
	v_mul_lo_u32 v26, v23, s11
	v_add_u32_e32 v11, v23, v11
	v_lshrrev_b32_e32 v25, s24, v11
	v_mul_hi_u32 v11, s26, v25
	v_sub_u32_e32 v22, v22, v26
	v_mul_lo_u32 v26, v25, s14
	v_mul_lo_u32 v22, v22, s29
	v_add_u32_e32 v11, v25, v11
	v_lshrrev_b32_e32 v11, s27, v11
	v_mul_lo_u32 v27, v11, s25
	v_sub_u32_e32 v23, v23, v26
	v_mul_lo_u32 v23, v23, s30
	v_add3_u32 v10, v24, v10, v22
	v_sub_u32_e32 v25, v25, v27
	v_mul_lo_u32 v25, v25, s31
	v_add3_u32 v10, v23, v10, v25
	s_cbranch_scc0 .LBB79_120
	s_branch .LBB79_127
.LBB79_121:
	s_or_b64 exec, exec, s[68:69]
	s_mov_b64 s[0:1], 0
	s_and_saveexec_b64 s[2:3], s[66:67]
	s_cbranch_execnz .LBB79_422
.LBB79_122:
	s_or_b64 exec, exec, s[2:3]
	s_and_saveexec_b64 s[2:3], s[72:73]
	s_xor_b64 s[2:3], exec, s[2:3]
	s_cbranch_execz .LBB79_423
.LBB79_123:
	global_store_byte v[10:11], v14, off
	s_or_b64 exec, exec, s[2:3]
	s_and_saveexec_b64 s[2:3], s[8:9]
	s_xor_b64 s[2:3], exec, s[2:3]
	s_cbranch_execz .LBB79_461
	s_branch .LBB79_424
.LBB79_124:
                                        ; implicit-def: $vgpr10
	s_andn2_b64 vcc, exec, s[8:9]
	s_cbranch_vccz .LBB79_131
	s_branch .LBB79_133
.LBB79_125:
	v_mov_b32_e32 v10, 0
	s_branch .LBB79_130
.LBB79_126:
	v_mov_b32_e32 v10, 0
	s_mov_b32 s76, 0
	v_mov_b32_e32 v11, v13
.LBB79_127:
	s_and_b32 s12, s77, 3
	s_cmp_eq_u32 s12, 0
	s_cbranch_scc1 .LBB79_130
; %bb.128:
	s_lshl_b32 s8, s76, 2
	s_add_u32 s8, s34, s8
	s_addc_u32 s9, s35, 0
	s_add_u32 s8, s8, 0xc4
	s_addc_u32 s9, s9, 0
	s_mul_i32 s10, s76, 12
	s_add_u32 s10, s34, s10
	s_addc_u32 s11, s35, 0
.LBB79_129:                             ; =>This Inner Loop Header: Depth=1
	s_load_dwordx2 s[14:15], s[10:11], 0x4
	s_load_dword s13, s[10:11], 0xc
	s_add_u32 s10, s10, 12
	s_addc_u32 s11, s11, 0
	s_waitcnt lgkmcnt(0)
	v_mul_hi_u32 v22, s15, v11
	s_load_dword s15, s[8:9], 0x0
	s_add_u32 s8, s8, 4
	s_addc_u32 s9, s9, 0
	v_add_u32_e32 v22, v11, v22
	v_lshrrev_b32_e32 v22, s13, v22
	v_mul_lo_u32 v23, v22, s14
	s_add_i32 s12, s12, -1
	s_cmp_lg_u32 s12, 0
	v_sub_u32_e32 v11, v11, v23
	s_waitcnt lgkmcnt(0)
	v_mad_u64_u32 v[10:11], s[14:15], v11, s15, v[10:11]
	v_mov_b32_e32 v11, v22
	s_cbranch_scc1 .LBB79_129
.LBB79_130:
	s_cbranch_execnz .LBB79_133
.LBB79_131:
	s_waitcnt lgkmcnt(0)
	v_mul_hi_u32 v10, s21, v13
	s_andn2_b64 vcc, exec, s[60:61]
	v_add_u32_e32 v10, v13, v10
	v_lshrrev_b32_e32 v11, s22, v10
	v_mul_lo_u32 v10, v11, s20
	v_sub_u32_e32 v10, v13, v10
	v_mul_lo_u32 v10, v10, s56
	s_cbranch_vccnz .LBB79_133
; %bb.132:
	v_mul_hi_u32 v22, s58, v11
	v_add_u32_e32 v22, v11, v22
	v_lshrrev_b32_e32 v22, s59, v22
	v_mul_lo_u32 v22, v22, s23
	v_sub_u32_e32 v11, v11, v22
	v_mad_u64_u32 v[10:11], s[8:9], v11, s57, v[10:11]
.LBB79_133:
	v_mov_b32_e32 v11, s17
	s_and_b32 s14, s19, 0xff
	v_add_co_u32_e32 v10, vcc, s16, v10
	s_cmp_lt_i32 s14, 11
	v_addc_co_u32_e32 v11, vcc, 0, v11, vcc
	s_cbranch_scc1 .LBB79_140
; %bb.134:
	s_and_b32 s15, 0xffff, s14
	s_cmp_gt_i32 s15, 25
	s_cbranch_scc0 .LBB79_143
; %bb.135:
	s_cmp_gt_i32 s15, 28
	s_cbranch_scc0 .LBB79_144
; %bb.136:
	;; [unrolled: 3-line block ×4, first 2 shown]
	s_mov_b64 s[12:13], 0
	s_mov_b64 s[8:9], -1
	s_cmp_eq_u32 s15, 46
	s_mov_b64 s[10:11], 0
	s_cbranch_scc0 .LBB79_147
; %bb.139:
	global_store_dword v[10:11], v21, off
	s_mov_b64 s[10:11], -1
	s_mov_b64 s[8:9], 0
	s_branch .LBB79_147
.LBB79_140:
	s_mov_b64 s[10:11], 0
	s_mov_b64 s[8:9], s[66:67]
	s_cbranch_execnz .LBB79_192
.LBB79_141:
	s_andn2_b64 vcc, exec, s[10:11]
	s_cbranch_vccnz .LBB79_230
.LBB79_142:
	v_add_u32_e32 v13, 0x80, v13
	s_mov_b64 s[10:11], -1
	s_branch .LBB79_231
.LBB79_143:
	s_mov_b64 s[12:13], -1
	s_mov_b64 s[10:11], 0
	s_mov_b64 s[8:9], s[66:67]
	s_branch .LBB79_169
.LBB79_144:
	s_mov_b64 s[12:13], -1
	s_mov_b64 s[10:11], 0
	s_mov_b64 s[8:9], s[66:67]
	s_branch .LBB79_155
.LBB79_145:
	s_mov_b64 s[12:13], -1
	s_mov_b64 s[10:11], 0
	s_mov_b64 s[8:9], s[66:67]
	s_branch .LBB79_151
.LBB79_146:
	s_mov_b64 s[12:13], -1
	s_mov_b64 s[10:11], 0
	s_mov_b64 s[8:9], s[66:67]
.LBB79_147:
	s_and_b64 vcc, exec, s[12:13]
	s_cbranch_vccz .LBB79_150
; %bb.148:
	s_cmp_eq_u32 s15, 44
	s_mov_b64 s[8:9], -1
	s_cbranch_scc0 .LBB79_150
; %bb.149:
	v_mov_b32_e32 v22, 0xffff
	v_cndmask_b32_e64 v22, v20, v22, s[4:5]
	s_mov_b64 s[10:11], -1
	s_mov_b64 s[8:9], 0
	global_store_byte v[10:11], v22, off
.LBB79_150:
	s_mov_b64 s[12:13], 0
.LBB79_151:
	s_and_b64 vcc, exec, s[12:13]
	s_cbranch_vccz .LBB79_154
; %bb.152:
	s_cmp_eq_u32 s15, 29
	s_mov_b64 s[8:9], -1
	s_cbranch_scc0 .LBB79_154
; %bb.153:
	global_store_dwordx2 v[10:11], v[8:9], off
	s_mov_b64 s[10:11], -1
	s_mov_b64 s[8:9], 0
.LBB79_154:
	s_mov_b64 s[12:13], 0
.LBB79_155:
	s_and_b64 vcc, exec, s[12:13]
	s_cbranch_vccz .LBB79_168
; %bb.156:
	s_cmp_lt_i32 s15, 27
	s_mov_b64 s[10:11], -1
	s_cbranch_scc1 .LBB79_162
; %bb.157:
	s_cmp_gt_i32 s15, 27
	s_cbranch_scc0 .LBB79_159
; %bb.158:
	s_mov_b64 s[10:11], 0
	global_store_dword v[10:11], v8, off
.LBB79_159:
	s_andn2_b64 vcc, exec, s[10:11]
	s_cbranch_vccnz .LBB79_161
; %bb.160:
	global_store_short v[10:11], v19, off
.LBB79_161:
	s_mov_b64 s[10:11], 0
.LBB79_162:
	s_andn2_b64 vcc, exec, s[10:11]
	s_cbranch_vccnz .LBB79_167
; %bb.163:
	s_andn2_b64 vcc, exec, s[52:53]
	v_mov_b32_e32 v22, 0x80
	s_cbranch_vccnz .LBB79_166
; %bb.164:
	s_or_b64 s[10:11], s[2:3], s[54:55]
	s_andn2_b64 vcc, exec, s[10:11]
	v_mov_b32_e32 v22, 0
	s_cbranch_vccnz .LBB79_166
; %bb.165:
	v_mov_b32_e32 v22, s88
	v_cndmask_b32_e64 v22, v18, v22, s[2:3]
	v_or_b32_e32 v22, v22, v15
.LBB79_166:
	global_store_byte v[10:11], v22, off
.LBB79_167:
	s_mov_b64 s[10:11], -1
.LBB79_168:
	s_mov_b64 s[12:13], 0
.LBB79_169:
	s_and_b64 vcc, exec, s[12:13]
	s_cbranch_vccz .LBB79_191
; %bb.170:
	s_cmp_gt_i32 s15, 22
	s_mov_b64 s[12:13], -1
	s_cbranch_scc0 .LBB79_183
; %bb.171:
	s_cmp_lt_i32 s15, 24
	s_mov_b64 s[10:11], -1
	s_cbranch_scc1 .LBB79_180
; %bb.172:
	s_cmp_gt_i32 s15, 24
	s_cbranch_scc0 .LBB79_177
; %bb.173:
	s_andn2_b64 vcc, exec, s[48:49]
	v_mov_b32_e32 v22, 0x80
	s_cbranch_vccnz .LBB79_176
; %bb.174:
	s_or_b64 s[10:11], s[0:1], s[50:51]
	s_andn2_b64 vcc, exec, s[10:11]
	v_mov_b32_e32 v22, 0
	s_cbranch_vccnz .LBB79_176
; %bb.175:
	v_mov_b32_e32 v22, s86
	v_cndmask_b32_e64 v22, v17, v22, s[0:1]
	v_or_b32_e32 v22, v22, v15
.LBB79_176:
	s_mov_b64 s[10:11], 0
	global_store_byte v[10:11], v22, off
.LBB79_177:
	s_and_b64 vcc, exec, s[10:11]
	s_cbranch_vccz .LBB79_179
; %bb.178:
	s_and_b64 s[10:11], s[46:47], exec
	s_cselect_b32 s12, s85, s84
	s_and_b64 s[10:11], s[44:45], exec
	s_cselect_b32 s10, s87, s12
	v_or_b32_e32 v22, s10, v15
	global_store_byte v[10:11], v22, off
.LBB79_179:
	s_mov_b64 s[10:11], 0
.LBB79_180:
	s_andn2_b64 vcc, exec, s[10:11]
	s_cbranch_vccnz .LBB79_182
; %bb.181:
	s_and_b64 s[10:11], s[42:43], exec
	s_cselect_b32 s12, s82, s81
	s_and_b64 s[10:11], s[40:41], exec
	s_cselect_b32 s10, s83, s12
	v_or_b32_e32 v22, s10, v15
	global_store_byte v[10:11], v22, off
.LBB79_182:
	s_mov_b64 s[12:13], 0
	s_mov_b64 s[10:11], -1
.LBB79_183:
	s_andn2_b64 vcc, exec, s[12:13]
	s_cbranch_vccnz .LBB79_191
; %bb.184:
	s_cmp_gt_i32 s15, 14
	s_mov_b64 s[12:13], -1
	s_cbranch_scc0 .LBB79_188
; %bb.185:
	s_cmp_eq_u32 s15, 15
	s_mov_b64 s[8:9], -1
	s_cbranch_scc0 .LBB79_187
; %bb.186:
	global_store_short v[10:11], v16, off
	s_mov_b64 s[10:11], -1
	s_mov_b64 s[8:9], 0
.LBB79_187:
	s_mov_b64 s[12:13], 0
.LBB79_188:
	s_and_b64 vcc, exec, s[12:13]
	s_cbranch_vccz .LBB79_191
; %bb.189:
	s_cmp_eq_u32 s15, 11
	s_mov_b64 s[8:9], -1
	s_cbranch_scc0 .LBB79_191
; %bb.190:
	s_mov_b64 s[10:11], -1
	s_mov_b64 s[8:9], 0
	global_store_byte v[10:11], v14, off
.LBB79_191:
	s_branch .LBB79_141
.LBB79_192:
	s_and_b32 s12, 0xffff, s14
	s_cmp_lt_i32 s12, 5
	s_mov_b64 s[10:11], -1
	s_cbranch_scc1 .LBB79_213
; %bb.193:
	s_cmp_lt_i32 s12, 8
	s_cbranch_scc1 .LBB79_203
; %bb.194:
	s_cmp_lt_i32 s12, 9
	s_cbranch_scc1 .LBB79_200
; %bb.195:
	s_cmp_gt_i32 s12, 9
	s_cbranch_scc0 .LBB79_197
; %bb.196:
	s_mov_b64 s[10:11], 0
	global_store_dwordx4 v[10:11], v[0:3], off
.LBB79_197:
	s_andn2_b64 vcc, exec, s[10:11]
	s_cbranch_vccnz .LBB79_199
; %bb.198:
	global_store_dwordx2 v[10:11], v[6:7], off
.LBB79_199:
	s_mov_b64 s[10:11], 0
.LBB79_200:
	s_andn2_b64 vcc, exec, s[10:11]
	s_cbranch_vccnz .LBB79_202
; %bb.201:
	v_mov_b32_e32 v22, s18
	global_store_dword v[10:11], v22, off
.LBB79_202:
	s_mov_b64 s[10:11], 0
.LBB79_203:
	s_andn2_b64 vcc, exec, s[10:11]
	s_cbranch_vccnz .LBB79_212
; %bb.204:
	s_cmp_lt_i32 s12, 6
	s_mov_b64 s[10:11], -1
	s_cbranch_scc1 .LBB79_210
; %bb.205:
	s_cmp_gt_i32 s12, 6
	s_cbranch_scc0 .LBB79_207
; %bb.206:
	s_mov_b64 s[10:11], 0
	global_store_dwordx2 v[10:11], v[0:1], off
.LBB79_207:
	s_andn2_b64 vcc, exec, s[10:11]
	s_cbranch_vccnz .LBB79_209
; %bb.208:
	global_store_dword v[10:11], v6, off
.LBB79_209:
	s_mov_b64 s[10:11], 0
.LBB79_210:
	s_andn2_b64 vcc, exec, s[10:11]
	s_cbranch_vccnz .LBB79_212
; %bb.211:
	v_mov_b32_e32 v22, s18
	global_store_short v[10:11], v22, off
.LBB79_212:
	s_mov_b64 s[10:11], 0
.LBB79_213:
	s_andn2_b64 vcc, exec, s[10:11]
	s_cbranch_vccnz .LBB79_229
; %bb.214:
	s_cmp_lt_i32 s12, 2
	s_mov_b64 s[10:11], -1
	s_cbranch_scc1 .LBB79_224
; %bb.215:
	s_cmp_lt_i32 s12, 3
	s_cbranch_scc1 .LBB79_221
; %bb.216:
	s_cmp_gt_i32 s12, 3
	s_cbranch_scc0 .LBB79_218
; %bb.217:
	s_mov_b64 s[10:11], 0
	global_store_dwordx2 v[10:11], v[4:5], off
.LBB79_218:
	s_andn2_b64 vcc, exec, s[10:11]
	s_cbranch_vccnz .LBB79_220
; %bb.219:
	global_store_dword v[10:11], v4, off
.LBB79_220:
	s_mov_b64 s[10:11], 0
.LBB79_221:
	s_andn2_b64 vcc, exec, s[10:11]
	s_cbranch_vccnz .LBB79_223
; %bb.222:
	global_store_short v[10:11], v12, off
.LBB79_223:
	s_mov_b64 s[10:11], 0
.LBB79_224:
	s_andn2_b64 vcc, exec, s[10:11]
	s_cbranch_vccnz .LBB79_229
; %bb.225:
	s_cmp_gt_i32 s12, 0
	s_mov_b64 s[10:11], -1
	s_cbranch_scc0 .LBB79_227
; %bb.226:
	s_mov_b64 s[10:11], 0
	global_store_byte v[10:11], v12, off
.LBB79_227:
	s_andn2_b64 vcc, exec, s[10:11]
	s_cbranch_vccnz .LBB79_229
; %bb.228:
	global_store_byte v[10:11], v4, off
.LBB79_229:
	s_branch .LBB79_142
.LBB79_230:
	s_mov_b64 s[10:11], 0
                                        ; implicit-def: $vgpr13
.LBB79_231:
	s_andn2_b64 s[12:13], s[66:67], exec
	s_and_b64 s[8:9], s[8:9], exec
	s_or_b64 s[70:71], s[12:13], s[8:9]
	s_orn2_b64 s[8:9], s[10:11], exec
.LBB79_232:
	s_or_b64 exec, exec, s[72:73]
	s_mov_b64 s[10:11], 0
	s_mov_b64 s[12:13], 0
                                        ; implicit-def: $sgpr24
                                        ; implicit-def: $vgpr10_vgpr11
	s_and_saveexec_b64 s[72:73], s[8:9]
	s_cbranch_execz .LBB79_421
; %bb.233:
	v_cmp_gt_i32_e32 vcc, s89, v13
	s_mov_b64 s[10:11], -1
	s_mov_b64 s[76:77], s[70:71]
	s_and_saveexec_b64 s[74:75], vcc
	s_cbranch_execz .LBB79_349
; %bb.234:
	s_andn2_b64 vcc, exec, s[36:37]
	s_cbranch_vccnz .LBB79_239
; %bb.235:
	s_andn2_b64 vcc, exec, s[64:65]
	s_cbranch_vccnz .LBB79_240
; %bb.236:
	s_add_i32 s92, s90, 1
	s_cmp_eq_u32 s80, 2
	s_cbranch_scc1 .LBB79_241
; %bb.237:
	s_and_b32 s91, s92, 28
	s_mov_b32 s93, 0
	v_mov_b32_e32 v10, 0
	s_mov_b64 s[76:77], s[34:35]
	s_mov_b64 s[78:79], s[62:63]
	v_mov_b32_e32 v11, v13
.LBB79_238:                             ; =>This Inner Loop Header: Depth=1
	s_load_dwordx8 s[8:15], s[76:77], 0x4
	s_load_dwordx4 s[24:27], s[76:77], 0x24
	s_load_dwordx4 s[28:31], s[78:79], 0x0
	s_add_u32 s76, s76, 48
	s_addc_u32 s77, s77, 0
	s_waitcnt lgkmcnt(0)
	v_mul_hi_u32 v22, s9, v11
	s_add_i32 s93, s93, 4
	s_add_u32 s78, s78, 16
	s_addc_u32 s79, s79, 0
	v_add_u32_e32 v22, v11, v22
	v_lshrrev_b32_e32 v22, s10, v22
	v_mul_lo_u32 v23, v22, s8
	v_mul_hi_u32 v24, s12, v22
	s_cmp_eq_u32 s91, s93
	v_sub_u32_e32 v11, v11, v23
	v_add_u32_e32 v23, v22, v24
	v_lshrrev_b32_e32 v23, s13, v23
	v_mul_lo_u32 v24, v11, s28
	v_mul_hi_u32 v11, s15, v23
	v_mul_lo_u32 v26, v23, s11
	v_add_u32_e32 v11, v23, v11
	v_lshrrev_b32_e32 v25, s24, v11
	v_mul_hi_u32 v11, s26, v25
	v_sub_u32_e32 v22, v22, v26
	v_mul_lo_u32 v26, v25, s14
	v_mul_lo_u32 v22, v22, s29
	v_add_u32_e32 v11, v25, v11
	v_lshrrev_b32_e32 v11, s27, v11
	v_mul_lo_u32 v27, v11, s25
	v_sub_u32_e32 v23, v23, v26
	v_mul_lo_u32 v23, v23, s30
	v_add3_u32 v10, v24, v10, v22
	v_sub_u32_e32 v25, v25, v27
	v_mul_lo_u32 v25, v25, s31
	v_add3_u32 v10, v23, v10, v25
	s_cbranch_scc0 .LBB79_238
	s_branch .LBB79_242
.LBB79_239:
	s_mov_b64 s[8:9], -1
                                        ; implicit-def: $vgpr10
	s_branch .LBB79_246
.LBB79_240:
	v_mov_b32_e32 v10, 0
	s_branch .LBB79_245
.LBB79_241:
	v_mov_b32_e32 v10, 0
	s_mov_b32 s91, 0
	v_mov_b32_e32 v11, v13
.LBB79_242:
	s_and_b32 s12, s92, 3
	s_cmp_eq_u32 s12, 0
	s_cbranch_scc1 .LBB79_245
; %bb.243:
	s_lshl_b32 s8, s91, 2
	s_add_u32 s8, s34, s8
	s_addc_u32 s9, s35, 0
	s_add_u32 s8, s8, 0xc4
	s_addc_u32 s9, s9, 0
	s_mul_i32 s10, s91, 12
	s_add_u32 s10, s34, s10
	s_addc_u32 s11, s35, 0
.LBB79_244:                             ; =>This Inner Loop Header: Depth=1
	s_load_dwordx2 s[14:15], s[10:11], 0x4
	s_load_dword s13, s[10:11], 0xc
	s_add_u32 s10, s10, 12
	s_addc_u32 s11, s11, 0
	s_waitcnt lgkmcnt(0)
	v_mul_hi_u32 v22, s15, v11
	s_load_dword s15, s[8:9], 0x0
	s_add_u32 s8, s8, 4
	s_addc_u32 s9, s9, 0
	v_add_u32_e32 v22, v11, v22
	v_lshrrev_b32_e32 v22, s13, v22
	v_mul_lo_u32 v23, v22, s14
	s_add_i32 s12, s12, -1
	s_cmp_lg_u32 s12, 0
	v_sub_u32_e32 v11, v11, v23
	s_waitcnt lgkmcnt(0)
	v_mad_u64_u32 v[10:11], s[14:15], v11, s15, v[10:11]
	v_mov_b32_e32 v11, v22
	s_cbranch_scc1 .LBB79_244
.LBB79_245:
	s_mov_b64 s[8:9], 0
.LBB79_246:
	s_andn2_b64 vcc, exec, s[8:9]
	s_cbranch_vccnz .LBB79_249
; %bb.247:
	s_waitcnt lgkmcnt(0)
	v_mul_hi_u32 v10, s21, v13
	s_andn2_b64 vcc, exec, s[60:61]
	v_add_u32_e32 v10, v13, v10
	v_lshrrev_b32_e32 v11, s22, v10
	v_mul_lo_u32 v10, v11, s20
	v_sub_u32_e32 v10, v13, v10
	v_mul_lo_u32 v10, v10, s56
	s_cbranch_vccnz .LBB79_249
; %bb.248:
	v_mul_hi_u32 v22, s58, v11
	v_add_u32_e32 v22, v11, v22
	v_lshrrev_b32_e32 v22, s59, v22
	v_mul_lo_u32 v22, v22, s23
	v_sub_u32_e32 v11, v11, v22
	v_mad_u64_u32 v[10:11], s[8:9], v11, s57, v[10:11]
.LBB79_249:
	v_mov_b32_e32 v11, s17
	s_and_b32 s14, s19, 0xff
	v_add_co_u32_e32 v10, vcc, s16, v10
	s_cmp_lt_i32 s14, 11
	v_addc_co_u32_e32 v11, vcc, 0, v11, vcc
	s_cbranch_scc1 .LBB79_256
; %bb.250:
	s_and_b32 s15, 0xffff, s14
	s_cmp_gt_i32 s15, 25
	s_cbranch_scc0 .LBB79_257
; %bb.251:
	s_cmp_gt_i32 s15, 28
	s_cbranch_scc0 .LBB79_258
; %bb.252:
	;; [unrolled: 3-line block ×4, first 2 shown]
	s_mov_b64 s[12:13], 0
	s_mov_b64 s[8:9], -1
	s_cmp_eq_u32 s15, 46
	s_mov_b64 s[10:11], 0
	s_cbranch_scc0 .LBB79_261
; %bb.255:
	global_store_dword v[10:11], v21, off
	s_mov_b64 s[10:11], -1
	s_mov_b64 s[8:9], 0
	s_branch .LBB79_261
.LBB79_256:
	s_mov_b64 s[12:13], -1
	s_mov_b64 s[10:11], 0
	s_mov_b64 s[8:9], s[70:71]
	s_branch .LBB79_306
.LBB79_257:
	s_mov_b64 s[12:13], -1
	s_mov_b64 s[10:11], 0
	s_mov_b64 s[8:9], s[70:71]
	s_branch .LBB79_283
.LBB79_258:
	s_mov_b64 s[12:13], -1
	s_mov_b64 s[10:11], 0
	s_mov_b64 s[8:9], s[70:71]
	s_branch .LBB79_269
.LBB79_259:
	s_mov_b64 s[12:13], -1
	s_mov_b64 s[10:11], 0
	s_mov_b64 s[8:9], s[70:71]
	s_branch .LBB79_265
.LBB79_260:
	s_mov_b64 s[12:13], -1
	s_mov_b64 s[10:11], 0
	s_mov_b64 s[8:9], s[70:71]
.LBB79_261:
	s_and_b64 vcc, exec, s[12:13]
	s_cbranch_vccz .LBB79_264
; %bb.262:
	s_cmp_eq_u32 s15, 44
	s_mov_b64 s[8:9], -1
	s_cbranch_scc0 .LBB79_264
; %bb.263:
	v_mov_b32_e32 v22, 0xffff
	v_cndmask_b32_e64 v22, v20, v22, s[4:5]
	s_mov_b64 s[10:11], -1
	s_mov_b64 s[8:9], 0
	global_store_byte v[10:11], v22, off
.LBB79_264:
	s_mov_b64 s[12:13], 0
.LBB79_265:
	s_and_b64 vcc, exec, s[12:13]
	s_cbranch_vccz .LBB79_268
; %bb.266:
	s_cmp_eq_u32 s15, 29
	s_mov_b64 s[8:9], -1
	s_cbranch_scc0 .LBB79_268
; %bb.267:
	global_store_dwordx2 v[10:11], v[8:9], off
	s_mov_b64 s[10:11], -1
	s_mov_b64 s[8:9], 0
.LBB79_268:
	s_mov_b64 s[12:13], 0
.LBB79_269:
	s_and_b64 vcc, exec, s[12:13]
	s_cbranch_vccz .LBB79_282
; %bb.270:
	s_cmp_lt_i32 s15, 27
	s_mov_b64 s[10:11], -1
	s_cbranch_scc1 .LBB79_276
; %bb.271:
	s_cmp_gt_i32 s15, 27
	s_cbranch_scc0 .LBB79_273
; %bb.272:
	s_mov_b64 s[10:11], 0
	global_store_dword v[10:11], v8, off
.LBB79_273:
	s_andn2_b64 vcc, exec, s[10:11]
	s_cbranch_vccnz .LBB79_275
; %bb.274:
	global_store_short v[10:11], v19, off
.LBB79_275:
	s_mov_b64 s[10:11], 0
.LBB79_276:
	s_andn2_b64 vcc, exec, s[10:11]
	s_cbranch_vccnz .LBB79_281
; %bb.277:
	s_andn2_b64 vcc, exec, s[52:53]
	v_mov_b32_e32 v22, 0x80
	s_cbranch_vccnz .LBB79_280
; %bb.278:
	s_or_b64 s[10:11], s[2:3], s[54:55]
	s_andn2_b64 vcc, exec, s[10:11]
	v_mov_b32_e32 v22, 0
	s_cbranch_vccnz .LBB79_280
; %bb.279:
	v_mov_b32_e32 v22, s88
	v_cndmask_b32_e64 v22, v18, v22, s[2:3]
	v_or_b32_e32 v22, v22, v15
.LBB79_280:
	global_store_byte v[10:11], v22, off
.LBB79_281:
	s_mov_b64 s[10:11], -1
.LBB79_282:
	s_mov_b64 s[12:13], 0
.LBB79_283:
	s_and_b64 vcc, exec, s[12:13]
	s_cbranch_vccz .LBB79_305
; %bb.284:
	s_cmp_gt_i32 s15, 22
	s_mov_b64 s[12:13], -1
	s_cbranch_scc0 .LBB79_297
; %bb.285:
	s_cmp_lt_i32 s15, 24
	s_mov_b64 s[10:11], -1
	s_cbranch_scc1 .LBB79_294
; %bb.286:
	s_cmp_gt_i32 s15, 24
	s_cbranch_scc0 .LBB79_291
; %bb.287:
	s_andn2_b64 vcc, exec, s[48:49]
	v_mov_b32_e32 v22, 0x80
	s_cbranch_vccnz .LBB79_290
; %bb.288:
	s_or_b64 s[10:11], s[0:1], s[50:51]
	s_andn2_b64 vcc, exec, s[10:11]
	v_mov_b32_e32 v22, 0
	s_cbranch_vccnz .LBB79_290
; %bb.289:
	v_mov_b32_e32 v22, s86
	v_cndmask_b32_e64 v22, v17, v22, s[0:1]
	v_or_b32_e32 v22, v22, v15
.LBB79_290:
	s_mov_b64 s[10:11], 0
	global_store_byte v[10:11], v22, off
.LBB79_291:
	s_and_b64 vcc, exec, s[10:11]
	s_cbranch_vccz .LBB79_293
; %bb.292:
	s_and_b64 s[10:11], s[46:47], exec
	s_cselect_b32 s12, s85, s84
	s_and_b64 s[10:11], s[44:45], exec
	s_cselect_b32 s10, s87, s12
	v_or_b32_e32 v22, s10, v15
	global_store_byte v[10:11], v22, off
.LBB79_293:
	s_mov_b64 s[10:11], 0
.LBB79_294:
	s_andn2_b64 vcc, exec, s[10:11]
	s_cbranch_vccnz .LBB79_296
; %bb.295:
	s_and_b64 s[10:11], s[42:43], exec
	s_cselect_b32 s12, s82, s81
	s_and_b64 s[10:11], s[40:41], exec
	s_cselect_b32 s10, s83, s12
	v_or_b32_e32 v22, s10, v15
	global_store_byte v[10:11], v22, off
.LBB79_296:
	s_mov_b64 s[12:13], 0
	s_mov_b64 s[10:11], -1
.LBB79_297:
	s_andn2_b64 vcc, exec, s[12:13]
	s_cbranch_vccnz .LBB79_305
; %bb.298:
	s_cmp_gt_i32 s15, 14
	s_mov_b64 s[12:13], -1
	s_cbranch_scc0 .LBB79_302
; %bb.299:
	s_cmp_eq_u32 s15, 15
	s_mov_b64 s[8:9], -1
	s_cbranch_scc0 .LBB79_301
; %bb.300:
	global_store_short v[10:11], v16, off
	s_mov_b64 s[10:11], -1
	s_mov_b64 s[8:9], 0
.LBB79_301:
	s_mov_b64 s[12:13], 0
.LBB79_302:
	s_and_b64 vcc, exec, s[12:13]
	s_cbranch_vccz .LBB79_305
; %bb.303:
	s_cmp_eq_u32 s15, 11
	s_mov_b64 s[8:9], -1
	s_cbranch_scc0 .LBB79_305
; %bb.304:
	s_mov_b64 s[10:11], -1
	s_mov_b64 s[8:9], 0
	global_store_byte v[10:11], v14, off
.LBB79_305:
	s_mov_b64 s[12:13], 0
.LBB79_306:
	s_and_b64 vcc, exec, s[12:13]
	s_cbranch_vccz .LBB79_345
; %bb.307:
	s_and_b32 s12, 0xffff, s14
	s_cmp_lt_i32 s12, 5
	s_mov_b64 s[10:11], -1
	s_cbranch_scc1 .LBB79_328
; %bb.308:
	s_cmp_lt_i32 s12, 8
	s_cbranch_scc1 .LBB79_318
; %bb.309:
	s_cmp_lt_i32 s12, 9
	s_cbranch_scc1 .LBB79_315
; %bb.310:
	s_cmp_gt_i32 s12, 9
	s_cbranch_scc0 .LBB79_312
; %bb.311:
	s_mov_b64 s[10:11], 0
	global_store_dwordx4 v[10:11], v[0:3], off
.LBB79_312:
	s_andn2_b64 vcc, exec, s[10:11]
	s_cbranch_vccnz .LBB79_314
; %bb.313:
	global_store_dwordx2 v[10:11], v[6:7], off
.LBB79_314:
	s_mov_b64 s[10:11], 0
.LBB79_315:
	s_andn2_b64 vcc, exec, s[10:11]
	s_cbranch_vccnz .LBB79_317
; %bb.316:
	v_mov_b32_e32 v22, s18
	global_store_dword v[10:11], v22, off
.LBB79_317:
	s_mov_b64 s[10:11], 0
.LBB79_318:
	s_andn2_b64 vcc, exec, s[10:11]
	s_cbranch_vccnz .LBB79_327
; %bb.319:
	s_cmp_lt_i32 s12, 6
	s_mov_b64 s[10:11], -1
	s_cbranch_scc1 .LBB79_325
; %bb.320:
	s_cmp_gt_i32 s12, 6
	s_cbranch_scc0 .LBB79_322
; %bb.321:
	s_mov_b64 s[10:11], 0
	global_store_dwordx2 v[10:11], v[0:1], off
.LBB79_322:
	s_andn2_b64 vcc, exec, s[10:11]
	s_cbranch_vccnz .LBB79_324
; %bb.323:
	global_store_dword v[10:11], v6, off
.LBB79_324:
	s_mov_b64 s[10:11], 0
.LBB79_325:
	s_andn2_b64 vcc, exec, s[10:11]
	s_cbranch_vccnz .LBB79_327
; %bb.326:
	v_mov_b32_e32 v22, s18
	global_store_short v[10:11], v22, off
.LBB79_327:
	s_mov_b64 s[10:11], 0
.LBB79_328:
	s_andn2_b64 vcc, exec, s[10:11]
	s_cbranch_vccnz .LBB79_344
; %bb.329:
	s_cmp_lt_i32 s12, 2
	s_mov_b64 s[10:11], -1
	s_cbranch_scc1 .LBB79_339
; %bb.330:
	s_cmp_lt_i32 s12, 3
	s_cbranch_scc1 .LBB79_336
; %bb.331:
	s_cmp_gt_i32 s12, 3
	s_cbranch_scc0 .LBB79_333
; %bb.332:
	s_mov_b64 s[10:11], 0
	global_store_dwordx2 v[10:11], v[4:5], off
.LBB79_333:
	s_andn2_b64 vcc, exec, s[10:11]
	s_cbranch_vccnz .LBB79_335
; %bb.334:
	global_store_dword v[10:11], v4, off
.LBB79_335:
	s_mov_b64 s[10:11], 0
.LBB79_336:
	s_andn2_b64 vcc, exec, s[10:11]
	s_cbranch_vccnz .LBB79_338
; %bb.337:
	global_store_short v[10:11], v12, off
.LBB79_338:
	s_mov_b64 s[10:11], 0
.LBB79_339:
	s_andn2_b64 vcc, exec, s[10:11]
	s_cbranch_vccnz .LBB79_344
; %bb.340:
	s_cmp_gt_i32 s12, 0
	s_mov_b64 s[10:11], -1
	s_cbranch_scc0 .LBB79_342
; %bb.341:
	s_mov_b64 s[10:11], 0
	global_store_byte v[10:11], v12, off
.LBB79_342:
	s_andn2_b64 vcc, exec, s[10:11]
	s_cbranch_vccnz .LBB79_344
; %bb.343:
	global_store_byte v[10:11], v4, off
.LBB79_344:
	s_mov_b64 s[10:11], -1
.LBB79_345:
	s_andn2_b64 vcc, exec, s[10:11]
	s_cbranch_vccnz .LBB79_347
; %bb.346:
	v_add_u32_e32 v13, 0x80, v13
	s_mov_b64 s[10:11], -1
	s_branch .LBB79_348
.LBB79_347:
	s_mov_b64 s[10:11], 0
                                        ; implicit-def: $vgpr13
.LBB79_348:
	s_andn2_b64 s[12:13], s[70:71], exec
	s_and_b64 s[8:9], s[8:9], exec
	s_or_b64 s[76:77], s[12:13], s[8:9]
	s_orn2_b64 s[10:11], s[10:11], exec
.LBB79_349:
	s_or_b64 exec, exec, s[74:75]
	s_mov_b64 s[8:9], 0
	s_mov_b64 s[14:15], 0
                                        ; implicit-def: $sgpr24
                                        ; implicit-def: $vgpr10_vgpr11
	s_and_saveexec_b64 s[74:75], s[10:11]
	s_cbranch_execz .LBB79_420
; %bb.350:
	v_cmp_gt_i32_e32 vcc, s89, v13
	s_mov_b64 s[10:11], 0
	s_mov_b64 s[12:13], s[76:77]
                                        ; implicit-def: $sgpr24
                                        ; implicit-def: $vgpr10_vgpr11
	s_and_saveexec_b64 s[78:79], vcc
	s_cbranch_execz .LBB79_419
; %bb.351:
	s_andn2_b64 vcc, exec, s[36:37]
	s_cbranch_vccnz .LBB79_356
; %bb.352:
	s_andn2_b64 vcc, exec, s[64:65]
	s_cbranch_vccnz .LBB79_357
; %bb.353:
	s_add_i32 s90, s90, 1
	s_cmp_eq_u32 s80, 2
	s_cbranch_scc1 .LBB79_358
; %bb.354:
	s_and_b32 s89, s90, 28
	s_mov_b32 s91, 0
	v_mov_b32_e32 v10, 0
	s_mov_b64 s[64:65], s[34:35]
	v_mov_b32_e32 v11, v13
.LBB79_355:                             ; =>This Inner Loop Header: Depth=1
	s_load_dwordx8 s[8:15], s[64:65], 0x4
	s_load_dwordx4 s[24:27], s[64:65], 0x24
	s_load_dwordx4 s[28:31], s[62:63], 0x0
	s_add_u32 s64, s64, 48
	s_addc_u32 s65, s65, 0
	s_waitcnt lgkmcnt(0)
	v_mul_hi_u32 v22, s9, v11
	s_add_i32 s91, s91, 4
	s_add_u32 s62, s62, 16
	s_addc_u32 s63, s63, 0
	v_add_u32_e32 v22, v11, v22
	v_lshrrev_b32_e32 v22, s10, v22
	v_mul_lo_u32 v23, v22, s8
	v_mul_hi_u32 v24, s12, v22
	s_cmp_eq_u32 s89, s91
	v_sub_u32_e32 v11, v11, v23
	v_add_u32_e32 v23, v22, v24
	v_lshrrev_b32_e32 v23, s13, v23
	v_mul_lo_u32 v24, v11, s28
	v_mul_hi_u32 v11, s15, v23
	v_mul_lo_u32 v26, v23, s11
	v_add_u32_e32 v11, v23, v11
	v_lshrrev_b32_e32 v25, s24, v11
	v_mul_hi_u32 v11, s26, v25
	v_sub_u32_e32 v22, v22, v26
	v_mul_lo_u32 v26, v25, s14
	v_mul_lo_u32 v22, v22, s29
	v_add_u32_e32 v11, v25, v11
	v_lshrrev_b32_e32 v11, s27, v11
	v_mul_lo_u32 v27, v11, s25
	v_sub_u32_e32 v23, v23, v26
	v_mul_lo_u32 v23, v23, s30
	v_add3_u32 v10, v24, v10, v22
	v_sub_u32_e32 v25, v25, v27
	v_mul_lo_u32 v25, v25, s31
	v_add3_u32 v10, v23, v10, v25
	s_cbranch_scc0 .LBB79_355
	s_branch .LBB79_359
.LBB79_356:
	s_mov_b64 s[8:9], -1
                                        ; implicit-def: $vgpr10
	s_branch .LBB79_363
.LBB79_357:
	v_mov_b32_e32 v10, 0
	s_branch .LBB79_362
.LBB79_358:
	v_mov_b32_e32 v10, 0
	s_mov_b32 s89, 0
	v_mov_b32_e32 v11, v13
.LBB79_359:
	s_and_b32 s12, s90, 3
	s_cmp_eq_u32 s12, 0
	s_cbranch_scc1 .LBB79_362
; %bb.360:
	s_lshl_b32 s8, s89, 2
	s_add_u32 s8, s34, s8
	s_addc_u32 s9, s35, 0
	s_add_u32 s8, s8, 0xc4
	s_addc_u32 s9, s9, 0
	s_mul_i32 s10, s89, 12
	s_add_u32 s10, s34, s10
	s_addc_u32 s11, s35, 0
.LBB79_361:                             ; =>This Inner Loop Header: Depth=1
	s_load_dwordx2 s[14:15], s[10:11], 0x4
	s_load_dword s13, s[10:11], 0xc
	s_add_u32 s10, s10, 12
	s_addc_u32 s11, s11, 0
	s_waitcnt lgkmcnt(0)
	v_mul_hi_u32 v22, s15, v11
	s_load_dword s15, s[8:9], 0x0
	s_add_u32 s8, s8, 4
	s_addc_u32 s9, s9, 0
	v_add_u32_e32 v22, v11, v22
	v_lshrrev_b32_e32 v22, s13, v22
	v_mul_lo_u32 v23, v22, s14
	s_add_i32 s12, s12, -1
	s_cmp_lg_u32 s12, 0
	v_sub_u32_e32 v11, v11, v23
	s_waitcnt lgkmcnt(0)
	v_mad_u64_u32 v[10:11], s[14:15], v11, s15, v[10:11]
	v_mov_b32_e32 v11, v22
	s_cbranch_scc1 .LBB79_361
.LBB79_362:
	s_mov_b64 s[8:9], 0
.LBB79_363:
	s_andn2_b64 vcc, exec, s[8:9]
	s_cbranch_vccnz .LBB79_366
; %bb.364:
	s_waitcnt lgkmcnt(0)
	v_mul_hi_u32 v10, s21, v13
	s_andn2_b64 vcc, exec, s[60:61]
	v_add_u32_e32 v10, v13, v10
	v_lshrrev_b32_e32 v11, s22, v10
	v_mul_lo_u32 v10, v11, s20
	v_sub_u32_e32 v10, v13, v10
	v_mul_lo_u32 v10, v10, s56
	s_cbranch_vccnz .LBB79_366
; %bb.365:
	v_mul_hi_u32 v13, s58, v11
	v_add_u32_e32 v13, v11, v13
	v_lshrrev_b32_e32 v13, s59, v13
	v_mul_lo_u32 v13, v13, s23
	v_sub_u32_e32 v11, v11, v13
	v_mad_u64_u32 v[10:11], s[8:9], v11, s57, v[10:11]
.LBB79_366:
	v_mov_b32_e32 v11, s17
	s_and_b32 s24, s19, 0xff
	v_add_co_u32_e32 v10, vcc, s16, v10
	s_cmp_lt_i32 s24, 11
	v_addc_co_u32_e32 v11, vcc, 0, v11, vcc
	s_cbranch_scc1 .LBB79_416
; %bb.367:
	s_and_b32 s12, 0xffff, s24
	s_mov_b64 s[10:11], -1
	s_cmp_gt_i32 s12, 25
	s_mov_b64 s[8:9], s[76:77]
	s_cbranch_scc0 .LBB79_395
; %bb.368:
	s_cmp_gt_i32 s12, 28
	s_mov_b64 s[8:9], s[76:77]
	s_cbranch_scc0 .LBB79_382
; %bb.369:
	;; [unrolled: 4-line block ×4, first 2 shown]
	s_cmp_eq_u32 s12, 46
	s_mov_b64 s[8:9], -1
	s_cbranch_scc0 .LBB79_373
; %bb.372:
	global_store_dword v[10:11], v21, off
	s_mov_b64 s[8:9], 0
.LBB79_373:
	s_mov_b64 s[10:11], 0
.LBB79_374:
	s_and_b64 vcc, exec, s[10:11]
	s_cbranch_vccz .LBB79_377
; %bb.375:
	s_cmp_eq_u32 s12, 44
	s_mov_b64 s[8:9], -1
	s_cbranch_scc0 .LBB79_377
; %bb.376:
	v_mov_b32_e32 v13, 0xffff
	v_cndmask_b32_e64 v13, v20, v13, s[4:5]
	global_store_byte v[10:11], v13, off
	s_mov_b64 s[8:9], 0
.LBB79_377:
	s_mov_b64 s[10:11], 0
.LBB79_378:
	s_and_b64 vcc, exec, s[10:11]
	s_cbranch_vccz .LBB79_381
; %bb.379:
	s_cmp_eq_u32 s12, 29
	s_mov_b64 s[8:9], -1
	s_cbranch_scc0 .LBB79_381
; %bb.380:
	global_store_dwordx2 v[10:11], v[8:9], off
	s_mov_b64 s[8:9], 0
.LBB79_381:
	s_mov_b64 s[10:11], 0
.LBB79_382:
	s_and_b64 vcc, exec, s[10:11]
	s_cbranch_vccz .LBB79_394
; %bb.383:
	s_cmp_lt_i32 s12, 27
	s_mov_b64 s[4:5], -1
	s_cbranch_scc1 .LBB79_389
; %bb.384:
	s_cmp_gt_i32 s12, 27
	s_cbranch_scc0 .LBB79_386
; %bb.385:
	s_mov_b64 s[4:5], 0
	global_store_dword v[10:11], v8, off
.LBB79_386:
	s_andn2_b64 vcc, exec, s[4:5]
	s_cbranch_vccnz .LBB79_388
; %bb.387:
	global_store_short v[10:11], v19, off
.LBB79_388:
	s_mov_b64 s[4:5], 0
.LBB79_389:
	s_andn2_b64 vcc, exec, s[4:5]
	s_cbranch_vccnz .LBB79_394
; %bb.390:
	s_andn2_b64 vcc, exec, s[52:53]
	v_mov_b32_e32 v8, 0x80
	s_cbranch_vccnz .LBB79_393
; %bb.391:
	s_or_b64 s[4:5], s[2:3], s[54:55]
	s_andn2_b64 vcc, exec, s[4:5]
	v_mov_b32_e32 v8, 0
	s_cbranch_vccnz .LBB79_393
; %bb.392:
	v_mov_b32_e32 v8, s88
	v_cndmask_b32_e64 v8, v18, v8, s[2:3]
	v_or_b32_e32 v8, v8, v15
.LBB79_393:
	global_store_byte v[10:11], v8, off
.LBB79_394:
	s_mov_b64 s[10:11], 0
.LBB79_395:
	s_mov_b64 s[2:3], 0
	s_and_b64 vcc, exec, s[10:11]
	s_cbranch_vccz .LBB79_417
; %bb.396:
	s_cmp_gt_i32 s12, 22
	s_mov_b64 s[4:5], -1
	s_cbranch_scc0 .LBB79_409
; %bb.397:
	s_cmp_lt_i32 s12, 24
	s_cbranch_scc1 .LBB79_406
; %bb.398:
	s_cmp_gt_i32 s12, 24
	s_cbranch_scc0 .LBB79_403
; %bb.399:
	s_andn2_b64 vcc, exec, s[48:49]
	v_mov_b32_e32 v8, 0x80
	s_cbranch_vccnz .LBB79_402
; %bb.400:
	s_or_b64 s[4:5], s[0:1], s[50:51]
	s_andn2_b64 vcc, exec, s[4:5]
	v_mov_b32_e32 v8, 0
	s_cbranch_vccnz .LBB79_402
; %bb.401:
	v_mov_b32_e32 v8, s86
	v_cndmask_b32_e64 v8, v17, v8, s[0:1]
	v_or_b32_e32 v8, v8, v15
.LBB79_402:
	s_mov_b64 s[4:5], 0
	global_store_byte v[10:11], v8, off
.LBB79_403:
	s_and_b64 vcc, exec, s[4:5]
	s_cbranch_vccz .LBB79_405
; %bb.404:
	s_and_b64 s[0:1], s[46:47], exec
	s_cselect_b32 s4, s85, s84
	s_and_b64 s[0:1], s[44:45], exec
	s_cselect_b32 s0, s87, s4
	v_or_b32_e32 v8, s0, v15
	global_store_byte v[10:11], v8, off
.LBB79_405:
	s_mov_b64 s[4:5], 0
.LBB79_406:
	s_andn2_b64 vcc, exec, s[4:5]
	s_cbranch_vccnz .LBB79_408
; %bb.407:
	s_and_b64 s[0:1], s[42:43], exec
	s_cselect_b32 s4, s82, s81
	s_and_b64 s[0:1], s[40:41], exec
	s_cselect_b32 s0, s83, s4
	v_or_b32_e32 v8, s0, v15
	global_store_byte v[10:11], v8, off
.LBB79_408:
	s_mov_b64 s[4:5], 0
.LBB79_409:
	s_andn2_b64 vcc, exec, s[4:5]
	s_mov_b64 s[0:1], 0
	s_cbranch_vccnz .LBB79_418
; %bb.410:
	s_cmp_gt_i32 s12, 14
	s_mov_b64 s[4:5], -1
	s_cbranch_scc0 .LBB79_414
; %bb.411:
	s_cmp_eq_u32 s12, 15
	s_mov_b64 s[8:9], -1
	s_cbranch_scc0 .LBB79_413
; %bb.412:
	global_store_short v[10:11], v16, off
	s_mov_b64 s[8:9], 0
.LBB79_413:
	s_mov_b64 s[4:5], 0
.LBB79_414:
	s_and_b64 vcc, exec, s[4:5]
	s_cbranch_vccz .LBB79_418
; %bb.415:
	s_cmp_lg_u32 s12, 11
	s_cselect_b64 s[4:5], -1, 0
	s_andn2_b64 s[8:9], s[8:9], exec
	s_and_b64 s[4:5], s[4:5], exec
	s_mov_b64 s[0:1], -1
	s_or_b64 s[8:9], s[8:9], s[4:5]
	s_branch .LBB79_418
.LBB79_416:
	s_mov_b64 s[0:1], 0
	s_mov_b64 s[2:3], -1
	s_mov_b64 s[8:9], s[76:77]
	s_branch .LBB79_418
.LBB79_417:
	s_mov_b64 s[0:1], 0
.LBB79_418:
	s_and_b64 s[14:15], s[2:3], exec
	s_and_b64 s[10:11], s[0:1], exec
	s_andn2_b64 s[0:1], s[76:77], exec
	s_and_b64 s[2:3], s[8:9], exec
	s_or_b64 s[12:13], s[0:1], s[2:3]
.LBB79_419:
	s_or_b64 exec, exec, s[78:79]
	s_andn2_b64 s[0:1], s[76:77], exec
	s_and_b64 s[2:3], s[12:13], exec
	s_and_b64 s[14:15], s[14:15], exec
	;; [unrolled: 1-line block ×3, first 2 shown]
	s_or_b64 s[76:77], s[0:1], s[2:3]
.LBB79_420:
	s_or_b64 exec, exec, s[74:75]
	s_andn2_b64 s[0:1], s[70:71], exec
	s_and_b64 s[2:3], s[76:77], exec
	s_and_b64 s[12:13], s[14:15], exec
	;; [unrolled: 1-line block ×3, first 2 shown]
	s_or_b64 s[70:71], s[0:1], s[2:3]
.LBB79_421:
	s_or_b64 exec, exec, s[72:73]
	s_andn2_b64 s[0:1], s[66:67], exec
	s_and_b64 s[2:3], s[70:71], exec
	s_and_b64 s[8:9], s[12:13], exec
	;; [unrolled: 1-line block ×3, first 2 shown]
	s_or_b64 s[66:67], s[0:1], s[2:3]
	s_or_b64 exec, exec, s[68:69]
	s_mov_b64 s[0:1], 0
	s_and_saveexec_b64 s[2:3], s[66:67]
	s_cbranch_execz .LBB79_122
.LBB79_422:
	s_mov_b64 s[0:1], exec
	s_andn2_b64 s[72:73], s[72:73], exec
	s_trap 2
	s_or_b64 exec, exec, s[2:3]
	s_and_saveexec_b64 s[2:3], s[72:73]
	s_xor_b64 s[2:3], exec, s[2:3]
	s_cbranch_execnz .LBB79_123
.LBB79_423:
	s_or_b64 exec, exec, s[2:3]
	s_and_saveexec_b64 s[2:3], s[8:9]
	s_xor_b64 s[2:3], exec, s[2:3]
	s_cbranch_execz .LBB79_461
.LBB79_424:
	s_sext_i32_i16 s8, s24
	s_cmp_lt_i32 s8, 5
	s_mov_b64 s[4:5], -1
	s_cbranch_scc1 .LBB79_445
; %bb.425:
	s_cmp_lt_i32 s8, 8
	s_cbranch_scc1 .LBB79_435
; %bb.426:
	s_cmp_lt_i32 s8, 9
	s_cbranch_scc1 .LBB79_432
; %bb.427:
	s_cmp_gt_i32 s8, 9
	s_cbranch_scc0 .LBB79_429
; %bb.428:
	s_mov_b64 s[4:5], 0
	global_store_dwordx4 v[10:11], v[0:3], off
.LBB79_429:
	s_andn2_b64 vcc, exec, s[4:5]
	s_cbranch_vccnz .LBB79_431
; %bb.430:
	global_store_dwordx2 v[10:11], v[6:7], off
.LBB79_431:
	s_mov_b64 s[4:5], 0
.LBB79_432:
	s_andn2_b64 vcc, exec, s[4:5]
	s_cbranch_vccnz .LBB79_434
; %bb.433:
	v_mov_b32_e32 v2, s18
	global_store_dword v[10:11], v2, off
.LBB79_434:
	s_mov_b64 s[4:5], 0
.LBB79_435:
	s_andn2_b64 vcc, exec, s[4:5]
	s_cbranch_vccnz .LBB79_444
; %bb.436:
	s_sext_i32_i16 s8, s24
	s_cmp_lt_i32 s8, 6
	s_mov_b64 s[4:5], -1
	s_cbranch_scc1 .LBB79_442
; %bb.437:
	s_cmp_gt_i32 s8, 6
	s_cbranch_scc0 .LBB79_439
; %bb.438:
	s_mov_b64 s[4:5], 0
	global_store_dwordx2 v[10:11], v[0:1], off
.LBB79_439:
	s_andn2_b64 vcc, exec, s[4:5]
	s_cbranch_vccnz .LBB79_441
; %bb.440:
	global_store_dword v[10:11], v6, off
.LBB79_441:
	s_mov_b64 s[4:5], 0
.LBB79_442:
	s_andn2_b64 vcc, exec, s[4:5]
	s_cbranch_vccnz .LBB79_444
; %bb.443:
	v_mov_b32_e32 v0, s18
	global_store_short v[10:11], v0, off
.LBB79_444:
	s_mov_b64 s[4:5], 0
.LBB79_445:
	s_andn2_b64 vcc, exec, s[4:5]
	s_cbranch_vccnz .LBB79_461
; %bb.446:
	s_sext_i32_i16 s8, s24
	s_cmp_lt_i32 s8, 2
	s_mov_b64 s[4:5], -1
	s_cbranch_scc1 .LBB79_456
; %bb.447:
	s_cmp_lt_i32 s8, 3
	s_cbranch_scc1 .LBB79_453
; %bb.448:
	s_cmp_gt_i32 s8, 3
	s_cbranch_scc0 .LBB79_450
; %bb.449:
	s_mov_b64 s[4:5], 0
	global_store_dwordx2 v[10:11], v[4:5], off
.LBB79_450:
	s_andn2_b64 vcc, exec, s[4:5]
	s_cbranch_vccnz .LBB79_452
; %bb.451:
	global_store_dword v[10:11], v4, off
.LBB79_452:
	s_mov_b64 s[4:5], 0
.LBB79_453:
	s_andn2_b64 vcc, exec, s[4:5]
	s_cbranch_vccnz .LBB79_455
; %bb.454:
	global_store_short v[10:11], v12, off
.LBB79_455:
	s_mov_b64 s[4:5], 0
.LBB79_456:
	s_andn2_b64 vcc, exec, s[4:5]
	s_cbranch_vccnz .LBB79_461
; %bb.457:
	s_sext_i32_i16 s4, s24
	s_cmp_gt_i32 s4, 0
	s_mov_b64 s[4:5], -1
	s_cbranch_scc0 .LBB79_459
; %bb.458:
	s_mov_b64 s[4:5], 0
	global_store_byte v[10:11], v12, off
.LBB79_459:
	s_andn2_b64 vcc, exec, s[4:5]
	s_cbranch_vccnz .LBB79_461
; %bb.460:
	global_store_byte v[10:11], v4, off
.LBB79_461:
	s_or_b64 exec, exec, s[2:3]
	s_waitcnt lgkmcnt(0)
	s_and_b64 s[20:21], s[0:1], exec
                                        ; implicit-def: $vgpr8
                                        ; implicit-def: $vgpr13
.LBB79_462:
	s_or_saveexec_b64 s[22:23], s[38:39]
	s_mov_b64 s[0:1], 0
                                        ; implicit-def: $sgpr3
                                        ; implicit-def: $vgpr0_vgpr1
                                        ; implicit-def: $sgpr2
	s_xor_b64 exec, exec, s[22:23]
	s_cbranch_execz .LBB79_945
; %bb.463:
	v_cndmask_b32_e64 v0, 0, 1, s[36:37]
	v_cmp_ne_u32_e64 s[0:1], 1, v0
	s_andn2_b64 vcc, exec, s[36:37]
	s_cbranch_vccnz .LBB79_469
; %bb.464:
	s_cmp_lg_u32 s33, 0
	s_mov_b32 s26, 0
	s_cbranch_scc0 .LBB79_470
; %bb.465:
	s_min_u32 s27, s80, 15
	s_add_i32 s27, s27, 1
	s_cmp_eq_u32 s80, 2
	s_cbranch_scc1 .LBB79_471
; %bb.466:
	s_and_b32 s26, s27, 28
	s_add_u32 s2, s34, 0xc4
	s_addc_u32 s3, s35, 0
	s_mov_b32 s28, 0
	v_mov_b32_e32 v6, 0
	s_mov_b64 s[24:25], s[34:35]
	v_mov_b32_e32 v0, v13
.LBB79_467:                             ; =>This Inner Loop Header: Depth=1
	s_load_dwordx8 s[4:11], s[24:25], 0x4
	s_load_dwordx4 s[12:15], s[24:25], 0x24
	s_load_dwordx4 s[16:19], s[2:3], 0x0
	s_add_u32 s24, s24, 48
	s_addc_u32 s25, s25, 0
	s_waitcnt lgkmcnt(0)
	v_mul_hi_u32 v1, s5, v0
	s_add_i32 s28, s28, 4
	s_add_u32 s2, s2, 16
	s_addc_u32 s3, s3, 0
	v_add_u32_e32 v1, v0, v1
	v_lshrrev_b32_e32 v1, s6, v1
	v_mul_lo_u32 v2, v1, s4
	v_mul_hi_u32 v3, s8, v1
	s_cmp_lg_u32 s26, s28
	v_sub_u32_e32 v0, v0, v2
	v_add_u32_e32 v2, v1, v3
	v_lshrrev_b32_e32 v2, s9, v2
	v_mul_lo_u32 v3, v0, s16
	v_mul_hi_u32 v0, s11, v2
	v_mul_lo_u32 v5, v2, s7
	v_add_u32_e32 v0, v2, v0
	v_lshrrev_b32_e32 v4, s12, v0
	v_mul_hi_u32 v0, s14, v4
	v_sub_u32_e32 v1, v1, v5
	v_mul_lo_u32 v5, v4, s10
	v_mul_lo_u32 v1, v1, s17
	v_add_u32_e32 v0, v4, v0
	v_lshrrev_b32_e32 v0, s15, v0
	v_mul_lo_u32 v7, v0, s13
	v_sub_u32_e32 v2, v2, v5
	v_mul_lo_u32 v2, v2, s18
	v_add3_u32 v1, v3, v6, v1
	v_sub_u32_e32 v4, v4, v7
	v_mul_lo_u32 v4, v4, s19
	v_add3_u32 v6, v2, v1, v4
	s_cbranch_scc1 .LBB79_467
; %bb.468:
	s_and_b32 s6, s27, 3
	s_cmp_eq_u32 s6, 0
	s_cbranch_scc0 .LBB79_472
	s_branch .LBB79_474
.LBB79_469:
                                        ; implicit-def: $vgpr6
	s_branch .LBB79_475
.LBB79_470:
	v_mov_b32_e32 v6, 0
	s_branch .LBB79_474
.LBB79_471:
	v_mov_b32_e32 v6, 0
	v_mov_b32_e32 v0, v13
	s_and_b32 s6, s27, 3
	s_cmp_eq_u32 s6, 0
	s_cbranch_scc1 .LBB79_474
.LBB79_472:
	s_lshl_b32 s2, s26, 2
	s_add_u32 s2, s34, s2
	s_addc_u32 s3, s35, 0
	s_add_u32 s2, s2, 0xc4
	s_addc_u32 s3, s3, 0
	s_mul_i32 s4, s26, 12
	s_add_u32 s4, s34, s4
	s_addc_u32 s5, s35, 0
.LBB79_473:                             ; =>This Inner Loop Header: Depth=1
	s_load_dwordx2 s[8:9], s[4:5], 0x4
	s_load_dword s7, s[4:5], 0xc
	s_add_u32 s4, s4, 12
	s_addc_u32 s5, s5, 0
	s_waitcnt lgkmcnt(0)
	v_mul_hi_u32 v1, s9, v0
	s_load_dword s9, s[2:3], 0x0
	s_add_u32 s2, s2, 4
	s_addc_u32 s3, s3, 0
	v_add_u32_e32 v1, v0, v1
	v_lshrrev_b32_e32 v1, s7, v1
	v_mul_lo_u32 v2, v1, s8
	s_add_i32 s6, s6, -1
	s_cmp_lg_u32 s6, 0
	v_sub_u32_e32 v0, v0, v2
	s_waitcnt lgkmcnt(0)
	v_mad_u64_u32 v[6:7], s[8:9], v0, s9, v[6:7]
	v_mov_b32_e32 v0, v1
	s_cbranch_scc1 .LBB79_473
.LBB79_474:
	s_cbranch_execnz .LBB79_477
.LBB79_475:
	s_load_dwordx4 s[4:7], s[34:35], 0x4
	s_load_dword s2, s[34:35], 0xc4
	s_cmp_lt_u32 s33, 2
	s_waitcnt lgkmcnt(0)
	v_mul_hi_u32 v0, s5, v13
	v_add_u32_e32 v0, v13, v0
	v_lshrrev_b32_e32 v0, s6, v0
	v_mul_lo_u32 v1, v0, s4
	v_sub_u32_e32 v1, v13, v1
	v_mul_lo_u32 v6, v1, s2
	s_cbranch_scc1 .LBB79_477
; %bb.476:
	s_load_dwordx4 s[4:7], s[34:35], 0x10
	s_load_dword s2, s[34:35], 0xc8
	s_waitcnt lgkmcnt(0)
	v_mul_hi_u32 v1, s5, v0
	v_add_u32_e32 v1, v0, v1
	v_lshrrev_b32_e32 v1, s6, v1
	v_mul_lo_u32 v1, v1, s4
	v_sub_u32_e32 v0, v0, v1
	v_mad_u64_u32 v[6:7], s[2:3], v0, s2, v[6:7]
.LBB79_477:
	s_and_b64 vcc, exec, s[0:1]
	v_add_u32_e32 v0, 0x80, v13
	s_cbranch_vccnz .LBB79_483
; %bb.478:
	s_cmp_lg_u32 s33, 0
	s_mov_b32 s26, 0
	s_cbranch_scc0 .LBB79_484
; %bb.479:
	s_min_u32 s27, s80, 15
	s_add_i32 s27, s27, 1
	s_cmp_eq_u32 s80, 2
	s_cbranch_scc1 .LBB79_485
; %bb.480:
	s_and_b32 s26, s27, 28
	s_add_u32 s2, s34, 0xc4
	s_addc_u32 s3, s35, 0
	s_mov_b32 s28, 0
	v_mov_b32_e32 v4, 0
	s_mov_b64 s[24:25], s[34:35]
	v_mov_b32_e32 v1, v0
.LBB79_481:                             ; =>This Inner Loop Header: Depth=1
	s_load_dwordx8 s[4:11], s[24:25], 0x4
	s_load_dwordx4 s[12:15], s[24:25], 0x24
	s_load_dwordx4 s[16:19], s[2:3], 0x0
	s_add_u32 s24, s24, 48
	s_addc_u32 s25, s25, 0
	s_waitcnt lgkmcnt(0)
	v_mul_hi_u32 v2, s5, v1
	s_add_i32 s28, s28, 4
	s_add_u32 s2, s2, 16
	s_addc_u32 s3, s3, 0
	v_add_u32_e32 v2, v1, v2
	v_lshrrev_b32_e32 v2, s6, v2
	v_mul_lo_u32 v3, v2, s4
	v_mul_hi_u32 v5, s8, v2
	s_cmp_lg_u32 s26, s28
	v_sub_u32_e32 v1, v1, v3
	v_add_u32_e32 v3, v2, v5
	v_lshrrev_b32_e32 v3, s9, v3
	v_mul_lo_u32 v5, v1, s16
	v_mul_hi_u32 v1, s11, v3
	v_mul_lo_u32 v9, v3, s7
	v_add_u32_e32 v1, v3, v1
	v_lshrrev_b32_e32 v7, s12, v1
	v_mul_hi_u32 v1, s14, v7
	v_sub_u32_e32 v2, v2, v9
	v_mul_lo_u32 v9, v7, s10
	v_mul_lo_u32 v2, v2, s17
	v_add_u32_e32 v1, v7, v1
	v_lshrrev_b32_e32 v1, s15, v1
	v_mul_lo_u32 v10, v1, s13
	v_sub_u32_e32 v3, v3, v9
	v_mul_lo_u32 v3, v3, s18
	v_add3_u32 v2, v5, v4, v2
	v_sub_u32_e32 v7, v7, v10
	v_mul_lo_u32 v7, v7, s19
	v_add3_u32 v4, v3, v2, v7
	s_cbranch_scc1 .LBB79_481
; %bb.482:
	s_and_b32 s6, s27, 3
	s_cmp_eq_u32 s6, 0
	s_cbranch_scc0 .LBB79_486
	s_branch .LBB79_488
.LBB79_483:
                                        ; implicit-def: $vgpr4
	s_branch .LBB79_489
.LBB79_484:
	v_mov_b32_e32 v4, 0
	s_branch .LBB79_488
.LBB79_485:
	v_mov_b32_e32 v4, 0
	v_mov_b32_e32 v1, v0
	s_and_b32 s6, s27, 3
	s_cmp_eq_u32 s6, 0
	s_cbranch_scc1 .LBB79_488
.LBB79_486:
	s_lshl_b32 s2, s26, 2
	s_add_u32 s2, s34, s2
	s_addc_u32 s3, s35, 0
	s_add_u32 s2, s2, 0xc4
	s_addc_u32 s3, s3, 0
	s_mul_i32 s4, s26, 12
	s_add_u32 s4, s34, s4
	s_addc_u32 s5, s35, 0
.LBB79_487:                             ; =>This Inner Loop Header: Depth=1
	s_load_dwordx2 s[8:9], s[4:5], 0x4
	s_load_dword s7, s[4:5], 0xc
	s_add_u32 s4, s4, 12
	s_addc_u32 s5, s5, 0
	s_waitcnt lgkmcnt(0)
	v_mul_hi_u32 v2, s9, v1
	s_load_dword s9, s[2:3], 0x0
	s_add_u32 s2, s2, 4
	s_addc_u32 s3, s3, 0
	v_add_u32_e32 v2, v1, v2
	v_lshrrev_b32_e32 v2, s7, v2
	v_mul_lo_u32 v3, v2, s8
	s_add_i32 s6, s6, -1
	s_cmp_lg_u32 s6, 0
	v_sub_u32_e32 v1, v1, v3
	s_waitcnt lgkmcnt(0)
	v_mad_u64_u32 v[4:5], s[8:9], v1, s9, v[4:5]
	v_mov_b32_e32 v1, v2
	s_cbranch_scc1 .LBB79_487
.LBB79_488:
	s_cbranch_execnz .LBB79_491
.LBB79_489:
	s_load_dwordx4 s[4:7], s[34:35], 0x4
	s_load_dword s2, s[34:35], 0xc4
	s_cmp_lt_u32 s33, 2
	s_waitcnt lgkmcnt(0)
	v_mul_hi_u32 v1, s5, v0
	v_add_u32_e32 v1, v0, v1
	v_lshrrev_b32_e32 v1, s6, v1
	v_mul_lo_u32 v2, v1, s4
	v_sub_u32_e32 v0, v0, v2
	v_mul_lo_u32 v4, v0, s2
	s_cbranch_scc1 .LBB79_491
; %bb.490:
	s_load_dwordx4 s[4:7], s[34:35], 0x10
	s_load_dword s2, s[34:35], 0xc8
	s_waitcnt lgkmcnt(0)
	v_mul_hi_u32 v0, s5, v1
	v_add_u32_e32 v0, v1, v0
	v_lshrrev_b32_e32 v0, s6, v0
	v_mul_lo_u32 v0, v0, s4
	v_sub_u32_e32 v0, v1, v0
	v_mad_u64_u32 v[4:5], s[2:3], v0, s2, v[4:5]
.LBB79_491:
	s_and_b64 vcc, exec, s[0:1]
	v_add_u32_e32 v0, 0x100, v13
	s_cbranch_vccnz .LBB79_497
; %bb.492:
	s_cmp_lg_u32 s33, 0
	s_mov_b32 s26, 0
	s_cbranch_scc0 .LBB79_498
; %bb.493:
	s_min_u32 s27, s80, 15
	s_add_i32 s27, s27, 1
	s_cmp_eq_u32 s80, 2
	s_cbranch_scc1 .LBB79_499
; %bb.494:
	s_and_b32 s26, s27, 28
	s_add_u32 s2, s34, 0xc4
	s_addc_u32 s3, s35, 0
	s_mov_b32 s28, 0
	v_mov_b32_e32 v2, 0
	s_mov_b64 s[24:25], s[34:35]
	v_mov_b32_e32 v1, v0
.LBB79_495:                             ; =>This Inner Loop Header: Depth=1
	s_load_dwordx8 s[4:11], s[24:25], 0x4
	s_load_dwordx4 s[12:15], s[24:25], 0x24
	s_load_dwordx4 s[16:19], s[2:3], 0x0
	s_add_u32 s24, s24, 48
	s_addc_u32 s25, s25, 0
	s_waitcnt lgkmcnt(0)
	v_mul_hi_u32 v3, s5, v1
	s_add_i32 s28, s28, 4
	s_add_u32 s2, s2, 16
	s_addc_u32 s3, s3, 0
	v_add_u32_e32 v3, v1, v3
	v_lshrrev_b32_e32 v3, s6, v3
	v_mul_lo_u32 v5, v3, s4
	v_mul_hi_u32 v7, s8, v3
	s_cmp_lg_u32 s26, s28
	v_sub_u32_e32 v1, v1, v5
	v_add_u32_e32 v5, v3, v7
	v_lshrrev_b32_e32 v5, s9, v5
	v_mul_lo_u32 v7, v1, s16
	v_mul_hi_u32 v1, s11, v5
	v_mul_lo_u32 v10, v5, s7
	v_add_u32_e32 v1, v5, v1
	v_lshrrev_b32_e32 v9, s12, v1
	v_mul_hi_u32 v1, s14, v9
	v_sub_u32_e32 v3, v3, v10
	v_mul_lo_u32 v10, v9, s10
	v_mul_lo_u32 v3, v3, s17
	v_add_u32_e32 v1, v9, v1
	v_lshrrev_b32_e32 v1, s15, v1
	v_mul_lo_u32 v11, v1, s13
	v_sub_u32_e32 v5, v5, v10
	v_mul_lo_u32 v5, v5, s18
	v_add3_u32 v2, v7, v2, v3
	v_sub_u32_e32 v9, v9, v11
	v_mul_lo_u32 v9, v9, s19
	v_add3_u32 v2, v5, v2, v9
	s_cbranch_scc1 .LBB79_495
; %bb.496:
	s_and_b32 s6, s27, 3
	s_cmp_eq_u32 s6, 0
	s_cbranch_scc0 .LBB79_500
	s_branch .LBB79_502
.LBB79_497:
                                        ; implicit-def: $vgpr2
	s_branch .LBB79_503
.LBB79_498:
	v_mov_b32_e32 v2, 0
	s_branch .LBB79_502
.LBB79_499:
	v_mov_b32_e32 v2, 0
	v_mov_b32_e32 v1, v0
	s_and_b32 s6, s27, 3
	s_cmp_eq_u32 s6, 0
	s_cbranch_scc1 .LBB79_502
.LBB79_500:
	s_lshl_b32 s2, s26, 2
	s_add_u32 s2, s34, s2
	s_addc_u32 s3, s35, 0
	s_add_u32 s2, s2, 0xc4
	s_addc_u32 s3, s3, 0
	s_mul_i32 s4, s26, 12
	s_add_u32 s4, s34, s4
	s_addc_u32 s5, s35, 0
.LBB79_501:                             ; =>This Inner Loop Header: Depth=1
	s_load_dwordx2 s[8:9], s[4:5], 0x4
	s_load_dword s7, s[4:5], 0xc
	s_add_u32 s4, s4, 12
	s_addc_u32 s5, s5, 0
	s_waitcnt lgkmcnt(0)
	v_mul_hi_u32 v3, s9, v1
	s_load_dword s9, s[2:3], 0x0
	s_add_u32 s2, s2, 4
	s_addc_u32 s3, s3, 0
	v_add_u32_e32 v3, v1, v3
	v_lshrrev_b32_e32 v5, s7, v3
	v_mul_lo_u32 v3, v5, s8
	s_add_i32 s6, s6, -1
	s_cmp_lg_u32 s6, 0
	v_sub_u32_e32 v1, v1, v3
	s_waitcnt lgkmcnt(0)
	v_mad_u64_u32 v[2:3], s[8:9], v1, s9, v[2:3]
	v_mov_b32_e32 v1, v5
	s_cbranch_scc1 .LBB79_501
.LBB79_502:
	s_cbranch_execnz .LBB79_505
.LBB79_503:
	s_load_dwordx4 s[4:7], s[34:35], 0x4
	s_load_dword s2, s[34:35], 0xc4
	s_cmp_lt_u32 s33, 2
	s_waitcnt lgkmcnt(0)
	v_mul_hi_u32 v1, s5, v0
	v_add_u32_e32 v1, v0, v1
	v_lshrrev_b32_e32 v1, s6, v1
	v_mul_lo_u32 v2, v1, s4
	v_sub_u32_e32 v0, v0, v2
	v_mul_lo_u32 v2, v0, s2
	s_cbranch_scc1 .LBB79_505
; %bb.504:
	s_load_dwordx4 s[4:7], s[34:35], 0x10
	s_load_dword s2, s[34:35], 0xc8
	s_waitcnt lgkmcnt(0)
	v_mul_hi_u32 v0, s5, v1
	v_add_u32_e32 v0, v1, v0
	v_lshrrev_b32_e32 v0, s6, v0
	v_mul_lo_u32 v0, v0, s4
	v_sub_u32_e32 v0, v1, v0
	v_mad_u64_u32 v[2:3], s[2:3], v0, s2, v[2:3]
.LBB79_505:
	s_and_b64 vcc, exec, s[0:1]
	s_cbranch_vccnz .LBB79_511
; %bb.506:
	s_cmp_lg_u32 s33, 0
	s_mov_b32 s24, 0
	s_cbranch_scc0 .LBB79_512
; %bb.507:
	s_min_u32 s25, s80, 15
	s_add_i32 s25, s25, 1
	s_cmp_eq_u32 s80, 2
	s_cbranch_scc1 .LBB79_513
; %bb.508:
	s_and_b32 s24, s25, 28
	s_add_u32 s16, s34, 0xc4
	s_addc_u32 s17, s35, 0
	s_mov_b32 s26, 0
	v_mov_b32_e32 v0, 0
	s_mov_b64 s[18:19], s[34:35]
	v_mov_b32_e32 v1, v8
.LBB79_509:                             ; =>This Inner Loop Header: Depth=1
	s_load_dwordx8 s[0:7], s[18:19], 0x4
	s_load_dwordx4 s[8:11], s[18:19], 0x24
	s_load_dwordx4 s[12:15], s[16:17], 0x0
	s_add_u32 s18, s18, 48
	s_addc_u32 s19, s19, 0
	s_waitcnt lgkmcnt(0)
	v_mul_hi_u32 v3, s1, v1
	s_add_i32 s26, s26, 4
	s_add_u32 s16, s16, 16
	s_addc_u32 s17, s17, 0
	v_add_u32_e32 v3, v1, v3
	v_lshrrev_b32_e32 v3, s2, v3
	v_mul_lo_u32 v5, v3, s0
	v_mul_hi_u32 v7, s4, v3
	s_cmp_lg_u32 s24, s26
	v_sub_u32_e32 v1, v1, v5
	v_add_u32_e32 v5, v3, v7
	v_lshrrev_b32_e32 v5, s5, v5
	v_mul_lo_u32 v7, v1, s12
	v_mul_hi_u32 v1, s7, v5
	v_mul_lo_u32 v10, v5, s3
	v_add_u32_e32 v1, v5, v1
	v_lshrrev_b32_e32 v9, s8, v1
	v_mul_hi_u32 v1, s10, v9
	v_sub_u32_e32 v3, v3, v10
	v_mul_lo_u32 v10, v9, s6
	v_mul_lo_u32 v3, v3, s13
	v_add_u32_e32 v1, v9, v1
	v_lshrrev_b32_e32 v1, s11, v1
	v_mul_lo_u32 v11, v1, s9
	v_sub_u32_e32 v5, v5, v10
	v_mul_lo_u32 v5, v5, s14
	v_add3_u32 v0, v7, v0, v3
	v_sub_u32_e32 v9, v9, v11
	v_mul_lo_u32 v9, v9, s15
	v_add3_u32 v0, v5, v0, v9
	s_cbranch_scc1 .LBB79_509
; %bb.510:
	s_and_b32 s4, s25, 3
	s_cmp_eq_u32 s4, 0
	s_cbranch_scc0 .LBB79_514
	s_branch .LBB79_516
.LBB79_511:
                                        ; implicit-def: $vgpr0
	s_branch .LBB79_517
.LBB79_512:
	v_mov_b32_e32 v0, 0
	s_branch .LBB79_516
.LBB79_513:
	v_mov_b32_e32 v0, 0
	v_mov_b32_e32 v1, v8
	s_and_b32 s4, s25, 3
	s_cmp_eq_u32 s4, 0
	s_cbranch_scc1 .LBB79_516
.LBB79_514:
	s_lshl_b32 s0, s24, 2
	s_add_u32 s0, s34, s0
	s_addc_u32 s1, s35, 0
	s_add_u32 s0, s0, 0xc4
	s_addc_u32 s1, s1, 0
	s_mul_i32 s2, s24, 12
	s_add_u32 s2, s34, s2
	s_addc_u32 s3, s35, 0
.LBB79_515:                             ; =>This Inner Loop Header: Depth=1
	s_load_dwordx2 s[6:7], s[2:3], 0x4
	s_load_dword s5, s[2:3], 0xc
	s_add_u32 s2, s2, 12
	s_addc_u32 s3, s3, 0
	s_waitcnt lgkmcnt(0)
	v_mul_hi_u32 v3, s7, v1
	s_load_dword s7, s[0:1], 0x0
	s_add_u32 s0, s0, 4
	s_addc_u32 s1, s1, 0
	v_add_u32_e32 v3, v1, v3
	v_lshrrev_b32_e32 v3, s5, v3
	v_mul_lo_u32 v5, v3, s6
	s_add_i32 s4, s4, -1
	s_cmp_lg_u32 s4, 0
	v_sub_u32_e32 v1, v1, v5
	s_waitcnt lgkmcnt(0)
	v_mad_u64_u32 v[0:1], s[6:7], v1, s7, v[0:1]
	v_mov_b32_e32 v1, v3
	s_cbranch_scc1 .LBB79_515
.LBB79_516:
	s_cbranch_execnz .LBB79_519
.LBB79_517:
	s_load_dwordx4 s[0:3], s[34:35], 0x4
	s_waitcnt lgkmcnt(0)
	s_load_dword s3, s[34:35], 0xc4
	s_cmp_lt_u32 s33, 2
	v_mul_hi_u32 v0, s1, v8
	v_add_u32_e32 v0, v8, v0
	v_lshrrev_b32_e32 v1, s2, v0
	v_mul_lo_u32 v0, v1, s0
	v_sub_u32_e32 v0, v8, v0
	s_waitcnt lgkmcnt(0)
	v_mul_lo_u32 v0, v0, s3
	s_cbranch_scc1 .LBB79_519
; %bb.518:
	s_load_dwordx4 s[0:3], s[34:35], 0x10
	s_waitcnt lgkmcnt(0)
	s_load_dword s3, s[34:35], 0xc8
	v_mul_hi_u32 v3, s1, v1
	v_add_u32_e32 v3, v1, v3
	v_lshrrev_b32_e32 v3, s2, v3
	v_mul_lo_u32 v3, v3, s0
	v_sub_u32_e32 v1, v1, v3
	s_waitcnt lgkmcnt(0)
	v_mad_u64_u32 v[0:1], s[0:1], v1, s3, v[0:1]
.LBB79_519:
	s_load_dwordx4 s[0:3], s[34:35], 0x108
	s_waitcnt lgkmcnt(0)
	v_mov_b32_e32 v1, s1
	s_and_b32 s3, s3, 0xff
	v_add_co_u32_e32 v5, vcc, s0, v6
	s_cmp_lt_i32 s3, 11
	v_addc_co_u32_e32 v6, vcc, 0, v1, vcc
	s_cbranch_scc1 .LBB79_547
; %bb.520:
	s_and_b32 s12, 0xffff, s3
	s_mov_b64 s[10:11], -1
	s_mov_b64 s[6:7], 0
	s_cmp_gt_i32 s12, 25
	s_mov_b64 s[8:9], 0
	s_mov_b64 s[4:5], 0
	s_cbranch_scc0 .LBB79_557
; %bb.521:
	s_cmp_gt_i32 s12, 28
	s_cbranch_scc0 .LBB79_536
; %bb.522:
	s_cmp_gt_i32 s12, 43
	s_cbranch_scc0 .LBB79_532
; %bb.523:
	s_cmp_gt_i32 s12, 45
	s_cbranch_scc0 .LBB79_526
; %bb.524:
	s_mov_b64 s[4:5], -1
	s_mov_b64 s[10:11], 0
	s_cmp_eq_u32 s12, 46
	s_cbranch_scc0 .LBB79_526
; %bb.525:
	v_cvt_f32_f16_e32 v1, s2
	s_lshr_b32 s4, s2, 16
	v_cvt_f32_f16_e32 v3, s4
	v_cmp_o_f16_e64 vcc, s4, s4
	v_bfe_u32 v7, v1, 16, 1
	v_add_u32_e32 v1, v1, v7
	v_bfe_u32 v7, v3, 16, 1
	v_add_u32_e32 v3, v3, v7
	v_add_u32_e32 v3, 0x7fff, v3
	v_and_b32_e32 v3, 0xffff0000, v3
	v_mov_b32_e32 v7, 0x7fc00000
	v_add_u32_e32 v1, 0x7fff, v1
	v_cndmask_b32_e32 v3, v7, v3, vcc
	v_cmp_o_f16_e64 vcc, s2, s2
	v_mov_b32_e32 v7, 0x7fc0
	v_cndmask_b32_sdwa v1, v7, v1, vcc dst_sel:DWORD dst_unused:UNUSED_PAD src0_sel:DWORD src1_sel:WORD_1
	v_or_b32_e32 v1, v3, v1
	global_store_dword v[5:6], v1, off
	s_mov_b64 s[4:5], 0
	s_mov_b64 s[8:9], -1
.LBB79_526:
	s_and_b64 vcc, exec, s[10:11]
	s_cbranch_vccz .LBB79_531
; %bb.527:
	s_cmp_eq_u32 s12, 44
	s_mov_b64 s[4:5], -1
	s_cbranch_scc0 .LBB79_531
; %bb.528:
	v_cvt_f32_f16_e32 v1, s2
	v_mov_b32_e32 v3, 0xff
	v_readfirstlane_b32 s4, v1
	s_bfe_u32 s5, s4, 0x80017
	s_cmpk_eq_i32 s5, 0xff
	s_cbranch_scc1 .LBB79_530
; %bb.529:
	s_bitcmp1_b32 s4, 22
	s_cselect_b64 s[8:9], -1, 0
	s_and_b32 s4, s4, 0x3fffff
	s_or_b32 s4, s5, s4
	s_cmp_lg_u32 s4, 0
	s_cselect_b64 s[4:5], -1, 0
	s_and_b64 s[4:5], s[8:9], s[4:5]
	v_lshrrev_b32_e32 v1, 23, v1
	v_cndmask_b32_e64 v3, 0, 1, s[4:5]
	v_add_u32_e32 v3, v1, v3
.LBB79_530:
	s_mov_b64 s[4:5], 0
	s_mov_b64 s[8:9], -1
	global_store_byte v[5:6], v3, off
.LBB79_531:
	s_mov_b64 s[10:11], 0
.LBB79_532:
	s_and_b64 vcc, exec, s[10:11]
	s_cbranch_vccz .LBB79_535
; %bb.533:
	s_cmp_eq_u32 s12, 29
	s_mov_b64 s[4:5], -1
	s_cbranch_scc0 .LBB79_535
; %bb.534:
	v_cvt_f32_f16_e32 v1, s2
	v_mov_b32_e32 v8, 0
	s_mov_b64 s[4:5], 0
	s_mov_b64 s[8:9], -1
	v_cvt_u32_f32_e32 v7, v1
	global_store_dwordx2 v[5:6], v[7:8], off
.LBB79_535:
	s_mov_b64 s[10:11], 0
.LBB79_536:
	s_and_b64 vcc, exec, s[10:11]
	s_cbranch_vccz .LBB79_556
; %bb.537:
	s_cmp_lt_i32 s12, 27
	s_mov_b64 s[8:9], -1
	s_cbranch_scc1 .LBB79_543
; %bb.538:
	s_cmp_gt_i32 s12, 27
	s_cbranch_scc0 .LBB79_540
; %bb.539:
	v_cvt_f32_f16_e32 v1, s2
	s_mov_b64 s[8:9], 0
	v_cvt_u32_f32_e32 v1, v1
	global_store_dword v[5:6], v1, off
.LBB79_540:
	s_andn2_b64 vcc, exec, s[8:9]
	s_cbranch_vccnz .LBB79_542
; %bb.541:
	v_cvt_u16_f16_e32 v1, s2
	global_store_short v[5:6], v1, off
.LBB79_542:
	s_mov_b64 s[8:9], 0
.LBB79_543:
	s_andn2_b64 vcc, exec, s[8:9]
	s_cbranch_vccnz .LBB79_555
; %bb.544:
	v_cvt_f32_f16_e32 v1, s2
	v_mov_b32_e32 v3, 0x80
	v_readfirstlane_b32 s13, v1
	s_and_b32 s8, s13, 0x7fffffff
	s_cmp_gt_u32 s8, 0x437fffff
	s_cbranch_scc1 .LBB79_554
; %bb.545:
	s_cmp_gt_u32 s8, 0x3bffffff
	s_cbranch_scc0 .LBB79_549
; %bb.546:
	s_bfe_u32 s8, s13, 0x10014
	s_add_i32 s8, s13, s8
	s_add_i32 s8, s8, 0x487ffff
	s_lshr_b32 s14, s8, 20
	s_mov_b64 s[10:11], 0
	s_mov_b64 s[8:9], -1
	s_branch .LBB79_550
.LBB79_547:
	s_mov_b64 s[8:9], 0
	s_mov_b64 s[4:5], s[20:21]
	s_cbranch_execnz .LBB79_607
.LBB79_548:
	s_andn2_b64 vcc, exec, s[8:9]
	s_cbranch_vccz .LBB79_645
	s_branch .LBB79_943
.LBB79_549:
	s_mov_b64 s[10:11], -1
	s_mov_b64 s[8:9], 0
                                        ; implicit-def: $sgpr14
.LBB79_550:
	s_andn2_b64 vcc, exec, s[10:11]
	v_mov_b32_e32 v1, s14
	s_cbranch_vccnz .LBB79_552
; %bb.551:
	v_mov_b32_e32 v1, 0x46000000
	v_add_f32_e64 v1, |s13|, v1
	v_and_b32_e32 v1, 0xff, v1
	v_cmp_ne_u32_e64 s[8:9], 0, v1
.LBB79_552:
	s_andn2_b64 vcc, exec, s[8:9]
	v_mov_b32_e32 v3, 0
	s_cbranch_vccnz .LBB79_554
; %bb.553:
	s_lshr_b32 s8, s13, 24
	s_and_b32 s8, s8, 0x80
	v_or_b32_e32 v3, s8, v1
.LBB79_554:
	global_store_byte v[5:6], v3, off
.LBB79_555:
	s_mov_b64 s[8:9], -1
.LBB79_556:
	s_mov_b64 s[10:11], 0
.LBB79_557:
	s_and_b64 vcc, exec, s[10:11]
	s_cbranch_vccz .LBB79_603
; %bb.558:
	s_cmp_gt_i32 s12, 22
	s_mov_b64 s[6:7], -1
	s_cbranch_scc0 .LBB79_596
; %bb.559:
	s_cmp_lt_i32 s12, 24
	s_cbranch_scc1 .LBB79_583
; %bb.560:
	s_cmp_gt_i32 s12, 24
	s_cbranch_scc0 .LBB79_570
; %bb.561:
	v_cvt_f32_f16_e32 v1, s2
	v_mov_b32_e32 v3, 0x80
	v_readfirstlane_b32 s10, v1
	s_and_b32 s6, s10, 0x7fffffff
	s_cmp_gt_u32 s6, 0x477fffff
	s_cbranch_scc1 .LBB79_569
; %bb.562:
	s_cmp_gt_u32 s6, 0x37ffffff
	s_cbranch_scc0 .LBB79_564
; %bb.563:
	s_bfe_u32 s6, s10, 0x10015
	s_add_i32 s6, s10, s6
	s_add_i32 s6, s6, 0x88fffff
	s_lshr_b32 s11, s6, 21
	s_mov_b64 s[8:9], 0
	s_mov_b64 s[6:7], -1
	s_branch .LBB79_565
.LBB79_564:
	s_mov_b64 s[8:9], -1
	s_mov_b64 s[6:7], 0
                                        ; implicit-def: $sgpr11
.LBB79_565:
	s_andn2_b64 vcc, exec, s[8:9]
	v_mov_b32_e32 v1, s11
	s_cbranch_vccnz .LBB79_567
; %bb.566:
	v_mov_b32_e32 v1, 0x42800000
	v_add_f32_e64 v1, |s10|, v1
	v_and_b32_e32 v1, 0xff, v1
	v_cmp_ne_u32_e64 s[6:7], 0, v1
.LBB79_567:
	s_andn2_b64 vcc, exec, s[6:7]
	v_mov_b32_e32 v3, 0
	s_cbranch_vccnz .LBB79_569
; %bb.568:
	s_lshr_b32 s6, s10, 24
	s_and_b32 s6, s6, 0x80
	v_or_b32_e32 v3, s6, v1
.LBB79_569:
	s_mov_b64 s[6:7], 0
	global_store_byte v[5:6], v3, off
.LBB79_570:
	s_and_b64 vcc, exec, s[6:7]
	s_cbranch_vccz .LBB79_582
; %bb.571:
	v_cvt_f32_f16_e32 v1, s2
	v_readfirstlane_b32 s8, v1
	s_and_b32 s9, s8, 0x7fffffff
	s_cmp_lt_u32 s9, 0x43f00000
	s_cbranch_scc0 .LBB79_574
; %bb.572:
	s_cmp_gt_u32 s9, 0x3c7fffff
	s_cbranch_scc0 .LBB79_575
; %bb.573:
	s_bfe_u32 s6, s8, 0x10014
	s_add_i32 s6, s8, s6
	s_add_i32 s6, s6, 0x407ffff
	s_lshr_b32 s7, s6, 20
	s_and_b32 s6, s6, 0xff00000
	s_cmp_lg_u32 s6, 0x7f00000
	s_cselect_b32 s10, s7, 0x7e
	s_mov_b64 s[6:7], 0
	s_branch .LBB79_576
.LBB79_574:
	s_mov_b64 s[6:7], -1
                                        ; implicit-def: $vgpr3
	s_branch .LBB79_579
.LBB79_575:
	s_mov_b64 s[6:7], -1
                                        ; implicit-def: $sgpr10
.LBB79_576:
	s_andn2_b64 vcc, exec, s[6:7]
	v_mov_b32_e32 v3, s10
	s_cbranch_vccnz .LBB79_578
; %bb.577:
	s_mov_b32 s6, 0x46800000
	v_add_f32_e64 v3, |v1|, s6
.LBB79_578:
	s_mov_b64 s[6:7], 0
.LBB79_579:
	s_andn2_b64 vcc, exec, s[6:7]
	s_cbranch_vccnz .LBB79_581
; %bb.580:
	s_cmp_gt_u32 s9, 0x7f800000
	s_movk_i32 s6, 0x7f
	s_cselect_b32 s6, s6, 0x7e
	v_mov_b32_e32 v3, s6
.LBB79_581:
	s_lshr_b32 s6, s8, 24
	s_and_b32 s6, s6, 0x80
	v_or_b32_e32 v1, s6, v3
	global_store_byte v[5:6], v1, off
.LBB79_582:
	s_mov_b64 s[6:7], 0
.LBB79_583:
	s_andn2_b64 vcc, exec, s[6:7]
	s_cbranch_vccnz .LBB79_595
; %bb.584:
	v_cvt_f32_f16_e32 v1, s2
	v_readfirstlane_b32 s8, v1
	s_and_b32 s9, s8, 0x7fffffff
	s_cmp_lt_u32 s9, 0x47800000
	s_cbranch_scc0 .LBB79_587
; %bb.585:
	s_cmp_gt_u32 s9, 0x387fffff
	s_cbranch_scc0 .LBB79_588
; %bb.586:
	s_bfe_u32 s6, s8, 0x10015
	s_add_i32 s6, s8, s6
	s_add_i32 s6, s6, 0x80fffff
	s_lshr_b32 s10, s6, 21
	s_mov_b64 s[6:7], 0
	s_branch .LBB79_589
.LBB79_587:
	s_mov_b64 s[6:7], -1
                                        ; implicit-def: $vgpr3
	s_branch .LBB79_592
.LBB79_588:
	s_mov_b64 s[6:7], -1
                                        ; implicit-def: $sgpr10
.LBB79_589:
	s_andn2_b64 vcc, exec, s[6:7]
	v_mov_b32_e32 v3, s10
	s_cbranch_vccnz .LBB79_591
; %bb.590:
	s_mov_b32 s6, 0x43000000
	v_add_f32_e64 v3, |v1|, s6
.LBB79_591:
	s_mov_b64 s[6:7], 0
.LBB79_592:
	s_andn2_b64 vcc, exec, s[6:7]
	s_cbranch_vccnz .LBB79_594
; %bb.593:
	s_cmp_gt_u32 s9, 0x7f800000
	s_movk_i32 s6, 0x7f
	s_cselect_b32 s6, s6, 0x7c
	v_mov_b32_e32 v3, s6
.LBB79_594:
	s_lshr_b32 s6, s8, 24
	s_and_b32 s6, s6, 0x80
	v_or_b32_e32 v1, s6, v3
	global_store_byte v[5:6], v1, off
.LBB79_595:
	s_mov_b64 s[6:7], 0
	s_mov_b64 s[8:9], -1
.LBB79_596:
	s_andn2_b64 vcc, exec, s[6:7]
	s_mov_b64 s[6:7], 0
	s_cbranch_vccnz .LBB79_603
; %bb.597:
	s_cmp_gt_i32 s12, 14
	s_mov_b64 s[10:11], -1
	s_cbranch_scc0 .LBB79_601
; %bb.598:
	s_cmp_eq_u32 s12, 15
	s_mov_b64 s[4:5], -1
	s_cbranch_scc0 .LBB79_600
; %bb.599:
	v_cvt_f32_f16_e32 v1, s2
	v_cmp_o_f16_e64 vcc, s2, s2
	v_mov_b32_e32 v3, 0x7fc0
	s_mov_b64 s[4:5], 0
	v_bfe_u32 v7, v1, 16, 1
	v_add_u32_e32 v1, v1, v7
	v_add_u32_e32 v1, 0x7fff, v1
	v_cndmask_b32_sdwa v1, v3, v1, vcc dst_sel:DWORD dst_unused:UNUSED_PAD src0_sel:DWORD src1_sel:WORD_1
	global_store_short v[5:6], v1, off
	s_mov_b64 s[8:9], -1
.LBB79_600:
	s_mov_b64 s[10:11], 0
.LBB79_601:
	s_and_b64 vcc, exec, s[10:11]
	s_cbranch_vccz .LBB79_603
; %bb.602:
	s_cmp_lg_u32 s12, 11
	s_mov_b64 s[6:7], -1
	s_cselect_b64 s[4:5], -1, 0
.LBB79_603:
	s_and_b64 vcc, exec, s[4:5]
	s_mov_b64 s[4:5], s[20:21]
	s_cbranch_vccnz .LBB79_675
; %bb.604:
	s_andn2_b64 vcc, exec, s[6:7]
	s_cbranch_vccnz .LBB79_606
.LBB79_605:
	s_and_b32 s6, s2, 0x7fff7fff
	s_cmp_lg_u32 s6, 0
	s_cselect_b64 s[6:7], -1, 0
	v_cndmask_b32_e64 v1, 0, 1, s[6:7]
	global_store_byte v[5:6], v1, off
	s_mov_b64 s[8:9], -1
.LBB79_606:
	s_branch .LBB79_548
.LBB79_607:
	s_and_b32 s8, 0xffff, s3
	s_cmp_lt_i32 s8, 5
	s_mov_b64 s[6:7], -1
	s_cbranch_scc1 .LBB79_628
; %bb.608:
	s_cmp_lt_i32 s8, 8
	s_cbranch_scc1 .LBB79_618
; %bb.609:
	s_cmp_lt_i32 s8, 9
	s_cbranch_scc1 .LBB79_615
; %bb.610:
	s_cmp_gt_i32 s8, 9
	s_cbranch_scc0 .LBB79_612
; %bb.611:
	s_lshr_b32 s6, s2, 16
	v_cvt_f32_f16_e32 v1, s2
	v_cvt_f32_f16_e32 v3, s6
	s_mov_b64 s[6:7], 0
	v_cvt_f64_f32_e32 v[7:8], v1
	v_cvt_f64_f32_e32 v[9:10], v3
	global_store_dwordx4 v[5:6], v[7:10], off
.LBB79_612:
	s_andn2_b64 vcc, exec, s[6:7]
	s_cbranch_vccnz .LBB79_614
; %bb.613:
	s_lshr_b32 s6, s2, 16
	v_cvt_f32_f16_e32 v7, s2
	v_cvt_f32_f16_e32 v8, s6
	global_store_dwordx2 v[5:6], v[7:8], off
.LBB79_614:
	s_mov_b64 s[6:7], 0
.LBB79_615:
	s_andn2_b64 vcc, exec, s[6:7]
	s_cbranch_vccnz .LBB79_617
; %bb.616:
	v_mov_b32_e32 v1, s2
	global_store_dword v[5:6], v1, off
.LBB79_617:
	s_mov_b64 s[6:7], 0
.LBB79_618:
	s_andn2_b64 vcc, exec, s[6:7]
	s_cbranch_vccnz .LBB79_627
; %bb.619:
	s_cmp_lt_i32 s8, 6
	s_mov_b64 s[6:7], -1
	s_cbranch_scc1 .LBB79_625
; %bb.620:
	s_cmp_gt_i32 s8, 6
	s_cbranch_scc0 .LBB79_622
; %bb.621:
	v_cvt_f32_f16_e32 v1, s2
	s_mov_b64 s[6:7], 0
	v_cvt_f64_f32_e32 v[7:8], v1
	global_store_dwordx2 v[5:6], v[7:8], off
.LBB79_622:
	s_andn2_b64 vcc, exec, s[6:7]
	s_cbranch_vccnz .LBB79_624
; %bb.623:
	v_cvt_f32_f16_e32 v1, s2
	global_store_dword v[5:6], v1, off
.LBB79_624:
	s_mov_b64 s[6:7], 0
.LBB79_625:
	s_andn2_b64 vcc, exec, s[6:7]
	s_cbranch_vccnz .LBB79_627
; %bb.626:
	v_mov_b32_e32 v1, s2
	global_store_short v[5:6], v1, off
.LBB79_627:
	s_mov_b64 s[6:7], 0
.LBB79_628:
	s_andn2_b64 vcc, exec, s[6:7]
	s_cbranch_vccnz .LBB79_644
; %bb.629:
	s_cmp_lt_i32 s8, 2
	s_mov_b64 s[6:7], -1
	s_cbranch_scc1 .LBB79_639
; %bb.630:
	s_cmp_lt_i32 s8, 3
	s_cbranch_scc1 .LBB79_636
; %bb.631:
	s_cmp_gt_i32 s8, 3
	s_cbranch_scc0 .LBB79_633
; %bb.632:
	v_cvt_f32_f16_e32 v1, s2
	s_mov_b64 s[6:7], 0
	v_cvt_i32_f32_e32 v7, v1
	v_ashrrev_i32_e32 v8, 31, v7
	global_store_dwordx2 v[5:6], v[7:8], off
.LBB79_633:
	s_andn2_b64 vcc, exec, s[6:7]
	s_cbranch_vccnz .LBB79_635
; %bb.634:
	v_cvt_f32_f16_e32 v1, s2
	v_cvt_i32_f32_e32 v1, v1
	global_store_dword v[5:6], v1, off
.LBB79_635:
	s_mov_b64 s[6:7], 0
.LBB79_636:
	s_andn2_b64 vcc, exec, s[6:7]
	s_cbranch_vccnz .LBB79_638
; %bb.637:
	v_cvt_i16_f16_e32 v1, s2
	global_store_short v[5:6], v1, off
.LBB79_638:
	s_mov_b64 s[6:7], 0
.LBB79_639:
	s_andn2_b64 vcc, exec, s[6:7]
	s_cbranch_vccnz .LBB79_644
; %bb.640:
	s_cmp_gt_i32 s8, 0
	s_mov_b64 s[6:7], -1
	s_cbranch_scc0 .LBB79_642
; %bb.641:
	v_cvt_i16_f16_e32 v1, s2
	global_store_byte v[5:6], v1, off
	s_mov_b64 s[6:7], 0
.LBB79_642:
	s_andn2_b64 vcc, exec, s[6:7]
	s_cbranch_vccnz .LBB79_644
; %bb.643:
	v_cvt_f32_f16_e32 v1, s2
	v_cvt_i32_f32_e32 v1, v1
	global_store_byte v[5:6], v1, off
.LBB79_644:
.LBB79_645:
	v_mov_b32_e32 v1, s1
	s_and_b32 s14, 0xffff, s3
	v_add_co_u32_e32 v3, vcc, s0, v4
	s_cmp_lt_i32 s14, 11
	v_addc_co_u32_e32 v4, vcc, 0, v1, vcc
	s_cbranch_scc1 .LBB79_673
; %bb.646:
	s_mov_b64 s[12:13], -1
	s_mov_b64 s[8:9], 0
	s_cmp_gt_i32 s14, 25
	s_mov_b64 s[10:11], 0
	s_mov_b64 s[6:7], 0
	s_cbranch_scc0 .LBB79_684
; %bb.647:
	s_cmp_gt_i32 s14, 28
	s_cbranch_scc0 .LBB79_662
; %bb.648:
	s_cmp_gt_i32 s14, 43
	;; [unrolled: 3-line block ×3, first 2 shown]
	s_cbranch_scc0 .LBB79_652
; %bb.650:
	s_mov_b64 s[6:7], -1
	s_mov_b64 s[12:13], 0
	s_cmp_eq_u32 s14, 46
	s_cbranch_scc0 .LBB79_652
; %bb.651:
	v_cvt_f32_f16_e32 v1, s2
	s_lshr_b32 s6, s2, 16
	v_cvt_f32_f16_e32 v5, s6
	v_cmp_o_f16_e64 vcc, s6, s6
	v_bfe_u32 v6, v1, 16, 1
	v_add_u32_e32 v1, v1, v6
	v_bfe_u32 v6, v5, 16, 1
	v_add_u32_e32 v5, v5, v6
	v_add_u32_e32 v5, 0x7fff, v5
	v_and_b32_e32 v5, 0xffff0000, v5
	v_mov_b32_e32 v6, 0x7fc00000
	v_add_u32_e32 v1, 0x7fff, v1
	v_cndmask_b32_e32 v5, v6, v5, vcc
	v_cmp_o_f16_e64 vcc, s2, s2
	v_mov_b32_e32 v6, 0x7fc0
	v_cndmask_b32_sdwa v1, v6, v1, vcc dst_sel:DWORD dst_unused:UNUSED_PAD src0_sel:DWORD src1_sel:WORD_1
	v_or_b32_e32 v1, v5, v1
	global_store_dword v[3:4], v1, off
	s_mov_b64 s[6:7], 0
	s_mov_b64 s[10:11], -1
.LBB79_652:
	s_and_b64 vcc, exec, s[12:13]
	s_cbranch_vccz .LBB79_657
; %bb.653:
	s_cmp_eq_u32 s14, 44
	s_mov_b64 s[6:7], -1
	s_cbranch_scc0 .LBB79_657
; %bb.654:
	v_cvt_f32_f16_e32 v1, s2
	v_mov_b32_e32 v5, 0xff
	v_readfirstlane_b32 s6, v1
	s_bfe_u32 s7, s6, 0x80017
	s_cmpk_eq_i32 s7, 0xff
	s_cbranch_scc1 .LBB79_656
; %bb.655:
	s_bitcmp1_b32 s6, 22
	s_cselect_b64 s[10:11], -1, 0
	s_and_b32 s6, s6, 0x3fffff
	s_or_b32 s6, s7, s6
	s_cmp_lg_u32 s6, 0
	s_cselect_b64 s[6:7], -1, 0
	s_and_b64 s[6:7], s[10:11], s[6:7]
	v_lshrrev_b32_e32 v1, 23, v1
	v_cndmask_b32_e64 v5, 0, 1, s[6:7]
	v_add_u32_e32 v5, v1, v5
.LBB79_656:
	s_mov_b64 s[6:7], 0
	s_mov_b64 s[10:11], -1
	global_store_byte v[3:4], v5, off
.LBB79_657:
	s_mov_b64 s[12:13], 0
.LBB79_658:
	s_and_b64 vcc, exec, s[12:13]
	s_cbranch_vccz .LBB79_661
; %bb.659:
	s_cmp_eq_u32 s14, 29
	s_mov_b64 s[6:7], -1
	s_cbranch_scc0 .LBB79_661
; %bb.660:
	v_cvt_f32_f16_e32 v1, s2
	v_mov_b32_e32 v6, 0
	s_mov_b64 s[6:7], 0
	s_mov_b64 s[10:11], -1
	v_cvt_u32_f32_e32 v5, v1
	global_store_dwordx2 v[3:4], v[5:6], off
.LBB79_661:
	s_mov_b64 s[12:13], 0
.LBB79_662:
	s_and_b64 vcc, exec, s[12:13]
	s_cbranch_vccz .LBB79_683
; %bb.663:
	s_cmp_lt_i32 s14, 27
	s_mov_b64 s[10:11], -1
	s_cbranch_scc1 .LBB79_669
; %bb.664:
	s_cmp_gt_i32 s14, 27
	s_cbranch_scc0 .LBB79_666
; %bb.665:
	v_cvt_f32_f16_e32 v1, s2
	s_mov_b64 s[10:11], 0
	v_cvt_u32_f32_e32 v1, v1
	global_store_dword v[3:4], v1, off
.LBB79_666:
	s_andn2_b64 vcc, exec, s[10:11]
	s_cbranch_vccnz .LBB79_668
; %bb.667:
	v_cvt_u16_f16_e32 v1, s2
	global_store_short v[3:4], v1, off
.LBB79_668:
	s_mov_b64 s[10:11], 0
.LBB79_669:
	s_andn2_b64 vcc, exec, s[10:11]
	s_cbranch_vccnz .LBB79_682
; %bb.670:
	v_cvt_f32_f16_e32 v1, s2
	v_mov_b32_e32 v5, 0x80
	v_readfirstlane_b32 s15, v1
	s_and_b32 s10, s15, 0x7fffffff
	s_cmp_gt_u32 s10, 0x437fffff
	s_cbranch_scc1 .LBB79_681
; %bb.671:
	s_cmp_gt_u32 s10, 0x3bffffff
	s_cbranch_scc0 .LBB79_676
; %bb.672:
	s_bfe_u32 s10, s15, 0x10014
	s_add_i32 s10, s15, s10
	s_add_i32 s10, s10, 0x487ffff
	s_lshr_b32 s16, s10, 20
	s_mov_b64 s[12:13], 0
	s_mov_b64 s[10:11], -1
	s_branch .LBB79_677
.LBB79_673:
	s_mov_b64 s[10:11], 0
	s_cbranch_execnz .LBB79_734
.LBB79_674:
	s_andn2_b64 vcc, exec, s[10:11]
	s_cbranch_vccz .LBB79_772
	s_branch .LBB79_943
.LBB79_675:
	s_or_b64 s[4:5], s[20:21], exec
	s_trap 2
	s_cbranch_execz .LBB79_605
	s_branch .LBB79_606
.LBB79_676:
	s_mov_b64 s[12:13], -1
	s_mov_b64 s[10:11], 0
                                        ; implicit-def: $sgpr16
.LBB79_677:
	s_andn2_b64 vcc, exec, s[12:13]
	v_mov_b32_e32 v1, s16
	s_cbranch_vccnz .LBB79_679
; %bb.678:
	v_mov_b32_e32 v1, 0x46000000
	v_add_f32_e64 v1, |s15|, v1
	v_and_b32_e32 v1, 0xff, v1
	v_cmp_ne_u32_e64 s[10:11], 0, v1
.LBB79_679:
	s_andn2_b64 vcc, exec, s[10:11]
	v_mov_b32_e32 v5, 0
	s_cbranch_vccnz .LBB79_681
; %bb.680:
	s_lshr_b32 s10, s15, 24
	s_and_b32 s10, s10, 0x80
	v_or_b32_e32 v5, s10, v1
.LBB79_681:
	global_store_byte v[3:4], v5, off
.LBB79_682:
	s_mov_b64 s[10:11], -1
.LBB79_683:
	s_mov_b64 s[12:13], 0
.LBB79_684:
	s_and_b64 vcc, exec, s[12:13]
	s_cbranch_vccz .LBB79_730
; %bb.685:
	s_cmp_gt_i32 s14, 22
	s_mov_b64 s[8:9], -1
	s_cbranch_scc0 .LBB79_723
; %bb.686:
	s_cmp_lt_i32 s14, 24
	s_cbranch_scc1 .LBB79_710
; %bb.687:
	s_cmp_gt_i32 s14, 24
	s_cbranch_scc0 .LBB79_697
; %bb.688:
	v_cvt_f32_f16_e32 v1, s2
	v_mov_b32_e32 v5, 0x80
	v_readfirstlane_b32 s12, v1
	s_and_b32 s8, s12, 0x7fffffff
	s_cmp_gt_u32 s8, 0x477fffff
	s_cbranch_scc1 .LBB79_696
; %bb.689:
	s_cmp_gt_u32 s8, 0x37ffffff
	s_cbranch_scc0 .LBB79_691
; %bb.690:
	s_bfe_u32 s8, s12, 0x10015
	s_add_i32 s8, s12, s8
	s_add_i32 s8, s8, 0x88fffff
	s_lshr_b32 s13, s8, 21
	s_mov_b64 s[10:11], 0
	s_mov_b64 s[8:9], -1
	s_branch .LBB79_692
.LBB79_691:
	s_mov_b64 s[10:11], -1
	s_mov_b64 s[8:9], 0
                                        ; implicit-def: $sgpr13
.LBB79_692:
	s_andn2_b64 vcc, exec, s[10:11]
	v_mov_b32_e32 v1, s13
	s_cbranch_vccnz .LBB79_694
; %bb.693:
	v_mov_b32_e32 v1, 0x42800000
	v_add_f32_e64 v1, |s12|, v1
	v_and_b32_e32 v1, 0xff, v1
	v_cmp_ne_u32_e64 s[8:9], 0, v1
.LBB79_694:
	s_andn2_b64 vcc, exec, s[8:9]
	v_mov_b32_e32 v5, 0
	s_cbranch_vccnz .LBB79_696
; %bb.695:
	s_lshr_b32 s8, s12, 24
	s_and_b32 s8, s8, 0x80
	v_or_b32_e32 v5, s8, v1
.LBB79_696:
	s_mov_b64 s[8:9], 0
	global_store_byte v[3:4], v5, off
.LBB79_697:
	s_and_b64 vcc, exec, s[8:9]
	s_cbranch_vccz .LBB79_709
; %bb.698:
	v_cvt_f32_f16_e32 v1, s2
	v_readfirstlane_b32 s10, v1
	s_and_b32 s11, s10, 0x7fffffff
	s_cmp_lt_u32 s11, 0x43f00000
	s_cbranch_scc0 .LBB79_701
; %bb.699:
	s_cmp_gt_u32 s11, 0x3c7fffff
	s_cbranch_scc0 .LBB79_702
; %bb.700:
	s_bfe_u32 s8, s10, 0x10014
	s_add_i32 s8, s10, s8
	s_add_i32 s8, s8, 0x407ffff
	s_lshr_b32 s9, s8, 20
	s_and_b32 s8, s8, 0xff00000
	s_cmp_lg_u32 s8, 0x7f00000
	s_cselect_b32 s12, s9, 0x7e
	s_mov_b64 s[8:9], 0
	s_branch .LBB79_703
.LBB79_701:
	s_mov_b64 s[8:9], -1
                                        ; implicit-def: $vgpr5
	s_branch .LBB79_706
.LBB79_702:
	s_mov_b64 s[8:9], -1
                                        ; implicit-def: $sgpr12
.LBB79_703:
	s_andn2_b64 vcc, exec, s[8:9]
	v_mov_b32_e32 v5, s12
	s_cbranch_vccnz .LBB79_705
; %bb.704:
	s_mov_b32 s8, 0x46800000
	v_add_f32_e64 v5, |v1|, s8
.LBB79_705:
	s_mov_b64 s[8:9], 0
.LBB79_706:
	s_andn2_b64 vcc, exec, s[8:9]
	s_cbranch_vccnz .LBB79_708
; %bb.707:
	s_cmp_gt_u32 s11, 0x7f800000
	s_movk_i32 s8, 0x7f
	s_cselect_b32 s8, s8, 0x7e
	v_mov_b32_e32 v5, s8
.LBB79_708:
	s_lshr_b32 s8, s10, 24
	s_and_b32 s8, s8, 0x80
	v_or_b32_e32 v1, s8, v5
	global_store_byte v[3:4], v1, off
.LBB79_709:
	s_mov_b64 s[8:9], 0
.LBB79_710:
	s_andn2_b64 vcc, exec, s[8:9]
	s_cbranch_vccnz .LBB79_722
; %bb.711:
	v_cvt_f32_f16_e32 v1, s2
	v_readfirstlane_b32 s10, v1
	s_and_b32 s11, s10, 0x7fffffff
	s_cmp_lt_u32 s11, 0x47800000
	s_cbranch_scc0 .LBB79_714
; %bb.712:
	s_cmp_gt_u32 s11, 0x387fffff
	s_cbranch_scc0 .LBB79_715
; %bb.713:
	s_bfe_u32 s8, s10, 0x10015
	s_add_i32 s8, s10, s8
	s_add_i32 s8, s8, 0x80fffff
	s_lshr_b32 s12, s8, 21
	s_mov_b64 s[8:9], 0
	s_branch .LBB79_716
.LBB79_714:
	s_mov_b64 s[8:9], -1
                                        ; implicit-def: $vgpr5
	s_branch .LBB79_719
.LBB79_715:
	s_mov_b64 s[8:9], -1
                                        ; implicit-def: $sgpr12
.LBB79_716:
	s_andn2_b64 vcc, exec, s[8:9]
	v_mov_b32_e32 v5, s12
	s_cbranch_vccnz .LBB79_718
; %bb.717:
	s_mov_b32 s8, 0x43000000
	v_add_f32_e64 v5, |v1|, s8
.LBB79_718:
	s_mov_b64 s[8:9], 0
.LBB79_719:
	s_andn2_b64 vcc, exec, s[8:9]
	s_cbranch_vccnz .LBB79_721
; %bb.720:
	s_cmp_gt_u32 s11, 0x7f800000
	s_movk_i32 s8, 0x7f
	s_cselect_b32 s8, s8, 0x7c
	v_mov_b32_e32 v5, s8
.LBB79_721:
	s_lshr_b32 s8, s10, 24
	s_and_b32 s8, s8, 0x80
	v_or_b32_e32 v1, s8, v5
	global_store_byte v[3:4], v1, off
.LBB79_722:
	s_mov_b64 s[8:9], 0
	s_mov_b64 s[10:11], -1
.LBB79_723:
	s_andn2_b64 vcc, exec, s[8:9]
	s_mov_b64 s[8:9], 0
	s_cbranch_vccnz .LBB79_730
; %bb.724:
	s_cmp_gt_i32 s14, 14
	s_mov_b64 s[12:13], -1
	s_cbranch_scc0 .LBB79_728
; %bb.725:
	s_cmp_eq_u32 s14, 15
	s_mov_b64 s[6:7], -1
	s_cbranch_scc0 .LBB79_727
; %bb.726:
	v_cvt_f32_f16_e32 v1, s2
	v_cmp_o_f16_e64 vcc, s2, s2
	v_mov_b32_e32 v5, 0x7fc0
	s_mov_b64 s[6:7], 0
	v_bfe_u32 v6, v1, 16, 1
	v_add_u32_e32 v1, v1, v6
	v_add_u32_e32 v1, 0x7fff, v1
	v_cndmask_b32_sdwa v1, v5, v1, vcc dst_sel:DWORD dst_unused:UNUSED_PAD src0_sel:DWORD src1_sel:WORD_1
	global_store_short v[3:4], v1, off
	s_mov_b64 s[10:11], -1
.LBB79_727:
	s_mov_b64 s[12:13], 0
.LBB79_728:
	s_and_b64 vcc, exec, s[12:13]
	s_cbranch_vccz .LBB79_730
; %bb.729:
	s_cmp_lg_u32 s14, 11
	s_mov_b64 s[8:9], -1
	s_cselect_b64 s[6:7], -1, 0
.LBB79_730:
	s_and_b64 vcc, exec, s[6:7]
	s_cbranch_vccnz .LBB79_832
; %bb.731:
	s_andn2_b64 vcc, exec, s[8:9]
	s_cbranch_vccnz .LBB79_733
.LBB79_732:
	s_and_b32 s6, s2, 0x7fff7fff
	s_cmp_lg_u32 s6, 0
	s_cselect_b64 s[6:7], -1, 0
	v_cndmask_b32_e64 v1, 0, 1, s[6:7]
	s_mov_b64 s[10:11], -1
	global_store_byte v[3:4], v1, off
.LBB79_733:
	s_branch .LBB79_674
.LBB79_734:
	s_cmp_lt_i32 s14, 5
	s_mov_b64 s[6:7], -1
	s_cbranch_scc1 .LBB79_755
; %bb.735:
	s_cmp_lt_i32 s14, 8
	s_cbranch_scc1 .LBB79_745
; %bb.736:
	s_cmp_lt_i32 s14, 9
	s_cbranch_scc1 .LBB79_742
; %bb.737:
	s_cmp_gt_i32 s14, 9
	s_cbranch_scc0 .LBB79_739
; %bb.738:
	s_lshr_b32 s6, s2, 16
	v_cvt_f32_f16_e32 v1, s2
	v_cvt_f32_f16_e32 v7, s6
	s_mov_b64 s[6:7], 0
	v_cvt_f64_f32_e32 v[5:6], v1
	v_cvt_f64_f32_e32 v[7:8], v7
	global_store_dwordx4 v[3:4], v[5:8], off
.LBB79_739:
	s_andn2_b64 vcc, exec, s[6:7]
	s_cbranch_vccnz .LBB79_741
; %bb.740:
	s_lshr_b32 s6, s2, 16
	v_cvt_f32_f16_e32 v5, s2
	v_cvt_f32_f16_e32 v6, s6
	global_store_dwordx2 v[3:4], v[5:6], off
.LBB79_741:
	s_mov_b64 s[6:7], 0
.LBB79_742:
	s_andn2_b64 vcc, exec, s[6:7]
	s_cbranch_vccnz .LBB79_744
; %bb.743:
	v_mov_b32_e32 v1, s2
	global_store_dword v[3:4], v1, off
.LBB79_744:
	s_mov_b64 s[6:7], 0
.LBB79_745:
	s_andn2_b64 vcc, exec, s[6:7]
	s_cbranch_vccnz .LBB79_754
; %bb.746:
	s_cmp_lt_i32 s14, 6
	s_mov_b64 s[6:7], -1
	s_cbranch_scc1 .LBB79_752
; %bb.747:
	s_cmp_gt_i32 s14, 6
	s_cbranch_scc0 .LBB79_749
; %bb.748:
	v_cvt_f32_f16_e32 v1, s2
	s_mov_b64 s[6:7], 0
	v_cvt_f64_f32_e32 v[5:6], v1
	global_store_dwordx2 v[3:4], v[5:6], off
.LBB79_749:
	s_andn2_b64 vcc, exec, s[6:7]
	s_cbranch_vccnz .LBB79_751
; %bb.750:
	v_cvt_f32_f16_e32 v1, s2
	global_store_dword v[3:4], v1, off
.LBB79_751:
	s_mov_b64 s[6:7], 0
.LBB79_752:
	s_andn2_b64 vcc, exec, s[6:7]
	s_cbranch_vccnz .LBB79_754
; %bb.753:
	v_mov_b32_e32 v1, s2
	global_store_short v[3:4], v1, off
.LBB79_754:
	s_mov_b64 s[6:7], 0
.LBB79_755:
	s_andn2_b64 vcc, exec, s[6:7]
	s_cbranch_vccnz .LBB79_771
; %bb.756:
	s_cmp_lt_i32 s14, 2
	s_mov_b64 s[6:7], -1
	s_cbranch_scc1 .LBB79_766
; %bb.757:
	s_cmp_lt_i32 s14, 3
	s_cbranch_scc1 .LBB79_763
; %bb.758:
	s_cmp_gt_i32 s14, 3
	s_cbranch_scc0 .LBB79_760
; %bb.759:
	v_cvt_f32_f16_e32 v1, s2
	s_mov_b64 s[6:7], 0
	v_cvt_i32_f32_e32 v5, v1
	v_ashrrev_i32_e32 v6, 31, v5
	global_store_dwordx2 v[3:4], v[5:6], off
.LBB79_760:
	s_andn2_b64 vcc, exec, s[6:7]
	s_cbranch_vccnz .LBB79_762
; %bb.761:
	v_cvt_f32_f16_e32 v1, s2
	v_cvt_i32_f32_e32 v1, v1
	global_store_dword v[3:4], v1, off
.LBB79_762:
	s_mov_b64 s[6:7], 0
.LBB79_763:
	s_andn2_b64 vcc, exec, s[6:7]
	s_cbranch_vccnz .LBB79_765
; %bb.764:
	v_cvt_i16_f16_e32 v1, s2
	global_store_short v[3:4], v1, off
.LBB79_765:
	s_mov_b64 s[6:7], 0
.LBB79_766:
	s_andn2_b64 vcc, exec, s[6:7]
	s_cbranch_vccnz .LBB79_771
; %bb.767:
	s_cmp_gt_i32 s14, 0
	s_mov_b64 s[6:7], -1
	s_cbranch_scc0 .LBB79_769
; %bb.768:
	v_cvt_i16_f16_e32 v1, s2
	global_store_byte v[3:4], v1, off
	s_mov_b64 s[6:7], 0
.LBB79_769:
	s_andn2_b64 vcc, exec, s[6:7]
	s_cbranch_vccnz .LBB79_771
; %bb.770:
	v_cvt_f32_f16_e32 v1, s2
	v_cvt_i32_f32_e32 v1, v1
	global_store_byte v[3:4], v1, off
.LBB79_771:
.LBB79_772:
	v_mov_b32_e32 v3, s1
	v_add_co_u32_e32 v1, vcc, s0, v2
	s_cmp_lt_i32 s14, 11
	v_addc_co_u32_e32 v2, vcc, 0, v3, vcc
	s_cbranch_scc1 .LBB79_800
; %bb.773:
	s_mov_b64 s[12:13], -1
	s_mov_b64 s[8:9], 0
	s_cmp_gt_i32 s14, 25
	s_mov_b64 s[10:11], 0
	s_mov_b64 s[6:7], 0
	s_cbranch_scc0 .LBB79_841
; %bb.774:
	s_cmp_gt_i32 s14, 28
	s_cbranch_scc0 .LBB79_789
; %bb.775:
	s_cmp_gt_i32 s14, 43
	;; [unrolled: 3-line block ×3, first 2 shown]
	s_cbranch_scc0 .LBB79_779
; %bb.777:
	s_mov_b64 s[6:7], -1
	s_mov_b64 s[12:13], 0
	s_cmp_eq_u32 s14, 46
	s_cbranch_scc0 .LBB79_779
; %bb.778:
	v_cvt_f32_f16_e32 v3, s2
	s_lshr_b32 s6, s2, 16
	v_cvt_f32_f16_e32 v4, s6
	v_cmp_o_f16_e64 vcc, s6, s6
	v_bfe_u32 v5, v3, 16, 1
	v_add_u32_e32 v3, v3, v5
	v_bfe_u32 v5, v4, 16, 1
	v_add_u32_e32 v4, v4, v5
	v_add_u32_e32 v4, 0x7fff, v4
	v_and_b32_e32 v4, 0xffff0000, v4
	v_mov_b32_e32 v5, 0x7fc00000
	v_add_u32_e32 v3, 0x7fff, v3
	v_cndmask_b32_e32 v4, v5, v4, vcc
	v_cmp_o_f16_e64 vcc, s2, s2
	v_mov_b32_e32 v5, 0x7fc0
	v_cndmask_b32_sdwa v3, v5, v3, vcc dst_sel:DWORD dst_unused:UNUSED_PAD src0_sel:DWORD src1_sel:WORD_1
	v_or_b32_e32 v3, v4, v3
	global_store_dword v[1:2], v3, off
	s_mov_b64 s[6:7], 0
	s_mov_b64 s[10:11], -1
.LBB79_779:
	s_and_b64 vcc, exec, s[12:13]
	s_cbranch_vccz .LBB79_784
; %bb.780:
	s_cmp_eq_u32 s14, 44
	s_mov_b64 s[6:7], -1
	s_cbranch_scc0 .LBB79_784
; %bb.781:
	v_cvt_f32_f16_e32 v3, s2
	v_mov_b32_e32 v4, 0xff
	v_readfirstlane_b32 s6, v3
	s_bfe_u32 s7, s6, 0x80017
	s_cmpk_eq_i32 s7, 0xff
	s_cbranch_scc1 .LBB79_783
; %bb.782:
	s_bitcmp1_b32 s6, 22
	s_cselect_b64 s[10:11], -1, 0
	s_and_b32 s6, s6, 0x3fffff
	s_or_b32 s6, s7, s6
	s_cmp_lg_u32 s6, 0
	s_cselect_b64 s[6:7], -1, 0
	s_and_b64 s[6:7], s[10:11], s[6:7]
	v_lshrrev_b32_e32 v3, 23, v3
	v_cndmask_b32_e64 v4, 0, 1, s[6:7]
	v_add_u32_e32 v4, v3, v4
.LBB79_783:
	s_mov_b64 s[6:7], 0
	s_mov_b64 s[10:11], -1
	global_store_byte v[1:2], v4, off
.LBB79_784:
	s_mov_b64 s[12:13], 0
.LBB79_785:
	s_and_b64 vcc, exec, s[12:13]
	s_cbranch_vccz .LBB79_788
; %bb.786:
	s_cmp_eq_u32 s14, 29
	s_mov_b64 s[6:7], -1
	s_cbranch_scc0 .LBB79_788
; %bb.787:
	v_cvt_f32_f16_e32 v3, s2
	v_mov_b32_e32 v4, 0
	s_mov_b64 s[6:7], 0
	s_mov_b64 s[10:11], -1
	v_cvt_u32_f32_e32 v3, v3
	global_store_dwordx2 v[1:2], v[3:4], off
.LBB79_788:
	s_mov_b64 s[12:13], 0
.LBB79_789:
	s_and_b64 vcc, exec, s[12:13]
	s_cbranch_vccz .LBB79_840
; %bb.790:
	s_cmp_lt_i32 s14, 27
	s_mov_b64 s[10:11], -1
	s_cbranch_scc1 .LBB79_796
; %bb.791:
	s_cmp_gt_i32 s14, 27
	s_cbranch_scc0 .LBB79_793
; %bb.792:
	v_cvt_f32_f16_e32 v3, s2
	s_mov_b64 s[10:11], 0
	v_cvt_u32_f32_e32 v3, v3
	global_store_dword v[1:2], v3, off
.LBB79_793:
	s_andn2_b64 vcc, exec, s[10:11]
	s_cbranch_vccnz .LBB79_795
; %bb.794:
	v_cvt_u16_f16_e32 v3, s2
	global_store_short v[1:2], v3, off
.LBB79_795:
	s_mov_b64 s[10:11], 0
.LBB79_796:
	s_andn2_b64 vcc, exec, s[10:11]
	s_cbranch_vccnz .LBB79_839
; %bb.797:
	v_cvt_f32_f16_e32 v3, s2
	v_mov_b32_e32 v4, 0x80
	v_readfirstlane_b32 s15, v3
	s_and_b32 s10, s15, 0x7fffffff
	s_cmp_gt_u32 s10, 0x437fffff
	s_cbranch_scc1 .LBB79_838
; %bb.798:
	s_cmp_gt_u32 s10, 0x3bffffff
	s_cbranch_scc0 .LBB79_833
; %bb.799:
	s_bfe_u32 s10, s15, 0x10014
	s_add_i32 s10, s15, s10
	s_add_i32 s10, s10, 0x487ffff
	s_lshr_b32 s16, s10, 20
	s_mov_b64 s[12:13], 0
	s_mov_b64 s[10:11], -1
	s_branch .LBB79_834
.LBB79_800:
	s_mov_b64 s[10:11], 0
	s_cbranch_execnz .LBB79_905
.LBB79_801:
	s_andn2_b64 vcc, exec, s[10:11]
	s_cbranch_vccnz .LBB79_943
.LBB79_802:
	v_mov_b32_e32 v1, s1
	v_add_co_u32_e32 v0, vcc, s0, v0
	s_cmp_lt_i32 s14, 11
	v_addc_co_u32_e32 v1, vcc, 0, v1, vcc
	s_cbranch_scc1 .LBB79_831
; %bb.803:
	s_mov_b64 s[8:9], -1
	s_mov_b64 s[6:7], 0
	s_cmp_gt_i32 s14, 25
	s_mov_b64 s[0:1], 0
	s_cbranch_scc0 .LBB79_855
; %bb.804:
	s_cmp_gt_i32 s14, 28
	s_cbranch_scc0 .LBB79_820
; %bb.805:
	s_cmp_gt_i32 s14, 43
	;; [unrolled: 3-line block ×3, first 2 shown]
	s_cbranch_scc0 .LBB79_810
; %bb.807:
	s_cmp_eq_u32 s14, 46
	s_mov_b64 s[0:1], -1
	s_cbranch_scc0 .LBB79_809
; %bb.808:
	v_cvt_f32_f16_e32 v2, s2
	s_lshr_b32 s0, s2, 16
	v_cvt_f32_f16_e32 v3, s0
	v_cmp_o_f16_e64 vcc, s0, s0
	v_bfe_u32 v4, v2, 16, 1
	v_add_u32_e32 v2, v2, v4
	v_bfe_u32 v4, v3, 16, 1
	v_add_u32_e32 v3, v3, v4
	v_add_u32_e32 v3, 0x7fff, v3
	v_and_b32_e32 v3, 0xffff0000, v3
	v_mov_b32_e32 v4, 0x7fc00000
	v_add_u32_e32 v2, 0x7fff, v2
	v_cndmask_b32_e32 v3, v4, v3, vcc
	v_cmp_o_f16_e64 vcc, s2, s2
	v_mov_b32_e32 v4, 0x7fc0
	v_cndmask_b32_sdwa v2, v4, v2, vcc dst_sel:DWORD dst_unused:UNUSED_PAD src0_sel:DWORD src1_sel:WORD_1
	v_or_b32_e32 v2, v3, v2
	global_store_dword v[0:1], v2, off
	s_mov_b64 s[0:1], 0
.LBB79_809:
	s_mov_b64 s[8:9], 0
.LBB79_810:
	s_and_b64 vcc, exec, s[8:9]
	s_cbranch_vccz .LBB79_815
; %bb.811:
	s_cmp_eq_u32 s14, 44
	s_mov_b64 s[0:1], -1
	s_cbranch_scc0 .LBB79_815
; %bb.812:
	v_cvt_f32_f16_e32 v2, s2
	v_mov_b32_e32 v3, 0xff
	v_readfirstlane_b32 s0, v2
	s_bfe_u32 s1, s0, 0x80017
	s_cmpk_eq_i32 s1, 0xff
	s_cbranch_scc1 .LBB79_814
; %bb.813:
	s_bitcmp1_b32 s0, 22
	s_cselect_b64 s[8:9], -1, 0
	s_and_b32 s0, s0, 0x3fffff
	s_or_b32 s0, s1, s0
	s_cmp_lg_u32 s0, 0
	s_cselect_b64 s[0:1], -1, 0
	s_and_b64 s[0:1], s[8:9], s[0:1]
	v_lshrrev_b32_e32 v2, 23, v2
	v_cndmask_b32_e64 v3, 0, 1, s[0:1]
	v_add_u32_e32 v3, v2, v3
.LBB79_814:
	s_mov_b64 s[0:1], 0
	global_store_byte v[0:1], v3, off
.LBB79_815:
	s_mov_b64 s[8:9], 0
.LBB79_816:
	s_and_b64 vcc, exec, s[8:9]
	s_cbranch_vccz .LBB79_819
; %bb.817:
	s_cmp_eq_u32 s14, 29
	s_mov_b64 s[0:1], -1
	s_cbranch_scc0 .LBB79_819
; %bb.818:
	v_cvt_f32_f16_e32 v2, s2
	v_mov_b32_e32 v3, 0
	s_mov_b64 s[0:1], 0
	v_cvt_u32_f32_e32 v2, v2
	global_store_dwordx2 v[0:1], v[2:3], off
.LBB79_819:
	s_mov_b64 s[8:9], 0
.LBB79_820:
	s_and_b64 vcc, exec, s[8:9]
	s_cbranch_vccz .LBB79_854
; %bb.821:
	s_cmp_lt_i32 s14, 27
	s_mov_b64 s[8:9], -1
	s_cbranch_scc1 .LBB79_827
; %bb.822:
	s_cmp_gt_i32 s14, 27
	s_cbranch_scc0 .LBB79_824
; %bb.823:
	v_cvt_f32_f16_e32 v2, s2
	s_mov_b64 s[8:9], 0
	v_cvt_u32_f32_e32 v2, v2
	global_store_dword v[0:1], v2, off
.LBB79_824:
	s_andn2_b64 vcc, exec, s[8:9]
	s_cbranch_vccnz .LBB79_826
; %bb.825:
	v_cvt_u16_f16_e32 v2, s2
	global_store_short v[0:1], v2, off
.LBB79_826:
	s_mov_b64 s[8:9], 0
.LBB79_827:
	s_andn2_b64 vcc, exec, s[8:9]
	s_cbranch_vccnz .LBB79_854
; %bb.828:
	v_cvt_f32_f16_e32 v2, s2
	v_mov_b32_e32 v3, 0x80
	v_readfirstlane_b32 s12, v2
	s_and_b32 s8, s12, 0x7fffffff
	s_cmp_gt_u32 s8, 0x437fffff
	s_cbranch_scc1 .LBB79_853
; %bb.829:
	s_cmp_gt_u32 s8, 0x3bffffff
	s_cbranch_scc0 .LBB79_848
; %bb.830:
	s_bfe_u32 s8, s12, 0x10014
	s_add_i32 s8, s12, s8
	s_add_i32 s8, s8, 0x487ffff
	s_lshr_b32 s13, s8, 20
	s_mov_b64 s[10:11], 0
	s_mov_b64 s[8:9], -1
	s_branch .LBB79_849
.LBB79_831:
	s_mov_b64 s[6:7], 0
	s_mov_b64 s[0:1], -1
	s_branch .LBB79_944
.LBB79_832:
	s_trap 2
	s_or_b64 s[4:5], s[4:5], exec
	s_cbranch_execz .LBB79_732
	s_branch .LBB79_733
.LBB79_833:
	s_mov_b64 s[12:13], -1
	s_mov_b64 s[10:11], 0
                                        ; implicit-def: $sgpr16
.LBB79_834:
	s_andn2_b64 vcc, exec, s[12:13]
	v_mov_b32_e32 v3, s16
	s_cbranch_vccnz .LBB79_836
; %bb.835:
	v_mov_b32_e32 v3, 0x46000000
	v_add_f32_e64 v3, |s15|, v3
	v_and_b32_e32 v3, 0xff, v3
	v_cmp_ne_u32_e64 s[10:11], 0, v3
.LBB79_836:
	s_andn2_b64 vcc, exec, s[10:11]
	v_mov_b32_e32 v4, 0
	s_cbranch_vccnz .LBB79_838
; %bb.837:
	s_lshr_b32 s10, s15, 24
	s_and_b32 s10, s10, 0x80
	v_or_b32_e32 v4, s10, v3
.LBB79_838:
	global_store_byte v[1:2], v4, off
.LBB79_839:
	s_mov_b64 s[10:11], -1
.LBB79_840:
	s_mov_b64 s[12:13], 0
.LBB79_841:
	s_and_b64 vcc, exec, s[12:13]
	s_cbranch_vccz .LBB79_901
; %bb.842:
	s_cmp_gt_i32 s14, 22
	s_mov_b64 s[8:9], -1
	s_cbranch_scc0 .LBB79_894
; %bb.843:
	s_cmp_lt_i32 s14, 24
	s_cbranch_scc1 .LBB79_881
; %bb.844:
	s_cmp_gt_i32 s14, 24
	s_cbranch_scc0 .LBB79_868
; %bb.845:
	v_cvt_f32_f16_e32 v3, s2
	v_mov_b32_e32 v4, 0x80
	v_readfirstlane_b32 s12, v3
	s_and_b32 s8, s12, 0x7fffffff
	s_cmp_gt_u32 s8, 0x477fffff
	s_cbranch_scc1 .LBB79_867
; %bb.846:
	s_cmp_gt_u32 s8, 0x37ffffff
	s_cbranch_scc0 .LBB79_862
; %bb.847:
	s_bfe_u32 s8, s12, 0x10015
	s_add_i32 s8, s12, s8
	s_add_i32 s8, s8, 0x88fffff
	s_lshr_b32 s13, s8, 21
	s_mov_b64 s[10:11], 0
	s_mov_b64 s[8:9], -1
	s_branch .LBB79_863
.LBB79_848:
	s_mov_b64 s[10:11], -1
	s_mov_b64 s[8:9], 0
                                        ; implicit-def: $sgpr13
.LBB79_849:
	s_andn2_b64 vcc, exec, s[10:11]
	v_mov_b32_e32 v2, s13
	s_cbranch_vccnz .LBB79_851
; %bb.850:
	v_mov_b32_e32 v2, 0x46000000
	v_add_f32_e64 v2, |s12|, v2
	v_and_b32_e32 v2, 0xff, v2
	v_cmp_ne_u32_e64 s[8:9], 0, v2
.LBB79_851:
	s_andn2_b64 vcc, exec, s[8:9]
	v_mov_b32_e32 v3, 0
	s_cbranch_vccnz .LBB79_853
; %bb.852:
	s_lshr_b32 s8, s12, 24
	s_and_b32 s8, s8, 0x80
	v_or_b32_e32 v3, s8, v2
.LBB79_853:
	global_store_byte v[0:1], v3, off
.LBB79_854:
	s_mov_b64 s[8:9], 0
.LBB79_855:
	s_and_b64 vcc, exec, s[8:9]
	s_cbranch_vccz .LBB79_1028
; %bb.856:
	s_cmp_gt_i32 s14, 22
	s_mov_b64 s[6:7], -1
	s_cbranch_scc0 .LBB79_1021
; %bb.857:
	s_cmp_lt_i32 s14, 24
	s_cbranch_scc1 .LBB79_1008
; %bb.858:
	s_cmp_gt_i32 s14, 24
	s_cbranch_scc0 .LBB79_995
; %bb.859:
	v_cvt_f32_f16_e32 v2, s2
	v_mov_b32_e32 v3, 0x80
	v_readfirstlane_b32 s10, v2
	s_and_b32 s6, s10, 0x7fffffff
	s_cmp_gt_u32 s6, 0x477fffff
	s_cbranch_scc1 .LBB79_994
; %bb.860:
	s_cmp_gt_u32 s6, 0x37ffffff
	s_cbranch_scc0 .LBB79_989
; %bb.861:
	s_bfe_u32 s6, s10, 0x10015
	s_add_i32 s6, s10, s6
	s_add_i32 s6, s6, 0x88fffff
	s_lshr_b32 s11, s6, 21
	s_mov_b64 s[8:9], 0
	s_mov_b64 s[6:7], -1
	s_branch .LBB79_990
.LBB79_862:
	s_mov_b64 s[10:11], -1
	s_mov_b64 s[8:9], 0
                                        ; implicit-def: $sgpr13
.LBB79_863:
	s_andn2_b64 vcc, exec, s[10:11]
	v_mov_b32_e32 v3, s13
	s_cbranch_vccnz .LBB79_865
; %bb.864:
	v_mov_b32_e32 v3, 0x42800000
	v_add_f32_e64 v3, |s12|, v3
	v_and_b32_e32 v3, 0xff, v3
	v_cmp_ne_u32_e64 s[8:9], 0, v3
.LBB79_865:
	s_andn2_b64 vcc, exec, s[8:9]
	v_mov_b32_e32 v4, 0
	s_cbranch_vccnz .LBB79_867
; %bb.866:
	s_lshr_b32 s8, s12, 24
	s_and_b32 s8, s8, 0x80
	v_or_b32_e32 v4, s8, v3
.LBB79_867:
	s_mov_b64 s[8:9], 0
	global_store_byte v[1:2], v4, off
.LBB79_868:
	s_and_b64 vcc, exec, s[8:9]
	s_cbranch_vccz .LBB79_880
; %bb.869:
	v_cvt_f32_f16_e32 v3, s2
	v_readfirstlane_b32 s10, v3
	s_and_b32 s11, s10, 0x7fffffff
	s_cmp_lt_u32 s11, 0x43f00000
	s_cbranch_scc0 .LBB79_872
; %bb.870:
	s_cmp_gt_u32 s11, 0x3c7fffff
	s_cbranch_scc0 .LBB79_873
; %bb.871:
	s_bfe_u32 s8, s10, 0x10014
	s_add_i32 s8, s10, s8
	s_add_i32 s8, s8, 0x407ffff
	s_lshr_b32 s9, s8, 20
	s_and_b32 s8, s8, 0xff00000
	s_cmp_lg_u32 s8, 0x7f00000
	s_cselect_b32 s12, s9, 0x7e
	s_mov_b64 s[8:9], 0
	s_branch .LBB79_874
.LBB79_872:
	s_mov_b64 s[8:9], -1
                                        ; implicit-def: $vgpr4
	s_branch .LBB79_877
.LBB79_873:
	s_mov_b64 s[8:9], -1
                                        ; implicit-def: $sgpr12
.LBB79_874:
	s_andn2_b64 vcc, exec, s[8:9]
	v_mov_b32_e32 v4, s12
	s_cbranch_vccnz .LBB79_876
; %bb.875:
	s_mov_b32 s8, 0x46800000
	v_add_f32_e64 v4, |v3|, s8
.LBB79_876:
	s_mov_b64 s[8:9], 0
.LBB79_877:
	s_andn2_b64 vcc, exec, s[8:9]
	s_cbranch_vccnz .LBB79_879
; %bb.878:
	s_cmp_gt_u32 s11, 0x7f800000
	s_movk_i32 s8, 0x7f
	s_cselect_b32 s8, s8, 0x7e
	v_mov_b32_e32 v4, s8
.LBB79_879:
	s_lshr_b32 s8, s10, 24
	s_and_b32 s8, s8, 0x80
	v_or_b32_e32 v3, s8, v4
	global_store_byte v[1:2], v3, off
.LBB79_880:
	s_mov_b64 s[8:9], 0
.LBB79_881:
	s_andn2_b64 vcc, exec, s[8:9]
	s_cbranch_vccnz .LBB79_893
; %bb.882:
	v_cvt_f32_f16_e32 v3, s2
	v_readfirstlane_b32 s10, v3
	s_and_b32 s11, s10, 0x7fffffff
	s_cmp_lt_u32 s11, 0x47800000
	s_cbranch_scc0 .LBB79_885
; %bb.883:
	s_cmp_gt_u32 s11, 0x387fffff
	s_cbranch_scc0 .LBB79_886
; %bb.884:
	s_bfe_u32 s8, s10, 0x10015
	s_add_i32 s8, s10, s8
	s_add_i32 s8, s8, 0x80fffff
	s_lshr_b32 s12, s8, 21
	s_mov_b64 s[8:9], 0
	s_branch .LBB79_887
.LBB79_885:
	s_mov_b64 s[8:9], -1
                                        ; implicit-def: $vgpr4
	s_branch .LBB79_890
.LBB79_886:
	s_mov_b64 s[8:9], -1
                                        ; implicit-def: $sgpr12
.LBB79_887:
	s_andn2_b64 vcc, exec, s[8:9]
	v_mov_b32_e32 v4, s12
	s_cbranch_vccnz .LBB79_889
; %bb.888:
	s_mov_b32 s8, 0x43000000
	v_add_f32_e64 v4, |v3|, s8
.LBB79_889:
	s_mov_b64 s[8:9], 0
.LBB79_890:
	s_andn2_b64 vcc, exec, s[8:9]
	s_cbranch_vccnz .LBB79_892
; %bb.891:
	s_cmp_gt_u32 s11, 0x7f800000
	s_movk_i32 s8, 0x7f
	s_cselect_b32 s8, s8, 0x7c
	v_mov_b32_e32 v4, s8
.LBB79_892:
	s_lshr_b32 s8, s10, 24
	s_and_b32 s8, s8, 0x80
	v_or_b32_e32 v3, s8, v4
	global_store_byte v[1:2], v3, off
.LBB79_893:
	s_mov_b64 s[8:9], 0
	s_mov_b64 s[10:11], -1
.LBB79_894:
	s_andn2_b64 vcc, exec, s[8:9]
	s_mov_b64 s[8:9], 0
	s_cbranch_vccnz .LBB79_901
; %bb.895:
	s_cmp_gt_i32 s14, 14
	s_mov_b64 s[12:13], -1
	s_cbranch_scc0 .LBB79_899
; %bb.896:
	s_cmp_eq_u32 s14, 15
	s_mov_b64 s[6:7], -1
	s_cbranch_scc0 .LBB79_898
; %bb.897:
	v_cvt_f32_f16_e32 v3, s2
	v_cmp_o_f16_e64 vcc, s2, s2
	v_mov_b32_e32 v4, 0x7fc0
	s_mov_b64 s[6:7], 0
	v_bfe_u32 v5, v3, 16, 1
	v_add_u32_e32 v3, v3, v5
	v_add_u32_e32 v3, 0x7fff, v3
	v_cndmask_b32_sdwa v3, v4, v3, vcc dst_sel:DWORD dst_unused:UNUSED_PAD src0_sel:DWORD src1_sel:WORD_1
	global_store_short v[1:2], v3, off
	s_mov_b64 s[10:11], -1
.LBB79_898:
	s_mov_b64 s[12:13], 0
.LBB79_899:
	s_and_b64 vcc, exec, s[12:13]
	s_cbranch_vccz .LBB79_901
; %bb.900:
	s_cmp_lg_u32 s14, 11
	s_mov_b64 s[8:9], -1
	s_cselect_b64 s[6:7], -1, 0
.LBB79_901:
	s_and_b64 vcc, exec, s[6:7]
	s_cbranch_vccnz .LBB79_988
; %bb.902:
	s_andn2_b64 vcc, exec, s[8:9]
	s_cbranch_vccnz .LBB79_904
.LBB79_903:
	s_and_b32 s6, s2, 0x7fff7fff
	s_cmp_lg_u32 s6, 0
	s_cselect_b64 s[6:7], -1, 0
	v_cndmask_b32_e64 v3, 0, 1, s[6:7]
	s_mov_b64 s[10:11], -1
	global_store_byte v[1:2], v3, off
.LBB79_904:
	s_branch .LBB79_801
.LBB79_905:
	s_cmp_lt_i32 s14, 5
	s_mov_b64 s[6:7], -1
	s_cbranch_scc1 .LBB79_926
; %bb.906:
	s_cmp_lt_i32 s14, 8
	s_cbranch_scc1 .LBB79_916
; %bb.907:
	s_cmp_lt_i32 s14, 9
	s_cbranch_scc1 .LBB79_913
; %bb.908:
	s_cmp_gt_i32 s14, 9
	s_cbranch_scc0 .LBB79_910
; %bb.909:
	s_lshr_b32 s6, s2, 16
	v_cvt_f32_f16_e32 v3, s2
	v_cvt_f32_f16_e32 v5, s6
	s_mov_b64 s[6:7], 0
	v_cvt_f64_f32_e32 v[3:4], v3
	v_cvt_f64_f32_e32 v[5:6], v5
	global_store_dwordx4 v[1:2], v[3:6], off
.LBB79_910:
	s_andn2_b64 vcc, exec, s[6:7]
	s_cbranch_vccnz .LBB79_912
; %bb.911:
	s_lshr_b32 s6, s2, 16
	v_cvt_f32_f16_e32 v3, s2
	v_cvt_f32_f16_e32 v4, s6
	global_store_dwordx2 v[1:2], v[3:4], off
.LBB79_912:
	s_mov_b64 s[6:7], 0
.LBB79_913:
	s_andn2_b64 vcc, exec, s[6:7]
	s_cbranch_vccnz .LBB79_915
; %bb.914:
	v_mov_b32_e32 v3, s2
	global_store_dword v[1:2], v3, off
.LBB79_915:
	s_mov_b64 s[6:7], 0
.LBB79_916:
	s_andn2_b64 vcc, exec, s[6:7]
	s_cbranch_vccnz .LBB79_925
; %bb.917:
	s_cmp_lt_i32 s14, 6
	s_mov_b64 s[6:7], -1
	s_cbranch_scc1 .LBB79_923
; %bb.918:
	s_cmp_gt_i32 s14, 6
	s_cbranch_scc0 .LBB79_920
; %bb.919:
	v_cvt_f32_f16_e32 v3, s2
	s_mov_b64 s[6:7], 0
	v_cvt_f64_f32_e32 v[3:4], v3
	global_store_dwordx2 v[1:2], v[3:4], off
.LBB79_920:
	s_andn2_b64 vcc, exec, s[6:7]
	s_cbranch_vccnz .LBB79_922
; %bb.921:
	v_cvt_f32_f16_e32 v3, s2
	global_store_dword v[1:2], v3, off
.LBB79_922:
	s_mov_b64 s[6:7], 0
.LBB79_923:
	s_andn2_b64 vcc, exec, s[6:7]
	s_cbranch_vccnz .LBB79_925
; %bb.924:
	v_mov_b32_e32 v3, s2
	global_store_short v[1:2], v3, off
.LBB79_925:
	s_mov_b64 s[6:7], 0
.LBB79_926:
	s_andn2_b64 vcc, exec, s[6:7]
	s_cbranch_vccnz .LBB79_942
; %bb.927:
	s_cmp_lt_i32 s14, 2
	s_mov_b64 s[6:7], -1
	s_cbranch_scc1 .LBB79_937
; %bb.928:
	s_cmp_lt_i32 s14, 3
	s_cbranch_scc1 .LBB79_934
; %bb.929:
	s_cmp_gt_i32 s14, 3
	s_cbranch_scc0 .LBB79_931
; %bb.930:
	v_cvt_f32_f16_e32 v3, s2
	s_mov_b64 s[6:7], 0
	v_cvt_i32_f32_e32 v3, v3
	v_ashrrev_i32_e32 v4, 31, v3
	global_store_dwordx2 v[1:2], v[3:4], off
.LBB79_931:
	s_andn2_b64 vcc, exec, s[6:7]
	s_cbranch_vccnz .LBB79_933
; %bb.932:
	v_cvt_f32_f16_e32 v3, s2
	v_cvt_i32_f32_e32 v3, v3
	global_store_dword v[1:2], v3, off
.LBB79_933:
	s_mov_b64 s[6:7], 0
.LBB79_934:
	s_andn2_b64 vcc, exec, s[6:7]
	s_cbranch_vccnz .LBB79_936
; %bb.935:
	v_cvt_i16_f16_e32 v3, s2
	global_store_short v[1:2], v3, off
.LBB79_936:
	s_mov_b64 s[6:7], 0
.LBB79_937:
	s_andn2_b64 vcc, exec, s[6:7]
	s_cbranch_vccnz .LBB79_942
; %bb.938:
	s_cmp_gt_i32 s14, 0
	s_mov_b64 s[6:7], -1
	s_cbranch_scc0 .LBB79_940
; %bb.939:
	v_cvt_i16_f16_e32 v3, s2
	global_store_byte v[1:2], v3, off
	s_mov_b64 s[6:7], 0
.LBB79_940:
	s_andn2_b64 vcc, exec, s[6:7]
	s_cbranch_vccnz .LBB79_942
; %bb.941:
	v_cvt_f32_f16_e32 v3, s2
	v_cvt_i32_f32_e32 v3, v3
	global_store_byte v[1:2], v3, off
.LBB79_942:
	s_branch .LBB79_802
.LBB79_943:
	s_mov_b64 s[0:1], 0
	s_mov_b64 s[6:7], 0
                                        ; implicit-def: $sgpr3
                                        ; implicit-def: $vgpr0_vgpr1
.LBB79_944:
	s_andn2_b64 s[8:9], s[20:21], exec
	s_and_b64 s[4:5], s[4:5], exec
	s_and_b64 s[0:1], s[0:1], exec
	;; [unrolled: 1-line block ×3, first 2 shown]
	s_or_b64 s[20:21], s[8:9], s[4:5]
.LBB79_945:
	s_or_b64 exec, exec, s[22:23]
	s_and_saveexec_b64 s[4:5], s[20:21]
	s_cbranch_execz .LBB79_948
; %bb.946:
	; divergent unreachable
	s_or_b64 exec, exec, s[4:5]
	s_and_saveexec_b64 s[4:5], s[6:7]
	s_xor_b64 s[4:5], exec, s[4:5]
	s_cbranch_execnz .LBB79_949
.LBB79_947:
	s_or_b64 exec, exec, s[4:5]
	s_and_saveexec_b64 s[4:5], s[0:1]
	s_cbranch_execnz .LBB79_950
	s_branch .LBB79_987
.LBB79_948:
	s_or_b64 exec, exec, s[4:5]
	s_and_saveexec_b64 s[4:5], s[6:7]
	s_xor_b64 s[4:5], exec, s[4:5]
	s_cbranch_execz .LBB79_947
.LBB79_949:
	s_and_b32 s6, s2, 0x7fff7fff
	s_cmp_lg_u32 s6, 0
	s_cselect_b64 s[6:7], -1, 0
	v_cndmask_b32_e64 v2, 0, 1, s[6:7]
	global_store_byte v[0:1], v2, off
	s_or_b64 exec, exec, s[4:5]
	s_and_saveexec_b64 s[4:5], s[0:1]
	s_cbranch_execz .LBB79_987
.LBB79_950:
	s_sext_i32_i16 s4, s3
	s_cmp_lt_i32 s4, 5
	s_mov_b64 s[0:1], -1
	s_cbranch_scc1 .LBB79_971
; %bb.951:
	s_cmp_lt_i32 s4, 8
	s_cbranch_scc1 .LBB79_961
; %bb.952:
	s_cmp_lt_i32 s4, 9
	s_cbranch_scc1 .LBB79_958
; %bb.953:
	s_cmp_gt_i32 s4, 9
	s_cbranch_scc0 .LBB79_955
; %bb.954:
	s_lshr_b32 s0, s2, 16
	v_cvt_f32_f16_e32 v2, s2
	v_cvt_f32_f16_e32 v4, s0
	s_mov_b64 s[0:1], 0
	v_cvt_f64_f32_e32 v[2:3], v2
	v_cvt_f64_f32_e32 v[4:5], v4
	global_store_dwordx4 v[0:1], v[2:5], off
.LBB79_955:
	s_andn2_b64 vcc, exec, s[0:1]
	s_cbranch_vccnz .LBB79_957
; %bb.956:
	s_lshr_b32 s0, s2, 16
	v_cvt_f32_f16_e32 v2, s2
	v_cvt_f32_f16_e32 v3, s0
	global_store_dwordx2 v[0:1], v[2:3], off
.LBB79_957:
	s_mov_b64 s[0:1], 0
.LBB79_958:
	s_andn2_b64 vcc, exec, s[0:1]
	s_cbranch_vccnz .LBB79_960
; %bb.959:
	v_mov_b32_e32 v2, s2
	global_store_dword v[0:1], v2, off
.LBB79_960:
	s_mov_b64 s[0:1], 0
.LBB79_961:
	s_andn2_b64 vcc, exec, s[0:1]
	s_cbranch_vccnz .LBB79_970
; %bb.962:
	s_sext_i32_i16 s4, s3
	s_cmp_lt_i32 s4, 6
	s_mov_b64 s[0:1], -1
	s_cbranch_scc1 .LBB79_968
; %bb.963:
	s_cmp_gt_i32 s4, 6
	s_cbranch_scc0 .LBB79_965
; %bb.964:
	v_cvt_f32_f16_e32 v2, s2
	s_mov_b64 s[0:1], 0
	v_cvt_f64_f32_e32 v[2:3], v2
	global_store_dwordx2 v[0:1], v[2:3], off
.LBB79_965:
	s_andn2_b64 vcc, exec, s[0:1]
	s_cbranch_vccnz .LBB79_967
; %bb.966:
	v_cvt_f32_f16_e32 v2, s2
	global_store_dword v[0:1], v2, off
.LBB79_967:
	s_mov_b64 s[0:1], 0
.LBB79_968:
	s_andn2_b64 vcc, exec, s[0:1]
	s_cbranch_vccnz .LBB79_970
; %bb.969:
	v_mov_b32_e32 v2, s2
	global_store_short v[0:1], v2, off
.LBB79_970:
	s_mov_b64 s[0:1], 0
.LBB79_971:
	s_andn2_b64 vcc, exec, s[0:1]
	s_cbranch_vccnz .LBB79_987
; %bb.972:
	s_sext_i32_i16 s4, s3
	s_cmp_lt_i32 s4, 2
	s_mov_b64 s[0:1], -1
	s_cbranch_scc1 .LBB79_982
; %bb.973:
	s_cmp_lt_i32 s4, 3
	s_cbranch_scc1 .LBB79_979
; %bb.974:
	s_cmp_gt_i32 s4, 3
	s_cbranch_scc0 .LBB79_976
; %bb.975:
	v_cvt_f32_f16_e32 v2, s2
	s_mov_b64 s[0:1], 0
	v_cvt_i32_f32_e32 v2, v2
	v_ashrrev_i32_e32 v3, 31, v2
	global_store_dwordx2 v[0:1], v[2:3], off
.LBB79_976:
	s_andn2_b64 vcc, exec, s[0:1]
	s_cbranch_vccnz .LBB79_978
; %bb.977:
	v_cvt_f32_f16_e32 v2, s2
	v_cvt_i32_f32_e32 v2, v2
	global_store_dword v[0:1], v2, off
.LBB79_978:
	s_mov_b64 s[0:1], 0
.LBB79_979:
	s_andn2_b64 vcc, exec, s[0:1]
	s_cbranch_vccnz .LBB79_981
; %bb.980:
	v_cvt_i16_f16_e32 v2, s2
	global_store_short v[0:1], v2, off
.LBB79_981:
	s_mov_b64 s[0:1], 0
.LBB79_982:
	s_andn2_b64 vcc, exec, s[0:1]
	s_cbranch_vccnz .LBB79_987
; %bb.983:
	s_sext_i32_i16 s0, s3
	s_cmp_gt_i32 s0, 0
	s_mov_b64 s[0:1], -1
	s_cbranch_scc0 .LBB79_985
; %bb.984:
	v_cvt_i16_f16_e32 v2, s2
	global_store_byte v[0:1], v2, off
	s_mov_b64 s[0:1], 0
.LBB79_985:
	s_andn2_b64 vcc, exec, s[0:1]
	s_cbranch_vccnz .LBB79_987
; %bb.986:
	v_cvt_f32_f16_e32 v2, s2
	v_cvt_i32_f32_e32 v2, v2
	global_store_byte v[0:1], v2, off
	s_endpgm
.LBB79_987:
	s_endpgm
.LBB79_988:
	s_trap 2
	s_or_b64 s[4:5], s[4:5], exec
	s_cbranch_execz .LBB79_903
	s_branch .LBB79_904
.LBB79_989:
	s_mov_b64 s[8:9], -1
	s_mov_b64 s[6:7], 0
                                        ; implicit-def: $sgpr11
.LBB79_990:
	s_andn2_b64 vcc, exec, s[8:9]
	v_mov_b32_e32 v2, s11
	s_cbranch_vccnz .LBB79_992
; %bb.991:
	v_mov_b32_e32 v2, 0x42800000
	v_add_f32_e64 v2, |s10|, v2
	v_and_b32_e32 v2, 0xff, v2
	v_cmp_ne_u32_e64 s[6:7], 0, v2
.LBB79_992:
	s_andn2_b64 vcc, exec, s[6:7]
	v_mov_b32_e32 v3, 0
	s_cbranch_vccnz .LBB79_994
; %bb.993:
	s_lshr_b32 s6, s10, 24
	s_and_b32 s6, s6, 0x80
	v_or_b32_e32 v3, s6, v2
.LBB79_994:
	s_mov_b64 s[6:7], 0
	global_store_byte v[0:1], v3, off
.LBB79_995:
	s_and_b64 vcc, exec, s[6:7]
	s_cbranch_vccz .LBB79_1007
; %bb.996:
	v_cvt_f32_f16_e32 v2, s2
	v_readfirstlane_b32 s8, v2
	s_and_b32 s9, s8, 0x7fffffff
	s_cmp_lt_u32 s9, 0x43f00000
	s_cbranch_scc0 .LBB79_999
; %bb.997:
	s_cmp_gt_u32 s9, 0x3c7fffff
	s_cbranch_scc0 .LBB79_1000
; %bb.998:
	s_bfe_u32 s6, s8, 0x10014
	s_add_i32 s6, s8, s6
	s_add_i32 s6, s6, 0x407ffff
	s_lshr_b32 s7, s6, 20
	s_and_b32 s6, s6, 0xff00000
	s_cmp_lg_u32 s6, 0x7f00000
	s_cselect_b32 s10, s7, 0x7e
	s_mov_b64 s[6:7], 0
	s_branch .LBB79_1001
.LBB79_999:
	s_mov_b64 s[6:7], -1
                                        ; implicit-def: $vgpr3
	s_branch .LBB79_1004
.LBB79_1000:
	s_mov_b64 s[6:7], -1
                                        ; implicit-def: $sgpr10
.LBB79_1001:
	s_andn2_b64 vcc, exec, s[6:7]
	v_mov_b32_e32 v3, s10
	s_cbranch_vccnz .LBB79_1003
; %bb.1002:
	s_mov_b32 s6, 0x46800000
	v_add_f32_e64 v3, |v2|, s6
.LBB79_1003:
	s_mov_b64 s[6:7], 0
.LBB79_1004:
	s_andn2_b64 vcc, exec, s[6:7]
	s_cbranch_vccnz .LBB79_1006
; %bb.1005:
	s_cmp_gt_u32 s9, 0x7f800000
	s_movk_i32 s6, 0x7f
	s_cselect_b32 s6, s6, 0x7e
	v_mov_b32_e32 v3, s6
.LBB79_1006:
	s_lshr_b32 s6, s8, 24
	s_and_b32 s6, s6, 0x80
	v_or_b32_e32 v2, s6, v3
	global_store_byte v[0:1], v2, off
.LBB79_1007:
	s_mov_b64 s[6:7], 0
.LBB79_1008:
	s_andn2_b64 vcc, exec, s[6:7]
	s_cbranch_vccnz .LBB79_1020
; %bb.1009:
	v_cvt_f32_f16_e32 v2, s2
	v_readfirstlane_b32 s8, v2
	s_and_b32 s9, s8, 0x7fffffff
	s_cmp_lt_u32 s9, 0x47800000
	s_cbranch_scc0 .LBB79_1012
; %bb.1010:
	s_cmp_gt_u32 s9, 0x387fffff
	s_cbranch_scc0 .LBB79_1013
; %bb.1011:
	s_bfe_u32 s6, s8, 0x10015
	s_add_i32 s6, s8, s6
	s_add_i32 s6, s6, 0x80fffff
	s_lshr_b32 s10, s6, 21
	s_mov_b64 s[6:7], 0
	s_branch .LBB79_1014
.LBB79_1012:
	s_mov_b64 s[6:7], -1
                                        ; implicit-def: $vgpr3
	s_branch .LBB79_1017
.LBB79_1013:
	s_mov_b64 s[6:7], -1
                                        ; implicit-def: $sgpr10
.LBB79_1014:
	s_andn2_b64 vcc, exec, s[6:7]
	v_mov_b32_e32 v3, s10
	s_cbranch_vccnz .LBB79_1016
; %bb.1015:
	s_mov_b32 s6, 0x43000000
	v_add_f32_e64 v3, |v2|, s6
.LBB79_1016:
	s_mov_b64 s[6:7], 0
.LBB79_1017:
	s_andn2_b64 vcc, exec, s[6:7]
	s_cbranch_vccnz .LBB79_1019
; %bb.1018:
	s_cmp_gt_u32 s9, 0x7f800000
	s_movk_i32 s6, 0x7f
	s_cselect_b32 s6, s6, 0x7c
	v_mov_b32_e32 v3, s6
.LBB79_1019:
	s_lshr_b32 s6, s8, 24
	s_and_b32 s6, s6, 0x80
	v_or_b32_e32 v2, s6, v3
	global_store_byte v[0:1], v2, off
.LBB79_1020:
	s_mov_b64 s[6:7], 0
.LBB79_1021:
	s_andn2_b64 vcc, exec, s[6:7]
	s_mov_b64 s[6:7], 0
	s_cbranch_vccnz .LBB79_1028
; %bb.1022:
	s_cmp_gt_i32 s14, 14
	s_mov_b64 s[8:9], -1
	s_cbranch_scc0 .LBB79_1026
; %bb.1023:
	s_cmp_eq_u32 s14, 15
	s_mov_b64 s[0:1], -1
	s_cbranch_scc0 .LBB79_1025
; %bb.1024:
	v_cvt_f32_f16_e32 v2, s2
	v_cmp_o_f16_e64 vcc, s2, s2
	v_mov_b32_e32 v3, 0x7fc0
	s_mov_b64 s[0:1], 0
	v_bfe_u32 v4, v2, 16, 1
	v_add_u32_e32 v2, v2, v4
	v_add_u32_e32 v2, 0x7fff, v2
	v_cndmask_b32_sdwa v2, v3, v2, vcc dst_sel:DWORD dst_unused:UNUSED_PAD src0_sel:DWORD src1_sel:WORD_1
	global_store_short v[0:1], v2, off
.LBB79_1025:
	s_mov_b64 s[8:9], 0
.LBB79_1026:
	s_and_b64 vcc, exec, s[8:9]
	s_cbranch_vccz .LBB79_1028
; %bb.1027:
	s_cmp_lg_u32 s14, 11
	s_mov_b64 s[6:7], -1
	s_cselect_b64 s[0:1], -1, 0
.LBB79_1028:
	s_and_b64 vcc, exec, s[0:1]
	s_cbranch_vccnz .LBB79_1030
.LBB79_1029:
	s_mov_b64 s[0:1], 0
	s_branch .LBB79_944
.LBB79_1030:
	s_mov_b64 s[6:7], 0
	s_or_b64 s[4:5], s[4:5], exec
	s_trap 2
	s_branch .LBB79_1029
	.section	.rodata,"a",@progbits
	.p2align	6, 0x0
	.amdhsa_kernel _ZN2at6native32elementwise_kernel_manual_unrollILi128ELi4EZNS0_15gpu_kernel_implINS0_11FillFunctorIN3c107complexINS4_4HalfEEEEEEEvRNS_18TensorIteratorBaseERKT_EUlibE0_EEviT1_
		.amdhsa_group_segment_fixed_size 0
		.amdhsa_private_segment_fixed_size 0
		.amdhsa_kernarg_size 288
		.amdhsa_user_sgpr_count 6
		.amdhsa_user_sgpr_private_segment_buffer 1
		.amdhsa_user_sgpr_dispatch_ptr 0
		.amdhsa_user_sgpr_queue_ptr 0
		.amdhsa_user_sgpr_kernarg_segment_ptr 1
		.amdhsa_user_sgpr_dispatch_id 0
		.amdhsa_user_sgpr_flat_scratch_init 0
		.amdhsa_user_sgpr_private_segment_size 0
		.amdhsa_uses_dynamic_stack 0
		.amdhsa_system_sgpr_private_segment_wavefront_offset 0
		.amdhsa_system_sgpr_workgroup_id_x 1
		.amdhsa_system_sgpr_workgroup_id_y 0
		.amdhsa_system_sgpr_workgroup_id_z 0
		.amdhsa_system_sgpr_workgroup_info 0
		.amdhsa_system_vgpr_workitem_id 0
		.amdhsa_next_free_vgpr 28
		.amdhsa_next_free_sgpr 94
		.amdhsa_reserve_vcc 1
		.amdhsa_reserve_flat_scratch 0
		.amdhsa_float_round_mode_32 0
		.amdhsa_float_round_mode_16_64 0
		.amdhsa_float_denorm_mode_32 3
		.amdhsa_float_denorm_mode_16_64 3
		.amdhsa_dx10_clamp 1
		.amdhsa_ieee_mode 1
		.amdhsa_fp16_overflow 0
		.amdhsa_exception_fp_ieee_invalid_op 0
		.amdhsa_exception_fp_denorm_src 0
		.amdhsa_exception_fp_ieee_div_zero 0
		.amdhsa_exception_fp_ieee_overflow 0
		.amdhsa_exception_fp_ieee_underflow 0
		.amdhsa_exception_fp_ieee_inexact 0
		.amdhsa_exception_int_div_zero 0
	.end_amdhsa_kernel
	.section	.text._ZN2at6native32elementwise_kernel_manual_unrollILi128ELi4EZNS0_15gpu_kernel_implINS0_11FillFunctorIN3c107complexINS4_4HalfEEEEEEEvRNS_18TensorIteratorBaseERKT_EUlibE0_EEviT1_,"axG",@progbits,_ZN2at6native32elementwise_kernel_manual_unrollILi128ELi4EZNS0_15gpu_kernel_implINS0_11FillFunctorIN3c107complexINS4_4HalfEEEEEEEvRNS_18TensorIteratorBaseERKT_EUlibE0_EEviT1_,comdat
.Lfunc_end79:
	.size	_ZN2at6native32elementwise_kernel_manual_unrollILi128ELi4EZNS0_15gpu_kernel_implINS0_11FillFunctorIN3c107complexINS4_4HalfEEEEEEEvRNS_18TensorIteratorBaseERKT_EUlibE0_EEviT1_, .Lfunc_end79-_ZN2at6native32elementwise_kernel_manual_unrollILi128ELi4EZNS0_15gpu_kernel_implINS0_11FillFunctorIN3c107complexINS4_4HalfEEEEEEEvRNS_18TensorIteratorBaseERKT_EUlibE0_EEviT1_
                                        ; -- End function
	.set _ZN2at6native32elementwise_kernel_manual_unrollILi128ELi4EZNS0_15gpu_kernel_implINS0_11FillFunctorIN3c107complexINS4_4HalfEEEEEEEvRNS_18TensorIteratorBaseERKT_EUlibE0_EEviT1_.num_vgpr, 28
	.set _ZN2at6native32elementwise_kernel_manual_unrollILi128ELi4EZNS0_15gpu_kernel_implINS0_11FillFunctorIN3c107complexINS4_4HalfEEEEEEEvRNS_18TensorIteratorBaseERKT_EUlibE0_EEviT1_.num_agpr, 0
	.set _ZN2at6native32elementwise_kernel_manual_unrollILi128ELi4EZNS0_15gpu_kernel_implINS0_11FillFunctorIN3c107complexINS4_4HalfEEEEEEEvRNS_18TensorIteratorBaseERKT_EUlibE0_EEviT1_.numbered_sgpr, 94
	.set _ZN2at6native32elementwise_kernel_manual_unrollILi128ELi4EZNS0_15gpu_kernel_implINS0_11FillFunctorIN3c107complexINS4_4HalfEEEEEEEvRNS_18TensorIteratorBaseERKT_EUlibE0_EEviT1_.num_named_barrier, 0
	.set _ZN2at6native32elementwise_kernel_manual_unrollILi128ELi4EZNS0_15gpu_kernel_implINS0_11FillFunctorIN3c107complexINS4_4HalfEEEEEEEvRNS_18TensorIteratorBaseERKT_EUlibE0_EEviT1_.private_seg_size, 0
	.set _ZN2at6native32elementwise_kernel_manual_unrollILi128ELi4EZNS0_15gpu_kernel_implINS0_11FillFunctorIN3c107complexINS4_4HalfEEEEEEEvRNS_18TensorIteratorBaseERKT_EUlibE0_EEviT1_.uses_vcc, 1
	.set _ZN2at6native32elementwise_kernel_manual_unrollILi128ELi4EZNS0_15gpu_kernel_implINS0_11FillFunctorIN3c107complexINS4_4HalfEEEEEEEvRNS_18TensorIteratorBaseERKT_EUlibE0_EEviT1_.uses_flat_scratch, 0
	.set _ZN2at6native32elementwise_kernel_manual_unrollILi128ELi4EZNS0_15gpu_kernel_implINS0_11FillFunctorIN3c107complexINS4_4HalfEEEEEEEvRNS_18TensorIteratorBaseERKT_EUlibE0_EEviT1_.has_dyn_sized_stack, 0
	.set _ZN2at6native32elementwise_kernel_manual_unrollILi128ELi4EZNS0_15gpu_kernel_implINS0_11FillFunctorIN3c107complexINS4_4HalfEEEEEEEvRNS_18TensorIteratorBaseERKT_EUlibE0_EEviT1_.has_recursion, 0
	.set _ZN2at6native32elementwise_kernel_manual_unrollILi128ELi4EZNS0_15gpu_kernel_implINS0_11FillFunctorIN3c107complexINS4_4HalfEEEEEEEvRNS_18TensorIteratorBaseERKT_EUlibE0_EEviT1_.has_indirect_call, 0
	.section	.AMDGPU.csdata,"",@progbits
; Kernel info:
; codeLenInByte = 17344
; TotalNumSgprs: 98
; NumVgprs: 28
; ScratchSize: 0
; MemoryBound: 0
; FloatMode: 240
; IeeeMode: 1
; LDSByteSize: 0 bytes/workgroup (compile time only)
; SGPRBlocks: 12
; VGPRBlocks: 6
; NumSGPRsForWavesPerEU: 98
; NumVGPRsForWavesPerEU: 28
; Occupancy: 8
; WaveLimiterHint : 1
; COMPUTE_PGM_RSRC2:SCRATCH_EN: 0
; COMPUTE_PGM_RSRC2:USER_SGPR: 6
; COMPUTE_PGM_RSRC2:TRAP_HANDLER: 0
; COMPUTE_PGM_RSRC2:TGID_X_EN: 1
; COMPUTE_PGM_RSRC2:TGID_Y_EN: 0
; COMPUTE_PGM_RSRC2:TGID_Z_EN: 0
; COMPUTE_PGM_RSRC2:TIDIG_COMP_CNT: 0
	.section	.text._ZN2at6native29vectorized_elementwise_kernelILi16ENS0_11FillFunctorIN3c107complexINS3_8BFloat16EEEEESt5arrayIPcLm1EEEEviT0_T1_,"axG",@progbits,_ZN2at6native29vectorized_elementwise_kernelILi16ENS0_11FillFunctorIN3c107complexINS3_8BFloat16EEEEESt5arrayIPcLm1EEEEviT0_T1_,comdat
	.protected	_ZN2at6native29vectorized_elementwise_kernelILi16ENS0_11FillFunctorIN3c107complexINS3_8BFloat16EEEEESt5arrayIPcLm1EEEEviT0_T1_ ; -- Begin function _ZN2at6native29vectorized_elementwise_kernelILi16ENS0_11FillFunctorIN3c107complexINS3_8BFloat16EEEEESt5arrayIPcLm1EEEEviT0_T1_
	.globl	_ZN2at6native29vectorized_elementwise_kernelILi16ENS0_11FillFunctorIN3c107complexINS3_8BFloat16EEEEESt5arrayIPcLm1EEEEviT0_T1_
	.p2align	8
	.type	_ZN2at6native29vectorized_elementwise_kernelILi16ENS0_11FillFunctorIN3c107complexINS3_8BFloat16EEEEESt5arrayIPcLm1EEEEviT0_T1_,@function
_ZN2at6native29vectorized_elementwise_kernelILi16ENS0_11FillFunctorIN3c107complexINS3_8BFloat16EEEEESt5arrayIPcLm1EEEEviT0_T1_: ; @_ZN2at6native29vectorized_elementwise_kernelILi16ENS0_11FillFunctorIN3c107complexINS3_8BFloat16EEEEESt5arrayIPcLm1EEEEviT0_T1_
; %bb.0:
	s_load_dwordx4 s[0:3], s[4:5], 0x0
	s_lshl_b32 s4, s6, 10
	s_mov_b64 s[6:7], -1
	s_waitcnt lgkmcnt(0)
	s_sub_i32 s0, s0, s4
	s_cmpk_gt_i32 s0, 0x3ff
	s_cbranch_scc0 .LBB80_2
; %bb.1:
	s_ashr_i32 s5, s4, 31
	s_lshl_b64 s[6:7], s[4:5], 2
	s_add_u32 s6, s2, s6
	s_addc_u32 s7, s3, s7
	v_lshlrev_b32_e32 v5, 4, v0
	v_mov_b32_e32 v1, s1
	v_mov_b32_e32 v2, s1
	;; [unrolled: 1-line block ×4, first 2 shown]
	global_store_dwordx4 v5, v[1:4], s[6:7]
	s_mov_b64 s[6:7], 0
.LBB80_2:
	s_andn2_b64 vcc, exec, s[6:7]
	s_cbranch_vccnz .LBB80_8
; %bb.3:
	v_cmp_gt_i32_e32 vcc, s0, v0
	s_and_saveexec_b64 s[6:7], vcc
	s_cbranch_execnz .LBB80_9
; %bb.4:
	s_or_b64 exec, exec, s[6:7]
	v_cmp_gt_i32_e32 vcc, s0, v0
	s_and_saveexec_b64 s[6:7], vcc
	s_cbranch_execnz .LBB80_10
.LBB80_5:
	s_or_b64 exec, exec, s[6:7]
	v_cmp_gt_i32_e32 vcc, s0, v0
	s_and_saveexec_b64 s[6:7], vcc
	s_cbranch_execnz .LBB80_11
.LBB80_6:
	s_or_b64 exec, exec, s[6:7]
	v_cmp_gt_i32_e32 vcc, s0, v0
	s_and_saveexec_b64 s[6:7], vcc
	s_cbranch_execz .LBB80_8
.LBB80_7:
	v_add_u32_e32 v0, s4, v0
	v_mov_b32_e32 v1, 0
	v_lshlrev_b64 v[0:1], 2, v[0:1]
	v_mov_b32_e32 v2, s3
	v_add_co_u32_e32 v0, vcc, s2, v0
	v_addc_co_u32_e32 v1, vcc, v2, v1, vcc
	v_mov_b32_e32 v2, s1
	global_store_dword v[0:1], v2, off
.LBB80_8:
	s_endpgm
.LBB80_9:
	v_or_b32_e32 v2, 0x100, v0
	v_or_b32_e32 v0, s4, v0
	v_mov_b32_e32 v1, 0
	v_lshlrev_b64 v[0:1], 2, v[0:1]
	v_mov_b32_e32 v3, s3
	v_add_co_u32_e32 v0, vcc, s2, v0
	v_addc_co_u32_e32 v1, vcc, v3, v1, vcc
	v_mov_b32_e32 v3, s1
	global_store_dword v[0:1], v3, off
	v_mov_b32_e32 v0, v2
	s_or_b64 exec, exec, s[6:7]
	v_cmp_gt_i32_e32 vcc, s0, v0
	s_and_saveexec_b64 s[6:7], vcc
	s_cbranch_execz .LBB80_5
.LBB80_10:
	v_add_u32_e32 v1, s4, v0
	v_mov_b32_e32 v2, 0
	v_lshlrev_b64 v[1:2], 2, v[1:2]
	v_mov_b32_e32 v3, s3
	v_add_co_u32_e32 v1, vcc, s2, v1
	v_addc_co_u32_e32 v2, vcc, v3, v2, vcc
	v_add_u32_e32 v0, 0x100, v0
	v_mov_b32_e32 v3, s1
	global_store_dword v[1:2], v3, off
	s_or_b64 exec, exec, s[6:7]
	v_cmp_gt_i32_e32 vcc, s0, v0
	s_and_saveexec_b64 s[6:7], vcc
	s_cbranch_execz .LBB80_6
.LBB80_11:
	v_add_u32_e32 v1, s4, v0
	v_mov_b32_e32 v2, 0
	v_lshlrev_b64 v[1:2], 2, v[1:2]
	v_mov_b32_e32 v3, s3
	v_add_co_u32_e32 v1, vcc, s2, v1
	v_addc_co_u32_e32 v2, vcc, v3, v2, vcc
	v_add_u32_e32 v0, 0x100, v0
	v_mov_b32_e32 v3, s1
	global_store_dword v[1:2], v3, off
	s_or_b64 exec, exec, s[6:7]
	v_cmp_gt_i32_e32 vcc, s0, v0
	s_and_saveexec_b64 s[6:7], vcc
	s_cbranch_execnz .LBB80_7
	s_branch .LBB80_8
	.section	.rodata,"a",@progbits
	.p2align	6, 0x0
	.amdhsa_kernel _ZN2at6native29vectorized_elementwise_kernelILi16ENS0_11FillFunctorIN3c107complexINS3_8BFloat16EEEEESt5arrayIPcLm1EEEEviT0_T1_
		.amdhsa_group_segment_fixed_size 0
		.amdhsa_private_segment_fixed_size 0
		.amdhsa_kernarg_size 16
		.amdhsa_user_sgpr_count 6
		.amdhsa_user_sgpr_private_segment_buffer 1
		.amdhsa_user_sgpr_dispatch_ptr 0
		.amdhsa_user_sgpr_queue_ptr 0
		.amdhsa_user_sgpr_kernarg_segment_ptr 1
		.amdhsa_user_sgpr_dispatch_id 0
		.amdhsa_user_sgpr_flat_scratch_init 0
		.amdhsa_user_sgpr_private_segment_size 0
		.amdhsa_uses_dynamic_stack 0
		.amdhsa_system_sgpr_private_segment_wavefront_offset 0
		.amdhsa_system_sgpr_workgroup_id_x 1
		.amdhsa_system_sgpr_workgroup_id_y 0
		.amdhsa_system_sgpr_workgroup_id_z 0
		.amdhsa_system_sgpr_workgroup_info 0
		.amdhsa_system_vgpr_workitem_id 0
		.amdhsa_next_free_vgpr 6
		.amdhsa_next_free_sgpr 8
		.amdhsa_reserve_vcc 1
		.amdhsa_reserve_flat_scratch 0
		.amdhsa_float_round_mode_32 0
		.amdhsa_float_round_mode_16_64 0
		.amdhsa_float_denorm_mode_32 3
		.amdhsa_float_denorm_mode_16_64 3
		.amdhsa_dx10_clamp 1
		.amdhsa_ieee_mode 1
		.amdhsa_fp16_overflow 0
		.amdhsa_exception_fp_ieee_invalid_op 0
		.amdhsa_exception_fp_denorm_src 0
		.amdhsa_exception_fp_ieee_div_zero 0
		.amdhsa_exception_fp_ieee_overflow 0
		.amdhsa_exception_fp_ieee_underflow 0
		.amdhsa_exception_fp_ieee_inexact 0
		.amdhsa_exception_int_div_zero 0
	.end_amdhsa_kernel
	.section	.text._ZN2at6native29vectorized_elementwise_kernelILi16ENS0_11FillFunctorIN3c107complexINS3_8BFloat16EEEEESt5arrayIPcLm1EEEEviT0_T1_,"axG",@progbits,_ZN2at6native29vectorized_elementwise_kernelILi16ENS0_11FillFunctorIN3c107complexINS3_8BFloat16EEEEESt5arrayIPcLm1EEEEviT0_T1_,comdat
.Lfunc_end80:
	.size	_ZN2at6native29vectorized_elementwise_kernelILi16ENS0_11FillFunctorIN3c107complexINS3_8BFloat16EEEEESt5arrayIPcLm1EEEEviT0_T1_, .Lfunc_end80-_ZN2at6native29vectorized_elementwise_kernelILi16ENS0_11FillFunctorIN3c107complexINS3_8BFloat16EEEEESt5arrayIPcLm1EEEEviT0_T1_
                                        ; -- End function
	.set _ZN2at6native29vectorized_elementwise_kernelILi16ENS0_11FillFunctorIN3c107complexINS3_8BFloat16EEEEESt5arrayIPcLm1EEEEviT0_T1_.num_vgpr, 6
	.set _ZN2at6native29vectorized_elementwise_kernelILi16ENS0_11FillFunctorIN3c107complexINS3_8BFloat16EEEEESt5arrayIPcLm1EEEEviT0_T1_.num_agpr, 0
	.set _ZN2at6native29vectorized_elementwise_kernelILi16ENS0_11FillFunctorIN3c107complexINS3_8BFloat16EEEEESt5arrayIPcLm1EEEEviT0_T1_.numbered_sgpr, 8
	.set _ZN2at6native29vectorized_elementwise_kernelILi16ENS0_11FillFunctorIN3c107complexINS3_8BFloat16EEEEESt5arrayIPcLm1EEEEviT0_T1_.num_named_barrier, 0
	.set _ZN2at6native29vectorized_elementwise_kernelILi16ENS0_11FillFunctorIN3c107complexINS3_8BFloat16EEEEESt5arrayIPcLm1EEEEviT0_T1_.private_seg_size, 0
	.set _ZN2at6native29vectorized_elementwise_kernelILi16ENS0_11FillFunctorIN3c107complexINS3_8BFloat16EEEEESt5arrayIPcLm1EEEEviT0_T1_.uses_vcc, 1
	.set _ZN2at6native29vectorized_elementwise_kernelILi16ENS0_11FillFunctorIN3c107complexINS3_8BFloat16EEEEESt5arrayIPcLm1EEEEviT0_T1_.uses_flat_scratch, 0
	.set _ZN2at6native29vectorized_elementwise_kernelILi16ENS0_11FillFunctorIN3c107complexINS3_8BFloat16EEEEESt5arrayIPcLm1EEEEviT0_T1_.has_dyn_sized_stack, 0
	.set _ZN2at6native29vectorized_elementwise_kernelILi16ENS0_11FillFunctorIN3c107complexINS3_8BFloat16EEEEESt5arrayIPcLm1EEEEviT0_T1_.has_recursion, 0
	.set _ZN2at6native29vectorized_elementwise_kernelILi16ENS0_11FillFunctorIN3c107complexINS3_8BFloat16EEEEESt5arrayIPcLm1EEEEviT0_T1_.has_indirect_call, 0
	.section	.AMDGPU.csdata,"",@progbits
; Kernel info:
; codeLenInByte = 392
; TotalNumSgprs: 12
; NumVgprs: 6
; ScratchSize: 0
; MemoryBound: 0
; FloatMode: 240
; IeeeMode: 1
; LDSByteSize: 0 bytes/workgroup (compile time only)
; SGPRBlocks: 1
; VGPRBlocks: 1
; NumSGPRsForWavesPerEU: 12
; NumVGPRsForWavesPerEU: 6
; Occupancy: 10
; WaveLimiterHint : 0
; COMPUTE_PGM_RSRC2:SCRATCH_EN: 0
; COMPUTE_PGM_RSRC2:USER_SGPR: 6
; COMPUTE_PGM_RSRC2:TRAP_HANDLER: 0
; COMPUTE_PGM_RSRC2:TGID_X_EN: 1
; COMPUTE_PGM_RSRC2:TGID_Y_EN: 0
; COMPUTE_PGM_RSRC2:TGID_Z_EN: 0
; COMPUTE_PGM_RSRC2:TIDIG_COMP_CNT: 0
	.section	.text._ZN2at6native29vectorized_elementwise_kernelILi8ENS0_11FillFunctorIN3c107complexINS3_8BFloat16EEEEESt5arrayIPcLm1EEEEviT0_T1_,"axG",@progbits,_ZN2at6native29vectorized_elementwise_kernelILi8ENS0_11FillFunctorIN3c107complexINS3_8BFloat16EEEEESt5arrayIPcLm1EEEEviT0_T1_,comdat
	.protected	_ZN2at6native29vectorized_elementwise_kernelILi8ENS0_11FillFunctorIN3c107complexINS3_8BFloat16EEEEESt5arrayIPcLm1EEEEviT0_T1_ ; -- Begin function _ZN2at6native29vectorized_elementwise_kernelILi8ENS0_11FillFunctorIN3c107complexINS3_8BFloat16EEEEESt5arrayIPcLm1EEEEviT0_T1_
	.globl	_ZN2at6native29vectorized_elementwise_kernelILi8ENS0_11FillFunctorIN3c107complexINS3_8BFloat16EEEEESt5arrayIPcLm1EEEEviT0_T1_
	.p2align	8
	.type	_ZN2at6native29vectorized_elementwise_kernelILi8ENS0_11FillFunctorIN3c107complexINS3_8BFloat16EEEEESt5arrayIPcLm1EEEEviT0_T1_,@function
_ZN2at6native29vectorized_elementwise_kernelILi8ENS0_11FillFunctorIN3c107complexINS3_8BFloat16EEEEESt5arrayIPcLm1EEEEviT0_T1_: ; @_ZN2at6native29vectorized_elementwise_kernelILi8ENS0_11FillFunctorIN3c107complexINS3_8BFloat16EEEEESt5arrayIPcLm1EEEEviT0_T1_
; %bb.0:
	s_load_dwordx4 s[0:3], s[4:5], 0x0
	s_lshl_b32 s4, s6, 10
	s_mov_b64 s[6:7], -1
	s_waitcnt lgkmcnt(0)
	s_sub_i32 s0, s0, s4
	s_cmpk_gt_i32 s0, 0x3ff
	s_cbranch_scc0 .LBB81_2
; %bb.1:
	s_ashr_i32 s5, s4, 31
	s_lshl_b64 s[6:7], s[4:5], 2
	s_add_u32 s6, s2, s6
	s_addc_u32 s7, s3, s7
	v_lshlrev_b32_e32 v5, 4, v0
	v_mov_b32_e32 v1, s1
	v_mov_b32_e32 v2, s1
	v_mov_b32_e32 v3, s1
	v_mov_b32_e32 v4, s1
	global_store_dwordx4 v5, v[1:4], s[6:7]
	s_mov_b64 s[6:7], 0
.LBB81_2:
	s_andn2_b64 vcc, exec, s[6:7]
	s_cbranch_vccnz .LBB81_8
; %bb.3:
	v_cmp_gt_i32_e32 vcc, s0, v0
	s_and_saveexec_b64 s[6:7], vcc
	s_cbranch_execnz .LBB81_9
; %bb.4:
	s_or_b64 exec, exec, s[6:7]
	v_cmp_gt_i32_e32 vcc, s0, v0
	s_and_saveexec_b64 s[6:7], vcc
	s_cbranch_execnz .LBB81_10
.LBB81_5:
	s_or_b64 exec, exec, s[6:7]
	v_cmp_gt_i32_e32 vcc, s0, v0
	s_and_saveexec_b64 s[6:7], vcc
	s_cbranch_execnz .LBB81_11
.LBB81_6:
	s_or_b64 exec, exec, s[6:7]
	v_cmp_gt_i32_e32 vcc, s0, v0
	s_and_saveexec_b64 s[6:7], vcc
	s_cbranch_execz .LBB81_8
.LBB81_7:
	v_add_u32_e32 v0, s4, v0
	v_mov_b32_e32 v1, 0
	v_lshlrev_b64 v[0:1], 2, v[0:1]
	v_mov_b32_e32 v2, s3
	v_add_co_u32_e32 v0, vcc, s2, v0
	v_addc_co_u32_e32 v1, vcc, v2, v1, vcc
	v_mov_b32_e32 v2, s1
	global_store_dword v[0:1], v2, off
.LBB81_8:
	s_endpgm
.LBB81_9:
	v_or_b32_e32 v2, 0x100, v0
	v_or_b32_e32 v0, s4, v0
	v_mov_b32_e32 v1, 0
	v_lshlrev_b64 v[0:1], 2, v[0:1]
	v_mov_b32_e32 v3, s3
	v_add_co_u32_e32 v0, vcc, s2, v0
	v_addc_co_u32_e32 v1, vcc, v3, v1, vcc
	v_mov_b32_e32 v3, s1
	global_store_dword v[0:1], v3, off
	v_mov_b32_e32 v0, v2
	s_or_b64 exec, exec, s[6:7]
	v_cmp_gt_i32_e32 vcc, s0, v0
	s_and_saveexec_b64 s[6:7], vcc
	s_cbranch_execz .LBB81_5
.LBB81_10:
	v_add_u32_e32 v1, s4, v0
	v_mov_b32_e32 v2, 0
	v_lshlrev_b64 v[1:2], 2, v[1:2]
	v_mov_b32_e32 v3, s3
	v_add_co_u32_e32 v1, vcc, s2, v1
	v_addc_co_u32_e32 v2, vcc, v3, v2, vcc
	v_add_u32_e32 v0, 0x100, v0
	v_mov_b32_e32 v3, s1
	global_store_dword v[1:2], v3, off
	s_or_b64 exec, exec, s[6:7]
	v_cmp_gt_i32_e32 vcc, s0, v0
	s_and_saveexec_b64 s[6:7], vcc
	s_cbranch_execz .LBB81_6
.LBB81_11:
	v_add_u32_e32 v1, s4, v0
	v_mov_b32_e32 v2, 0
	v_lshlrev_b64 v[1:2], 2, v[1:2]
	v_mov_b32_e32 v3, s3
	v_add_co_u32_e32 v1, vcc, s2, v1
	v_addc_co_u32_e32 v2, vcc, v3, v2, vcc
	v_add_u32_e32 v0, 0x100, v0
	v_mov_b32_e32 v3, s1
	global_store_dword v[1:2], v3, off
	s_or_b64 exec, exec, s[6:7]
	v_cmp_gt_i32_e32 vcc, s0, v0
	s_and_saveexec_b64 s[6:7], vcc
	s_cbranch_execnz .LBB81_7
	s_branch .LBB81_8
	.section	.rodata,"a",@progbits
	.p2align	6, 0x0
	.amdhsa_kernel _ZN2at6native29vectorized_elementwise_kernelILi8ENS0_11FillFunctorIN3c107complexINS3_8BFloat16EEEEESt5arrayIPcLm1EEEEviT0_T1_
		.amdhsa_group_segment_fixed_size 0
		.amdhsa_private_segment_fixed_size 0
		.amdhsa_kernarg_size 16
		.amdhsa_user_sgpr_count 6
		.amdhsa_user_sgpr_private_segment_buffer 1
		.amdhsa_user_sgpr_dispatch_ptr 0
		.amdhsa_user_sgpr_queue_ptr 0
		.amdhsa_user_sgpr_kernarg_segment_ptr 1
		.amdhsa_user_sgpr_dispatch_id 0
		.amdhsa_user_sgpr_flat_scratch_init 0
		.amdhsa_user_sgpr_private_segment_size 0
		.amdhsa_uses_dynamic_stack 0
		.amdhsa_system_sgpr_private_segment_wavefront_offset 0
		.amdhsa_system_sgpr_workgroup_id_x 1
		.amdhsa_system_sgpr_workgroup_id_y 0
		.amdhsa_system_sgpr_workgroup_id_z 0
		.amdhsa_system_sgpr_workgroup_info 0
		.amdhsa_system_vgpr_workitem_id 0
		.amdhsa_next_free_vgpr 6
		.amdhsa_next_free_sgpr 8
		.amdhsa_reserve_vcc 1
		.amdhsa_reserve_flat_scratch 0
		.amdhsa_float_round_mode_32 0
		.amdhsa_float_round_mode_16_64 0
		.amdhsa_float_denorm_mode_32 3
		.amdhsa_float_denorm_mode_16_64 3
		.amdhsa_dx10_clamp 1
		.amdhsa_ieee_mode 1
		.amdhsa_fp16_overflow 0
		.amdhsa_exception_fp_ieee_invalid_op 0
		.amdhsa_exception_fp_denorm_src 0
		.amdhsa_exception_fp_ieee_div_zero 0
		.amdhsa_exception_fp_ieee_overflow 0
		.amdhsa_exception_fp_ieee_underflow 0
		.amdhsa_exception_fp_ieee_inexact 0
		.amdhsa_exception_int_div_zero 0
	.end_amdhsa_kernel
	.section	.text._ZN2at6native29vectorized_elementwise_kernelILi8ENS0_11FillFunctorIN3c107complexINS3_8BFloat16EEEEESt5arrayIPcLm1EEEEviT0_T1_,"axG",@progbits,_ZN2at6native29vectorized_elementwise_kernelILi8ENS0_11FillFunctorIN3c107complexINS3_8BFloat16EEEEESt5arrayIPcLm1EEEEviT0_T1_,comdat
.Lfunc_end81:
	.size	_ZN2at6native29vectorized_elementwise_kernelILi8ENS0_11FillFunctorIN3c107complexINS3_8BFloat16EEEEESt5arrayIPcLm1EEEEviT0_T1_, .Lfunc_end81-_ZN2at6native29vectorized_elementwise_kernelILi8ENS0_11FillFunctorIN3c107complexINS3_8BFloat16EEEEESt5arrayIPcLm1EEEEviT0_T1_
                                        ; -- End function
	.set _ZN2at6native29vectorized_elementwise_kernelILi8ENS0_11FillFunctorIN3c107complexINS3_8BFloat16EEEEESt5arrayIPcLm1EEEEviT0_T1_.num_vgpr, 6
	.set _ZN2at6native29vectorized_elementwise_kernelILi8ENS0_11FillFunctorIN3c107complexINS3_8BFloat16EEEEESt5arrayIPcLm1EEEEviT0_T1_.num_agpr, 0
	.set _ZN2at6native29vectorized_elementwise_kernelILi8ENS0_11FillFunctorIN3c107complexINS3_8BFloat16EEEEESt5arrayIPcLm1EEEEviT0_T1_.numbered_sgpr, 8
	.set _ZN2at6native29vectorized_elementwise_kernelILi8ENS0_11FillFunctorIN3c107complexINS3_8BFloat16EEEEESt5arrayIPcLm1EEEEviT0_T1_.num_named_barrier, 0
	.set _ZN2at6native29vectorized_elementwise_kernelILi8ENS0_11FillFunctorIN3c107complexINS3_8BFloat16EEEEESt5arrayIPcLm1EEEEviT0_T1_.private_seg_size, 0
	.set _ZN2at6native29vectorized_elementwise_kernelILi8ENS0_11FillFunctorIN3c107complexINS3_8BFloat16EEEEESt5arrayIPcLm1EEEEviT0_T1_.uses_vcc, 1
	.set _ZN2at6native29vectorized_elementwise_kernelILi8ENS0_11FillFunctorIN3c107complexINS3_8BFloat16EEEEESt5arrayIPcLm1EEEEviT0_T1_.uses_flat_scratch, 0
	.set _ZN2at6native29vectorized_elementwise_kernelILi8ENS0_11FillFunctorIN3c107complexINS3_8BFloat16EEEEESt5arrayIPcLm1EEEEviT0_T1_.has_dyn_sized_stack, 0
	.set _ZN2at6native29vectorized_elementwise_kernelILi8ENS0_11FillFunctorIN3c107complexINS3_8BFloat16EEEEESt5arrayIPcLm1EEEEviT0_T1_.has_recursion, 0
	.set _ZN2at6native29vectorized_elementwise_kernelILi8ENS0_11FillFunctorIN3c107complexINS3_8BFloat16EEEEESt5arrayIPcLm1EEEEviT0_T1_.has_indirect_call, 0
	.section	.AMDGPU.csdata,"",@progbits
; Kernel info:
; codeLenInByte = 392
; TotalNumSgprs: 12
; NumVgprs: 6
; ScratchSize: 0
; MemoryBound: 0
; FloatMode: 240
; IeeeMode: 1
; LDSByteSize: 0 bytes/workgroup (compile time only)
; SGPRBlocks: 1
; VGPRBlocks: 1
; NumSGPRsForWavesPerEU: 12
; NumVGPRsForWavesPerEU: 6
; Occupancy: 10
; WaveLimiterHint : 0
; COMPUTE_PGM_RSRC2:SCRATCH_EN: 0
; COMPUTE_PGM_RSRC2:USER_SGPR: 6
; COMPUTE_PGM_RSRC2:TRAP_HANDLER: 0
; COMPUTE_PGM_RSRC2:TGID_X_EN: 1
; COMPUTE_PGM_RSRC2:TGID_Y_EN: 0
; COMPUTE_PGM_RSRC2:TGID_Z_EN: 0
; COMPUTE_PGM_RSRC2:TIDIG_COMP_CNT: 0
	.section	.text._ZN2at6native29vectorized_elementwise_kernelILi4ENS0_11FillFunctorIN3c107complexINS3_8BFloat16EEEEESt5arrayIPcLm1EEEEviT0_T1_,"axG",@progbits,_ZN2at6native29vectorized_elementwise_kernelILi4ENS0_11FillFunctorIN3c107complexINS3_8BFloat16EEEEESt5arrayIPcLm1EEEEviT0_T1_,comdat
	.protected	_ZN2at6native29vectorized_elementwise_kernelILi4ENS0_11FillFunctorIN3c107complexINS3_8BFloat16EEEEESt5arrayIPcLm1EEEEviT0_T1_ ; -- Begin function _ZN2at6native29vectorized_elementwise_kernelILi4ENS0_11FillFunctorIN3c107complexINS3_8BFloat16EEEEESt5arrayIPcLm1EEEEviT0_T1_
	.globl	_ZN2at6native29vectorized_elementwise_kernelILi4ENS0_11FillFunctorIN3c107complexINS3_8BFloat16EEEEESt5arrayIPcLm1EEEEviT0_T1_
	.p2align	8
	.type	_ZN2at6native29vectorized_elementwise_kernelILi4ENS0_11FillFunctorIN3c107complexINS3_8BFloat16EEEEESt5arrayIPcLm1EEEEviT0_T1_,@function
_ZN2at6native29vectorized_elementwise_kernelILi4ENS0_11FillFunctorIN3c107complexINS3_8BFloat16EEEEESt5arrayIPcLm1EEEEviT0_T1_: ; @_ZN2at6native29vectorized_elementwise_kernelILi4ENS0_11FillFunctorIN3c107complexINS3_8BFloat16EEEEESt5arrayIPcLm1EEEEviT0_T1_
; %bb.0:
	s_load_dwordx4 s[0:3], s[4:5], 0x0
	s_lshl_b32 s4, s6, 10
	s_mov_b64 s[6:7], -1
	s_waitcnt lgkmcnt(0)
	s_sub_i32 s0, s0, s4
	s_cmpk_gt_i32 s0, 0x3ff
	s_cbranch_scc0 .LBB82_2
; %bb.1:
	s_ashr_i32 s5, s4, 31
	s_lshl_b64 s[6:7], s[4:5], 2
	s_add_u32 s6, s2, s6
	s_addc_u32 s7, s3, s7
	v_lshlrev_b32_e32 v5, 4, v0
	v_mov_b32_e32 v1, s1
	v_mov_b32_e32 v2, s1
	;; [unrolled: 1-line block ×4, first 2 shown]
	global_store_dwordx4 v5, v[1:4], s[6:7]
	s_mov_b64 s[6:7], 0
.LBB82_2:
	s_andn2_b64 vcc, exec, s[6:7]
	s_cbranch_vccnz .LBB82_8
; %bb.3:
	v_cmp_gt_i32_e32 vcc, s0, v0
	s_and_saveexec_b64 s[6:7], vcc
	s_cbranch_execnz .LBB82_9
; %bb.4:
	s_or_b64 exec, exec, s[6:7]
	v_cmp_gt_i32_e32 vcc, s0, v0
	s_and_saveexec_b64 s[6:7], vcc
	s_cbranch_execnz .LBB82_10
.LBB82_5:
	s_or_b64 exec, exec, s[6:7]
	v_cmp_gt_i32_e32 vcc, s0, v0
	s_and_saveexec_b64 s[6:7], vcc
	s_cbranch_execnz .LBB82_11
.LBB82_6:
	s_or_b64 exec, exec, s[6:7]
	v_cmp_gt_i32_e32 vcc, s0, v0
	s_and_saveexec_b64 s[6:7], vcc
	s_cbranch_execz .LBB82_8
.LBB82_7:
	v_add_u32_e32 v0, s4, v0
	v_mov_b32_e32 v1, 0
	v_lshlrev_b64 v[0:1], 2, v[0:1]
	v_mov_b32_e32 v2, s3
	v_add_co_u32_e32 v0, vcc, s2, v0
	v_addc_co_u32_e32 v1, vcc, v2, v1, vcc
	v_mov_b32_e32 v2, s1
	global_store_dword v[0:1], v2, off
.LBB82_8:
	s_endpgm
.LBB82_9:
	v_or_b32_e32 v2, 0x100, v0
	v_or_b32_e32 v0, s4, v0
	v_mov_b32_e32 v1, 0
	v_lshlrev_b64 v[0:1], 2, v[0:1]
	v_mov_b32_e32 v3, s3
	v_add_co_u32_e32 v0, vcc, s2, v0
	v_addc_co_u32_e32 v1, vcc, v3, v1, vcc
	v_mov_b32_e32 v3, s1
	global_store_dword v[0:1], v3, off
	v_mov_b32_e32 v0, v2
	s_or_b64 exec, exec, s[6:7]
	v_cmp_gt_i32_e32 vcc, s0, v0
	s_and_saveexec_b64 s[6:7], vcc
	s_cbranch_execz .LBB82_5
.LBB82_10:
	v_add_u32_e32 v1, s4, v0
	v_mov_b32_e32 v2, 0
	v_lshlrev_b64 v[1:2], 2, v[1:2]
	v_mov_b32_e32 v3, s3
	v_add_co_u32_e32 v1, vcc, s2, v1
	v_addc_co_u32_e32 v2, vcc, v3, v2, vcc
	v_add_u32_e32 v0, 0x100, v0
	v_mov_b32_e32 v3, s1
	global_store_dword v[1:2], v3, off
	s_or_b64 exec, exec, s[6:7]
	v_cmp_gt_i32_e32 vcc, s0, v0
	s_and_saveexec_b64 s[6:7], vcc
	s_cbranch_execz .LBB82_6
.LBB82_11:
	v_add_u32_e32 v1, s4, v0
	v_mov_b32_e32 v2, 0
	v_lshlrev_b64 v[1:2], 2, v[1:2]
	v_mov_b32_e32 v3, s3
	v_add_co_u32_e32 v1, vcc, s2, v1
	v_addc_co_u32_e32 v2, vcc, v3, v2, vcc
	v_add_u32_e32 v0, 0x100, v0
	v_mov_b32_e32 v3, s1
	global_store_dword v[1:2], v3, off
	s_or_b64 exec, exec, s[6:7]
	v_cmp_gt_i32_e32 vcc, s0, v0
	s_and_saveexec_b64 s[6:7], vcc
	s_cbranch_execnz .LBB82_7
	s_branch .LBB82_8
	.section	.rodata,"a",@progbits
	.p2align	6, 0x0
	.amdhsa_kernel _ZN2at6native29vectorized_elementwise_kernelILi4ENS0_11FillFunctorIN3c107complexINS3_8BFloat16EEEEESt5arrayIPcLm1EEEEviT0_T1_
		.amdhsa_group_segment_fixed_size 0
		.amdhsa_private_segment_fixed_size 0
		.amdhsa_kernarg_size 16
		.amdhsa_user_sgpr_count 6
		.amdhsa_user_sgpr_private_segment_buffer 1
		.amdhsa_user_sgpr_dispatch_ptr 0
		.amdhsa_user_sgpr_queue_ptr 0
		.amdhsa_user_sgpr_kernarg_segment_ptr 1
		.amdhsa_user_sgpr_dispatch_id 0
		.amdhsa_user_sgpr_flat_scratch_init 0
		.amdhsa_user_sgpr_private_segment_size 0
		.amdhsa_uses_dynamic_stack 0
		.amdhsa_system_sgpr_private_segment_wavefront_offset 0
		.amdhsa_system_sgpr_workgroup_id_x 1
		.amdhsa_system_sgpr_workgroup_id_y 0
		.amdhsa_system_sgpr_workgroup_id_z 0
		.amdhsa_system_sgpr_workgroup_info 0
		.amdhsa_system_vgpr_workitem_id 0
		.amdhsa_next_free_vgpr 6
		.amdhsa_next_free_sgpr 8
		.amdhsa_reserve_vcc 1
		.amdhsa_reserve_flat_scratch 0
		.amdhsa_float_round_mode_32 0
		.amdhsa_float_round_mode_16_64 0
		.amdhsa_float_denorm_mode_32 3
		.amdhsa_float_denorm_mode_16_64 3
		.amdhsa_dx10_clamp 1
		.amdhsa_ieee_mode 1
		.amdhsa_fp16_overflow 0
		.amdhsa_exception_fp_ieee_invalid_op 0
		.amdhsa_exception_fp_denorm_src 0
		.amdhsa_exception_fp_ieee_div_zero 0
		.amdhsa_exception_fp_ieee_overflow 0
		.amdhsa_exception_fp_ieee_underflow 0
		.amdhsa_exception_fp_ieee_inexact 0
		.amdhsa_exception_int_div_zero 0
	.end_amdhsa_kernel
	.section	.text._ZN2at6native29vectorized_elementwise_kernelILi4ENS0_11FillFunctorIN3c107complexINS3_8BFloat16EEEEESt5arrayIPcLm1EEEEviT0_T1_,"axG",@progbits,_ZN2at6native29vectorized_elementwise_kernelILi4ENS0_11FillFunctorIN3c107complexINS3_8BFloat16EEEEESt5arrayIPcLm1EEEEviT0_T1_,comdat
.Lfunc_end82:
	.size	_ZN2at6native29vectorized_elementwise_kernelILi4ENS0_11FillFunctorIN3c107complexINS3_8BFloat16EEEEESt5arrayIPcLm1EEEEviT0_T1_, .Lfunc_end82-_ZN2at6native29vectorized_elementwise_kernelILi4ENS0_11FillFunctorIN3c107complexINS3_8BFloat16EEEEESt5arrayIPcLm1EEEEviT0_T1_
                                        ; -- End function
	.set _ZN2at6native29vectorized_elementwise_kernelILi4ENS0_11FillFunctorIN3c107complexINS3_8BFloat16EEEEESt5arrayIPcLm1EEEEviT0_T1_.num_vgpr, 6
	.set _ZN2at6native29vectorized_elementwise_kernelILi4ENS0_11FillFunctorIN3c107complexINS3_8BFloat16EEEEESt5arrayIPcLm1EEEEviT0_T1_.num_agpr, 0
	.set _ZN2at6native29vectorized_elementwise_kernelILi4ENS0_11FillFunctorIN3c107complexINS3_8BFloat16EEEEESt5arrayIPcLm1EEEEviT0_T1_.numbered_sgpr, 8
	.set _ZN2at6native29vectorized_elementwise_kernelILi4ENS0_11FillFunctorIN3c107complexINS3_8BFloat16EEEEESt5arrayIPcLm1EEEEviT0_T1_.num_named_barrier, 0
	.set _ZN2at6native29vectorized_elementwise_kernelILi4ENS0_11FillFunctorIN3c107complexINS3_8BFloat16EEEEESt5arrayIPcLm1EEEEviT0_T1_.private_seg_size, 0
	.set _ZN2at6native29vectorized_elementwise_kernelILi4ENS0_11FillFunctorIN3c107complexINS3_8BFloat16EEEEESt5arrayIPcLm1EEEEviT0_T1_.uses_vcc, 1
	.set _ZN2at6native29vectorized_elementwise_kernelILi4ENS0_11FillFunctorIN3c107complexINS3_8BFloat16EEEEESt5arrayIPcLm1EEEEviT0_T1_.uses_flat_scratch, 0
	.set _ZN2at6native29vectorized_elementwise_kernelILi4ENS0_11FillFunctorIN3c107complexINS3_8BFloat16EEEEESt5arrayIPcLm1EEEEviT0_T1_.has_dyn_sized_stack, 0
	.set _ZN2at6native29vectorized_elementwise_kernelILi4ENS0_11FillFunctorIN3c107complexINS3_8BFloat16EEEEESt5arrayIPcLm1EEEEviT0_T1_.has_recursion, 0
	.set _ZN2at6native29vectorized_elementwise_kernelILi4ENS0_11FillFunctorIN3c107complexINS3_8BFloat16EEEEESt5arrayIPcLm1EEEEviT0_T1_.has_indirect_call, 0
	.section	.AMDGPU.csdata,"",@progbits
; Kernel info:
; codeLenInByte = 392
; TotalNumSgprs: 12
; NumVgprs: 6
; ScratchSize: 0
; MemoryBound: 0
; FloatMode: 240
; IeeeMode: 1
; LDSByteSize: 0 bytes/workgroup (compile time only)
; SGPRBlocks: 1
; VGPRBlocks: 1
; NumSGPRsForWavesPerEU: 12
; NumVGPRsForWavesPerEU: 6
; Occupancy: 10
; WaveLimiterHint : 0
; COMPUTE_PGM_RSRC2:SCRATCH_EN: 0
; COMPUTE_PGM_RSRC2:USER_SGPR: 6
; COMPUTE_PGM_RSRC2:TRAP_HANDLER: 0
; COMPUTE_PGM_RSRC2:TGID_X_EN: 1
; COMPUTE_PGM_RSRC2:TGID_Y_EN: 0
; COMPUTE_PGM_RSRC2:TGID_Z_EN: 0
; COMPUTE_PGM_RSRC2:TIDIG_COMP_CNT: 0
	.section	.text._ZN2at6native29vectorized_elementwise_kernelILi2ENS0_11FillFunctorIN3c107complexINS3_8BFloat16EEEEESt5arrayIPcLm1EEEEviT0_T1_,"axG",@progbits,_ZN2at6native29vectorized_elementwise_kernelILi2ENS0_11FillFunctorIN3c107complexINS3_8BFloat16EEEEESt5arrayIPcLm1EEEEviT0_T1_,comdat
	.protected	_ZN2at6native29vectorized_elementwise_kernelILi2ENS0_11FillFunctorIN3c107complexINS3_8BFloat16EEEEESt5arrayIPcLm1EEEEviT0_T1_ ; -- Begin function _ZN2at6native29vectorized_elementwise_kernelILi2ENS0_11FillFunctorIN3c107complexINS3_8BFloat16EEEEESt5arrayIPcLm1EEEEviT0_T1_
	.globl	_ZN2at6native29vectorized_elementwise_kernelILi2ENS0_11FillFunctorIN3c107complexINS3_8BFloat16EEEEESt5arrayIPcLm1EEEEviT0_T1_
	.p2align	8
	.type	_ZN2at6native29vectorized_elementwise_kernelILi2ENS0_11FillFunctorIN3c107complexINS3_8BFloat16EEEEESt5arrayIPcLm1EEEEviT0_T1_,@function
_ZN2at6native29vectorized_elementwise_kernelILi2ENS0_11FillFunctorIN3c107complexINS3_8BFloat16EEEEESt5arrayIPcLm1EEEEviT0_T1_: ; @_ZN2at6native29vectorized_elementwise_kernelILi2ENS0_11FillFunctorIN3c107complexINS3_8BFloat16EEEEESt5arrayIPcLm1EEEEviT0_T1_
; %bb.0:
	s_load_dwordx4 s[0:3], s[4:5], 0x0
	s_lshl_b32 s4, s6, 10
	s_mov_b64 s[6:7], -1
	s_waitcnt lgkmcnt(0)
	s_sub_i32 s8, s0, s4
	s_cmpk_gt_i32 s8, 0x3ff
	s_cbranch_scc0 .LBB83_2
; %bb.1:
	s_ashr_i32 s5, s4, 31
	s_lshl_b64 s[6:7], s[4:5], 2
	s_mov_b32 s0, s1
	s_add_u32 s6, s2, s6
	v_mov_b32_e32 v2, s1
	s_addc_u32 s7, s3, s7
	v_lshlrev_b32_e32 v3, 3, v0
	v_mov_b32_e32 v1, s0
	global_store_dwordx2 v3, v[1:2], s[6:7]
	global_store_dwordx2 v3, v[1:2], s[6:7] offset:2048
	s_mov_b64 s[6:7], 0
.LBB83_2:
	s_andn2_b64 vcc, exec, s[6:7]
	s_cbranch_vccnz .LBB83_8
; %bb.3:
	v_cmp_gt_i32_e32 vcc, s8, v0
	s_and_saveexec_b64 s[6:7], vcc
	s_cbranch_execnz .LBB83_9
; %bb.4:
	s_or_b64 exec, exec, s[6:7]
	v_cmp_gt_i32_e32 vcc, s8, v0
	s_and_saveexec_b64 s[6:7], vcc
	s_cbranch_execnz .LBB83_10
.LBB83_5:
	s_or_b64 exec, exec, s[6:7]
	v_cmp_gt_i32_e32 vcc, s8, v0
	s_and_saveexec_b64 s[6:7], vcc
	s_cbranch_execnz .LBB83_11
.LBB83_6:
	s_or_b64 exec, exec, s[6:7]
	v_cmp_gt_i32_e32 vcc, s8, v0
	s_and_saveexec_b64 s[6:7], vcc
	s_cbranch_execz .LBB83_8
.LBB83_7:
	v_add_u32_e32 v0, s4, v0
	v_mov_b32_e32 v1, 0
	v_lshlrev_b64 v[0:1], 2, v[0:1]
	v_mov_b32_e32 v2, s3
	v_add_co_u32_e32 v0, vcc, s2, v0
	v_addc_co_u32_e32 v1, vcc, v2, v1, vcc
	v_mov_b32_e32 v2, s1
	global_store_dword v[0:1], v2, off
.LBB83_8:
	s_endpgm
.LBB83_9:
	v_or_b32_e32 v2, 0x100, v0
	v_or_b32_e32 v0, s4, v0
	v_mov_b32_e32 v1, 0
	v_lshlrev_b64 v[0:1], 2, v[0:1]
	v_mov_b32_e32 v3, s3
	v_add_co_u32_e32 v0, vcc, s2, v0
	v_addc_co_u32_e32 v1, vcc, v3, v1, vcc
	v_mov_b32_e32 v3, s1
	global_store_dword v[0:1], v3, off
	v_mov_b32_e32 v0, v2
	s_or_b64 exec, exec, s[6:7]
	v_cmp_gt_i32_e32 vcc, s8, v0
	s_and_saveexec_b64 s[6:7], vcc
	s_cbranch_execz .LBB83_5
.LBB83_10:
	v_add_u32_e32 v1, s4, v0
	v_mov_b32_e32 v2, 0
	v_lshlrev_b64 v[1:2], 2, v[1:2]
	v_mov_b32_e32 v3, s3
	v_add_co_u32_e32 v1, vcc, s2, v1
	v_addc_co_u32_e32 v2, vcc, v3, v2, vcc
	v_add_u32_e32 v0, 0x100, v0
	v_mov_b32_e32 v3, s1
	global_store_dword v[1:2], v3, off
	s_or_b64 exec, exec, s[6:7]
	v_cmp_gt_i32_e32 vcc, s8, v0
	s_and_saveexec_b64 s[6:7], vcc
	s_cbranch_execz .LBB83_6
.LBB83_11:
	v_add_u32_e32 v1, s4, v0
	v_mov_b32_e32 v2, 0
	v_lshlrev_b64 v[1:2], 2, v[1:2]
	v_mov_b32_e32 v3, s3
	v_add_co_u32_e32 v1, vcc, s2, v1
	v_addc_co_u32_e32 v2, vcc, v3, v2, vcc
	v_add_u32_e32 v0, 0x100, v0
	v_mov_b32_e32 v3, s1
	global_store_dword v[1:2], v3, off
	s_or_b64 exec, exec, s[6:7]
	v_cmp_gt_i32_e32 vcc, s8, v0
	s_and_saveexec_b64 s[6:7], vcc
	s_cbranch_execnz .LBB83_7
	s_branch .LBB83_8
	.section	.rodata,"a",@progbits
	.p2align	6, 0x0
	.amdhsa_kernel _ZN2at6native29vectorized_elementwise_kernelILi2ENS0_11FillFunctorIN3c107complexINS3_8BFloat16EEEEESt5arrayIPcLm1EEEEviT0_T1_
		.amdhsa_group_segment_fixed_size 0
		.amdhsa_private_segment_fixed_size 0
		.amdhsa_kernarg_size 16
		.amdhsa_user_sgpr_count 6
		.amdhsa_user_sgpr_private_segment_buffer 1
		.amdhsa_user_sgpr_dispatch_ptr 0
		.amdhsa_user_sgpr_queue_ptr 0
		.amdhsa_user_sgpr_kernarg_segment_ptr 1
		.amdhsa_user_sgpr_dispatch_id 0
		.amdhsa_user_sgpr_flat_scratch_init 0
		.amdhsa_user_sgpr_private_segment_size 0
		.amdhsa_uses_dynamic_stack 0
		.amdhsa_system_sgpr_private_segment_wavefront_offset 0
		.amdhsa_system_sgpr_workgroup_id_x 1
		.amdhsa_system_sgpr_workgroup_id_y 0
		.amdhsa_system_sgpr_workgroup_id_z 0
		.amdhsa_system_sgpr_workgroup_info 0
		.amdhsa_system_vgpr_workitem_id 0
		.amdhsa_next_free_vgpr 4
		.amdhsa_next_free_sgpr 9
		.amdhsa_reserve_vcc 1
		.amdhsa_reserve_flat_scratch 0
		.amdhsa_float_round_mode_32 0
		.amdhsa_float_round_mode_16_64 0
		.amdhsa_float_denorm_mode_32 3
		.amdhsa_float_denorm_mode_16_64 3
		.amdhsa_dx10_clamp 1
		.amdhsa_ieee_mode 1
		.amdhsa_fp16_overflow 0
		.amdhsa_exception_fp_ieee_invalid_op 0
		.amdhsa_exception_fp_denorm_src 0
		.amdhsa_exception_fp_ieee_div_zero 0
		.amdhsa_exception_fp_ieee_overflow 0
		.amdhsa_exception_fp_ieee_underflow 0
		.amdhsa_exception_fp_ieee_inexact 0
		.amdhsa_exception_int_div_zero 0
	.end_amdhsa_kernel
	.section	.text._ZN2at6native29vectorized_elementwise_kernelILi2ENS0_11FillFunctorIN3c107complexINS3_8BFloat16EEEEESt5arrayIPcLm1EEEEviT0_T1_,"axG",@progbits,_ZN2at6native29vectorized_elementwise_kernelILi2ENS0_11FillFunctorIN3c107complexINS3_8BFloat16EEEEESt5arrayIPcLm1EEEEviT0_T1_,comdat
.Lfunc_end83:
	.size	_ZN2at6native29vectorized_elementwise_kernelILi2ENS0_11FillFunctorIN3c107complexINS3_8BFloat16EEEEESt5arrayIPcLm1EEEEviT0_T1_, .Lfunc_end83-_ZN2at6native29vectorized_elementwise_kernelILi2ENS0_11FillFunctorIN3c107complexINS3_8BFloat16EEEEESt5arrayIPcLm1EEEEviT0_T1_
                                        ; -- End function
	.set _ZN2at6native29vectorized_elementwise_kernelILi2ENS0_11FillFunctorIN3c107complexINS3_8BFloat16EEEEESt5arrayIPcLm1EEEEviT0_T1_.num_vgpr, 4
	.set _ZN2at6native29vectorized_elementwise_kernelILi2ENS0_11FillFunctorIN3c107complexINS3_8BFloat16EEEEESt5arrayIPcLm1EEEEviT0_T1_.num_agpr, 0
	.set _ZN2at6native29vectorized_elementwise_kernelILi2ENS0_11FillFunctorIN3c107complexINS3_8BFloat16EEEEESt5arrayIPcLm1EEEEviT0_T1_.numbered_sgpr, 9
	.set _ZN2at6native29vectorized_elementwise_kernelILi2ENS0_11FillFunctorIN3c107complexINS3_8BFloat16EEEEESt5arrayIPcLm1EEEEviT0_T1_.num_named_barrier, 0
	.set _ZN2at6native29vectorized_elementwise_kernelILi2ENS0_11FillFunctorIN3c107complexINS3_8BFloat16EEEEESt5arrayIPcLm1EEEEviT0_T1_.private_seg_size, 0
	.set _ZN2at6native29vectorized_elementwise_kernelILi2ENS0_11FillFunctorIN3c107complexINS3_8BFloat16EEEEESt5arrayIPcLm1EEEEviT0_T1_.uses_vcc, 1
	.set _ZN2at6native29vectorized_elementwise_kernelILi2ENS0_11FillFunctorIN3c107complexINS3_8BFloat16EEEEESt5arrayIPcLm1EEEEviT0_T1_.uses_flat_scratch, 0
	.set _ZN2at6native29vectorized_elementwise_kernelILi2ENS0_11FillFunctorIN3c107complexINS3_8BFloat16EEEEESt5arrayIPcLm1EEEEviT0_T1_.has_dyn_sized_stack, 0
	.set _ZN2at6native29vectorized_elementwise_kernelILi2ENS0_11FillFunctorIN3c107complexINS3_8BFloat16EEEEESt5arrayIPcLm1EEEEviT0_T1_.has_recursion, 0
	.set _ZN2at6native29vectorized_elementwise_kernelILi2ENS0_11FillFunctorIN3c107complexINS3_8BFloat16EEEEESt5arrayIPcLm1EEEEviT0_T1_.has_indirect_call, 0
	.section	.AMDGPU.csdata,"",@progbits
; Kernel info:
; codeLenInByte = 396
; TotalNumSgprs: 13
; NumVgprs: 4
; ScratchSize: 0
; MemoryBound: 0
; FloatMode: 240
; IeeeMode: 1
; LDSByteSize: 0 bytes/workgroup (compile time only)
; SGPRBlocks: 1
; VGPRBlocks: 0
; NumSGPRsForWavesPerEU: 13
; NumVGPRsForWavesPerEU: 4
; Occupancy: 10
; WaveLimiterHint : 1
; COMPUTE_PGM_RSRC2:SCRATCH_EN: 0
; COMPUTE_PGM_RSRC2:USER_SGPR: 6
; COMPUTE_PGM_RSRC2:TRAP_HANDLER: 0
; COMPUTE_PGM_RSRC2:TGID_X_EN: 1
; COMPUTE_PGM_RSRC2:TGID_Y_EN: 0
; COMPUTE_PGM_RSRC2:TGID_Z_EN: 0
; COMPUTE_PGM_RSRC2:TIDIG_COMP_CNT: 0
	.section	.text._ZN2at6native27unrolled_elementwise_kernelINS0_11FillFunctorIN3c107complexINS3_8BFloat16EEEEESt5arrayIPcLm1EELi4E23TrivialOffsetCalculatorILi0EjESB_ILi1EjENS0_6memory15LoadWithoutCastENSE_16StoreWithoutCastEEEviT_T0_T2_T3_T4_T5_,"axG",@progbits,_ZN2at6native27unrolled_elementwise_kernelINS0_11FillFunctorIN3c107complexINS3_8BFloat16EEEEESt5arrayIPcLm1EELi4E23TrivialOffsetCalculatorILi0EjESB_ILi1EjENS0_6memory15LoadWithoutCastENSE_16StoreWithoutCastEEEviT_T0_T2_T3_T4_T5_,comdat
	.protected	_ZN2at6native27unrolled_elementwise_kernelINS0_11FillFunctorIN3c107complexINS3_8BFloat16EEEEESt5arrayIPcLm1EELi4E23TrivialOffsetCalculatorILi0EjESB_ILi1EjENS0_6memory15LoadWithoutCastENSE_16StoreWithoutCastEEEviT_T0_T2_T3_T4_T5_ ; -- Begin function _ZN2at6native27unrolled_elementwise_kernelINS0_11FillFunctorIN3c107complexINS3_8BFloat16EEEEESt5arrayIPcLm1EELi4E23TrivialOffsetCalculatorILi0EjESB_ILi1EjENS0_6memory15LoadWithoutCastENSE_16StoreWithoutCastEEEviT_T0_T2_T3_T4_T5_
	.globl	_ZN2at6native27unrolled_elementwise_kernelINS0_11FillFunctorIN3c107complexINS3_8BFloat16EEEEESt5arrayIPcLm1EELi4E23TrivialOffsetCalculatorILi0EjESB_ILi1EjENS0_6memory15LoadWithoutCastENSE_16StoreWithoutCastEEEviT_T0_T2_T3_T4_T5_
	.p2align	8
	.type	_ZN2at6native27unrolled_elementwise_kernelINS0_11FillFunctorIN3c107complexINS3_8BFloat16EEEEESt5arrayIPcLm1EELi4E23TrivialOffsetCalculatorILi0EjESB_ILi1EjENS0_6memory15LoadWithoutCastENSE_16StoreWithoutCastEEEviT_T0_T2_T3_T4_T5_,@function
_ZN2at6native27unrolled_elementwise_kernelINS0_11FillFunctorIN3c107complexINS3_8BFloat16EEEEESt5arrayIPcLm1EELi4E23TrivialOffsetCalculatorILi0EjESB_ILi1EjENS0_6memory15LoadWithoutCastENSE_16StoreWithoutCastEEEviT_T0_T2_T3_T4_T5_: ; @_ZN2at6native27unrolled_elementwise_kernelINS0_11FillFunctorIN3c107complexINS3_8BFloat16EEEEESt5arrayIPcLm1EELi4E23TrivialOffsetCalculatorILi0EjESB_ILi1EjENS0_6memory15LoadWithoutCastENSE_16StoreWithoutCastEEEviT_T0_T2_T3_T4_T5_
; %bb.0:
	s_load_dwordx4 s[0:3], s[4:5], 0x0
	s_lshl_b32 s6, s6, 10
	s_waitcnt lgkmcnt(0)
	s_sub_i32 s0, s0, s6
	v_cmp_gt_i32_e32 vcc, s0, v0
	s_and_saveexec_b64 s[4:5], vcc
	s_cbranch_execnz .LBB84_5
; %bb.1:
	s_or_b64 exec, exec, s[4:5]
	v_cmp_gt_i32_e32 vcc, s0, v0
	s_and_saveexec_b64 s[4:5], vcc
	s_cbranch_execnz .LBB84_6
.LBB84_2:
	s_or_b64 exec, exec, s[4:5]
	v_cmp_gt_i32_e32 vcc, s0, v0
	s_and_saveexec_b64 s[4:5], vcc
	s_cbranch_execnz .LBB84_7
.LBB84_3:
	s_or_b64 exec, exec, s[4:5]
	v_cmp_gt_i32_e32 vcc, s0, v0
	s_and_saveexec_b64 s[4:5], vcc
	s_cbranch_execnz .LBB84_8
.LBB84_4:
	s_endpgm
.LBB84_5:
	v_or_b32_e32 v1, s6, v0
	v_mov_b32_e32 v2, 0
	v_lshlrev_b64 v[1:2], 2, v[1:2]
	v_mov_b32_e32 v3, s3
	v_add_co_u32_e32 v1, vcc, s2, v1
	v_addc_co_u32_e32 v2, vcc, v3, v2, vcc
	v_or_b32_e32 v0, 0x100, v0
	v_mov_b32_e32 v3, s1
	global_store_dword v[1:2], v3, off
	s_or_b64 exec, exec, s[4:5]
	v_cmp_gt_i32_e32 vcc, s0, v0
	s_and_saveexec_b64 s[4:5], vcc
	s_cbranch_execz .LBB84_2
.LBB84_6:
	v_add_u32_e32 v2, 0x100, v0
	v_add_u32_e32 v0, s6, v0
	v_mov_b32_e32 v1, 0
	v_lshlrev_b64 v[0:1], 2, v[0:1]
	v_mov_b32_e32 v3, s3
	v_add_co_u32_e32 v0, vcc, s2, v0
	v_addc_co_u32_e32 v1, vcc, v3, v1, vcc
	v_mov_b32_e32 v3, s1
	global_store_dword v[0:1], v3, off
	v_mov_b32_e32 v0, v2
	s_or_b64 exec, exec, s[4:5]
	v_cmp_gt_i32_e32 vcc, s0, v0
	s_and_saveexec_b64 s[4:5], vcc
	s_cbranch_execz .LBB84_3
.LBB84_7:
	v_add_u32_e32 v2, 0x100, v0
	v_add_u32_e32 v0, s6, v0
	v_mov_b32_e32 v1, 0
	v_lshlrev_b64 v[0:1], 2, v[0:1]
	v_mov_b32_e32 v3, s3
	v_add_co_u32_e32 v0, vcc, s2, v0
	v_addc_co_u32_e32 v1, vcc, v3, v1, vcc
	v_mov_b32_e32 v3, s1
	global_store_dword v[0:1], v3, off
	v_mov_b32_e32 v0, v2
	s_or_b64 exec, exec, s[4:5]
	v_cmp_gt_i32_e32 vcc, s0, v0
	s_and_saveexec_b64 s[4:5], vcc
	s_cbranch_execz .LBB84_4
.LBB84_8:
	v_add_u32_e32 v0, s6, v0
	v_mov_b32_e32 v1, 0
	v_lshlrev_b64 v[0:1], 2, v[0:1]
	v_mov_b32_e32 v2, s3
	v_add_co_u32_e32 v0, vcc, s2, v0
	v_addc_co_u32_e32 v1, vcc, v2, v1, vcc
	v_mov_b32_e32 v2, s1
	global_store_dword v[0:1], v2, off
	s_endpgm
	.section	.rodata,"a",@progbits
	.p2align	6, 0x0
	.amdhsa_kernel _ZN2at6native27unrolled_elementwise_kernelINS0_11FillFunctorIN3c107complexINS3_8BFloat16EEEEESt5arrayIPcLm1EELi4E23TrivialOffsetCalculatorILi0EjESB_ILi1EjENS0_6memory15LoadWithoutCastENSE_16StoreWithoutCastEEEviT_T0_T2_T3_T4_T5_
		.amdhsa_group_segment_fixed_size 0
		.amdhsa_private_segment_fixed_size 0
		.amdhsa_kernarg_size 20
		.amdhsa_user_sgpr_count 6
		.amdhsa_user_sgpr_private_segment_buffer 1
		.amdhsa_user_sgpr_dispatch_ptr 0
		.amdhsa_user_sgpr_queue_ptr 0
		.amdhsa_user_sgpr_kernarg_segment_ptr 1
		.amdhsa_user_sgpr_dispatch_id 0
		.amdhsa_user_sgpr_flat_scratch_init 0
		.amdhsa_user_sgpr_private_segment_size 0
		.amdhsa_uses_dynamic_stack 0
		.amdhsa_system_sgpr_private_segment_wavefront_offset 0
		.amdhsa_system_sgpr_workgroup_id_x 1
		.amdhsa_system_sgpr_workgroup_id_y 0
		.amdhsa_system_sgpr_workgroup_id_z 0
		.amdhsa_system_sgpr_workgroup_info 0
		.amdhsa_system_vgpr_workitem_id 0
		.amdhsa_next_free_vgpr 4
		.amdhsa_next_free_sgpr 7
		.amdhsa_reserve_vcc 1
		.amdhsa_reserve_flat_scratch 0
		.amdhsa_float_round_mode_32 0
		.amdhsa_float_round_mode_16_64 0
		.amdhsa_float_denorm_mode_32 3
		.amdhsa_float_denorm_mode_16_64 3
		.amdhsa_dx10_clamp 1
		.amdhsa_ieee_mode 1
		.amdhsa_fp16_overflow 0
		.amdhsa_exception_fp_ieee_invalid_op 0
		.amdhsa_exception_fp_denorm_src 0
		.amdhsa_exception_fp_ieee_div_zero 0
		.amdhsa_exception_fp_ieee_overflow 0
		.amdhsa_exception_fp_ieee_underflow 0
		.amdhsa_exception_fp_ieee_inexact 0
		.amdhsa_exception_int_div_zero 0
	.end_amdhsa_kernel
	.section	.text._ZN2at6native27unrolled_elementwise_kernelINS0_11FillFunctorIN3c107complexINS3_8BFloat16EEEEESt5arrayIPcLm1EELi4E23TrivialOffsetCalculatorILi0EjESB_ILi1EjENS0_6memory15LoadWithoutCastENSE_16StoreWithoutCastEEEviT_T0_T2_T3_T4_T5_,"axG",@progbits,_ZN2at6native27unrolled_elementwise_kernelINS0_11FillFunctorIN3c107complexINS3_8BFloat16EEEEESt5arrayIPcLm1EELi4E23TrivialOffsetCalculatorILi0EjESB_ILi1EjENS0_6memory15LoadWithoutCastENSE_16StoreWithoutCastEEEviT_T0_T2_T3_T4_T5_,comdat
.Lfunc_end84:
	.size	_ZN2at6native27unrolled_elementwise_kernelINS0_11FillFunctorIN3c107complexINS3_8BFloat16EEEEESt5arrayIPcLm1EELi4E23TrivialOffsetCalculatorILi0EjESB_ILi1EjENS0_6memory15LoadWithoutCastENSE_16StoreWithoutCastEEEviT_T0_T2_T3_T4_T5_, .Lfunc_end84-_ZN2at6native27unrolled_elementwise_kernelINS0_11FillFunctorIN3c107complexINS3_8BFloat16EEEEESt5arrayIPcLm1EELi4E23TrivialOffsetCalculatorILi0EjESB_ILi1EjENS0_6memory15LoadWithoutCastENSE_16StoreWithoutCastEEEviT_T0_T2_T3_T4_T5_
                                        ; -- End function
	.set _ZN2at6native27unrolled_elementwise_kernelINS0_11FillFunctorIN3c107complexINS3_8BFloat16EEEEESt5arrayIPcLm1EELi4E23TrivialOffsetCalculatorILi0EjESB_ILi1EjENS0_6memory15LoadWithoutCastENSE_16StoreWithoutCastEEEviT_T0_T2_T3_T4_T5_.num_vgpr, 4
	.set _ZN2at6native27unrolled_elementwise_kernelINS0_11FillFunctorIN3c107complexINS3_8BFloat16EEEEESt5arrayIPcLm1EELi4E23TrivialOffsetCalculatorILi0EjESB_ILi1EjENS0_6memory15LoadWithoutCastENSE_16StoreWithoutCastEEEviT_T0_T2_T3_T4_T5_.num_agpr, 0
	.set _ZN2at6native27unrolled_elementwise_kernelINS0_11FillFunctorIN3c107complexINS3_8BFloat16EEEEESt5arrayIPcLm1EELi4E23TrivialOffsetCalculatorILi0EjESB_ILi1EjENS0_6memory15LoadWithoutCastENSE_16StoreWithoutCastEEEviT_T0_T2_T3_T4_T5_.numbered_sgpr, 7
	.set _ZN2at6native27unrolled_elementwise_kernelINS0_11FillFunctorIN3c107complexINS3_8BFloat16EEEEESt5arrayIPcLm1EELi4E23TrivialOffsetCalculatorILi0EjESB_ILi1EjENS0_6memory15LoadWithoutCastENSE_16StoreWithoutCastEEEviT_T0_T2_T3_T4_T5_.num_named_barrier, 0
	.set _ZN2at6native27unrolled_elementwise_kernelINS0_11FillFunctorIN3c107complexINS3_8BFloat16EEEEESt5arrayIPcLm1EELi4E23TrivialOffsetCalculatorILi0EjESB_ILi1EjENS0_6memory15LoadWithoutCastENSE_16StoreWithoutCastEEEviT_T0_T2_T3_T4_T5_.private_seg_size, 0
	.set _ZN2at6native27unrolled_elementwise_kernelINS0_11FillFunctorIN3c107complexINS3_8BFloat16EEEEESt5arrayIPcLm1EELi4E23TrivialOffsetCalculatorILi0EjESB_ILi1EjENS0_6memory15LoadWithoutCastENSE_16StoreWithoutCastEEEviT_T0_T2_T3_T4_T5_.uses_vcc, 1
	.set _ZN2at6native27unrolled_elementwise_kernelINS0_11FillFunctorIN3c107complexINS3_8BFloat16EEEEESt5arrayIPcLm1EELi4E23TrivialOffsetCalculatorILi0EjESB_ILi1EjENS0_6memory15LoadWithoutCastENSE_16StoreWithoutCastEEEviT_T0_T2_T3_T4_T5_.uses_flat_scratch, 0
	.set _ZN2at6native27unrolled_elementwise_kernelINS0_11FillFunctorIN3c107complexINS3_8BFloat16EEEEESt5arrayIPcLm1EELi4E23TrivialOffsetCalculatorILi0EjESB_ILi1EjENS0_6memory15LoadWithoutCastENSE_16StoreWithoutCastEEEviT_T0_T2_T3_T4_T5_.has_dyn_sized_stack, 0
	.set _ZN2at6native27unrolled_elementwise_kernelINS0_11FillFunctorIN3c107complexINS3_8BFloat16EEEEESt5arrayIPcLm1EELi4E23TrivialOffsetCalculatorILi0EjESB_ILi1EjENS0_6memory15LoadWithoutCastENSE_16StoreWithoutCastEEEviT_T0_T2_T3_T4_T5_.has_recursion, 0
	.set _ZN2at6native27unrolled_elementwise_kernelINS0_11FillFunctorIN3c107complexINS3_8BFloat16EEEEESt5arrayIPcLm1EELi4E23TrivialOffsetCalculatorILi0EjESB_ILi1EjENS0_6memory15LoadWithoutCastENSE_16StoreWithoutCastEEEviT_T0_T2_T3_T4_T5_.has_indirect_call, 0
	.section	.AMDGPU.csdata,"",@progbits
; Kernel info:
; codeLenInByte = 328
; TotalNumSgprs: 11
; NumVgprs: 4
; ScratchSize: 0
; MemoryBound: 0
; FloatMode: 240
; IeeeMode: 1
; LDSByteSize: 0 bytes/workgroup (compile time only)
; SGPRBlocks: 1
; VGPRBlocks: 0
; NumSGPRsForWavesPerEU: 11
; NumVGPRsForWavesPerEU: 4
; Occupancy: 10
; WaveLimiterHint : 0
; COMPUTE_PGM_RSRC2:SCRATCH_EN: 0
; COMPUTE_PGM_RSRC2:USER_SGPR: 6
; COMPUTE_PGM_RSRC2:TRAP_HANDLER: 0
; COMPUTE_PGM_RSRC2:TGID_X_EN: 1
; COMPUTE_PGM_RSRC2:TGID_Y_EN: 0
; COMPUTE_PGM_RSRC2:TGID_Z_EN: 0
; COMPUTE_PGM_RSRC2:TIDIG_COMP_CNT: 0
	.section	.text._ZN2at6native32elementwise_kernel_manual_unrollILi128ELi4EZNS0_22gpu_kernel_impl_nocastINS0_11FillFunctorIN3c107complexINS4_8BFloat16EEEEEEEvRNS_18TensorIteratorBaseERKT_EUlibE_EEviT1_,"axG",@progbits,_ZN2at6native32elementwise_kernel_manual_unrollILi128ELi4EZNS0_22gpu_kernel_impl_nocastINS0_11FillFunctorIN3c107complexINS4_8BFloat16EEEEEEEvRNS_18TensorIteratorBaseERKT_EUlibE_EEviT1_,comdat
	.protected	_ZN2at6native32elementwise_kernel_manual_unrollILi128ELi4EZNS0_22gpu_kernel_impl_nocastINS0_11FillFunctorIN3c107complexINS4_8BFloat16EEEEEEEvRNS_18TensorIteratorBaseERKT_EUlibE_EEviT1_ ; -- Begin function _ZN2at6native32elementwise_kernel_manual_unrollILi128ELi4EZNS0_22gpu_kernel_impl_nocastINS0_11FillFunctorIN3c107complexINS4_8BFloat16EEEEEEEvRNS_18TensorIteratorBaseERKT_EUlibE_EEviT1_
	.globl	_ZN2at6native32elementwise_kernel_manual_unrollILi128ELi4EZNS0_22gpu_kernel_impl_nocastINS0_11FillFunctorIN3c107complexINS4_8BFloat16EEEEEEEvRNS_18TensorIteratorBaseERKT_EUlibE_EEviT1_
	.p2align	8
	.type	_ZN2at6native32elementwise_kernel_manual_unrollILi128ELi4EZNS0_22gpu_kernel_impl_nocastINS0_11FillFunctorIN3c107complexINS4_8BFloat16EEEEEEEvRNS_18TensorIteratorBaseERKT_EUlibE_EEviT1_,@function
_ZN2at6native32elementwise_kernel_manual_unrollILi128ELi4EZNS0_22gpu_kernel_impl_nocastINS0_11FillFunctorIN3c107complexINS4_8BFloat16EEEEEEEvRNS_18TensorIteratorBaseERKT_EUlibE_EEviT1_: ; @_ZN2at6native32elementwise_kernel_manual_unrollILi128ELi4EZNS0_22gpu_kernel_impl_nocastINS0_11FillFunctorIN3c107complexINS4_8BFloat16EEEEEEEvRNS_18TensorIteratorBaseERKT_EUlibE_EEviT1_
; %bb.0:
	s_load_dword s48, s[4:5], 0x0
	s_load_dword s33, s[4:5], 0x8
	s_add_u32 s20, s4, 8
	s_addc_u32 s21, s5, 0
	v_lshl_or_b32 v3, s6, 9, v0
	v_or_b32_e32 v5, 0x180, v3
	s_waitcnt lgkmcnt(0)
	s_add_i32 s46, s33, -1
	s_cmp_gt_u32 s46, 1
	v_cmp_le_i32_e32 vcc, s48, v5
	s_cselect_b64 s[22:23], -1, 0
	s_and_saveexec_b64 s[0:1], vcc
	s_xor_b64 s[24:25], exec, s[0:1]
	s_cbranch_execz .LBB85_7
; %bb.1:
	s_load_dwordx4 s[8:11], s[20:21], 0x4
	s_load_dwordx2 s[30:31], s[20:21], 0x14
	s_load_dwordx2 s[28:29], s[20:21], 0xc4
	;; [unrolled: 1-line block ×3, first 2 shown]
	s_load_dword s47, s[20:21], 0x110
	s_cmp_lg_u32 s33, 0
	s_cselect_b64 s[38:39], -1, 0
	s_add_u32 s36, s20, 0xc4
	s_addc_u32 s37, s21, 0
	s_min_u32 s49, s46, 15
	s_cmp_gt_u32 s33, 1
	s_cselect_b64 s[34:35], -1, 0
	v_cmp_gt_i32_e32 vcc, s48, v3
	s_and_saveexec_b64 s[40:41], vcc
	s_cbranch_execz .LBB85_14
; %bb.2:
	s_andn2_b64 vcc, exec, s[22:23]
	s_cbranch_vccnz .LBB85_21
; %bb.3:
	s_andn2_b64 vcc, exec, s[38:39]
	s_cbranch_vccnz .LBB85_73
; %bb.4:
	s_add_i32 s51, s49, 1
	s_cmp_eq_u32 s46, 2
	s_cbranch_scc1 .LBB85_75
; %bb.5:
	s_and_b32 s50, s51, 28
	s_mov_b32 s52, 0
	v_mov_b32_e32 v0, 0
	s_mov_b64 s[42:43], s[20:21]
	s_mov_b64 s[44:45], s[36:37]
	v_mov_b32_e32 v1, v3
.LBB85_6:                               ; =>This Inner Loop Header: Depth=1
	s_load_dwordx8 s[0:7], s[42:43], 0x4
	s_load_dwordx4 s[12:15], s[42:43], 0x24
	s_load_dwordx4 s[16:19], s[44:45], 0x0
	s_add_u32 s42, s42, 48
	s_addc_u32 s43, s43, 0
	s_waitcnt lgkmcnt(0)
	v_mul_hi_u32 v2, s1, v1
	s_add_i32 s52, s52, 4
	s_add_u32 s44, s44, 16
	s_addc_u32 s45, s45, 0
	v_add_u32_e32 v2, v1, v2
	v_lshrrev_b32_e32 v2, s2, v2
	v_mul_lo_u32 v4, v2, s0
	v_mul_hi_u32 v5, s4, v2
	s_cmp_lg_u32 s50, s52
	v_sub_u32_e32 v1, v1, v4
	v_add_u32_e32 v4, v2, v5
	v_lshrrev_b32_e32 v4, s5, v4
	v_mul_lo_u32 v5, v1, s16
	v_mul_hi_u32 v1, s7, v4
	v_mul_lo_u32 v7, v4, s3
	v_add_u32_e32 v1, v4, v1
	v_lshrrev_b32_e32 v6, s12, v1
	v_mul_hi_u32 v1, s14, v6
	v_sub_u32_e32 v2, v2, v7
	v_mul_lo_u32 v7, v6, s6
	v_mul_lo_u32 v2, v2, s17
	v_add_u32_e32 v1, v6, v1
	v_lshrrev_b32_e32 v1, s15, v1
	v_mul_lo_u32 v8, v1, s13
	v_sub_u32_e32 v4, v4, v7
	v_mul_lo_u32 v4, v4, s18
	v_add3_u32 v0, v5, v0, v2
	v_sub_u32_e32 v6, v6, v8
	v_mul_lo_u32 v6, v6, s19
	v_add3_u32 v0, v4, v0, v6
	s_cbranch_scc1 .LBB85_6
	s_branch .LBB85_76
.LBB85_7:
	s_andn2_saveexec_b64 s[0:1], s[24:25]
	s_cbranch_execz .LBB85_101
.LBB85_8:
	v_cndmask_b32_e64 v0, 0, 1, s[22:23]
	v_cmp_ne_u32_e64 s[0:1], 1, v0
	s_andn2_b64 vcc, exec, s[22:23]
	s_cbranch_vccnz .LBB85_20
; %bb.9:
	s_cmp_lg_u32 s33, 0
	s_mov_b32 s24, 0
	s_cbranch_scc0 .LBB85_23
; %bb.10:
	s_min_u32 s25, s46, 15
	s_add_i32 s25, s25, 1
	s_cmp_eq_u32 s46, 2
	s_cbranch_scc1 .LBB85_24
; %bb.11:
	s_and_b32 s24, s25, 28
	s_add_u32 s2, s20, 0xc4
	s_addc_u32 s3, s21, 0
	s_waitcnt lgkmcnt(0)
	s_mov_b32 s26, 0
	v_mov_b32_e32 v0, 0
	s_mov_b64 s[22:23], s[20:21]
	v_mov_b32_e32 v1, v3
.LBB85_12:                              ; =>This Inner Loop Header: Depth=1
	s_load_dwordx8 s[4:11], s[22:23], 0x4
	s_load_dwordx4 s[12:15], s[22:23], 0x24
	s_load_dwordx4 s[16:19], s[2:3], 0x0
	s_add_u32 s22, s22, 48
	s_addc_u32 s23, s23, 0
	s_waitcnt lgkmcnt(0)
	v_mul_hi_u32 v2, s5, v1
	s_add_i32 s26, s26, 4
	s_add_u32 s2, s2, 16
	s_addc_u32 s3, s3, 0
	v_add_u32_e32 v2, v1, v2
	v_lshrrev_b32_e32 v2, s6, v2
	v_mul_lo_u32 v4, v2, s4
	v_mul_hi_u32 v6, s8, v2
	s_cmp_lg_u32 s24, s26
	v_sub_u32_e32 v1, v1, v4
	v_add_u32_e32 v4, v2, v6
	v_lshrrev_b32_e32 v4, s9, v4
	v_mul_lo_u32 v6, v1, s16
	v_mul_hi_u32 v1, s11, v4
	v_mul_lo_u32 v8, v4, s7
	v_add_u32_e32 v1, v4, v1
	v_lshrrev_b32_e32 v7, s12, v1
	v_mul_hi_u32 v1, s14, v7
	v_sub_u32_e32 v2, v2, v8
	v_mul_lo_u32 v8, v7, s10
	v_mul_lo_u32 v2, v2, s17
	v_add_u32_e32 v1, v7, v1
	v_lshrrev_b32_e32 v1, s15, v1
	v_mul_lo_u32 v9, v1, s13
	v_sub_u32_e32 v4, v4, v8
	v_mul_lo_u32 v4, v4, s18
	v_add3_u32 v0, v6, v0, v2
	v_sub_u32_e32 v7, v7, v9
	v_mul_lo_u32 v7, v7, s19
	v_add3_u32 v0, v4, v0, v7
	s_cbranch_scc1 .LBB85_12
; %bb.13:
	s_and_b32 s6, s25, 3
	s_cmp_eq_u32 s6, 0
	s_cbranch_scc0 .LBB85_25
	s_branch .LBB85_27
.LBB85_14:
	s_or_b64 exec, exec, s[40:41]
	v_cmp_gt_i32_e32 vcc, s48, v3
	s_and_saveexec_b64 s[40:41], vcc
	s_cbranch_execz .LBB85_83
.LBB85_15:
	s_andn2_b64 vcc, exec, s[22:23]
	s_cbranch_vccnz .LBB85_22
; %bb.16:
	s_andn2_b64 vcc, exec, s[38:39]
	s_cbranch_vccnz .LBB85_74
; %bb.17:
	s_add_i32 s51, s49, 1
	s_cmp_eq_u32 s46, 2
	s_cbranch_scc1 .LBB85_91
; %bb.18:
	s_and_b32 s50, s51, 28
	s_mov_b32 s52, 0
	v_mov_b32_e32 v0, 0
	s_mov_b64 s[42:43], s[20:21]
	s_mov_b64 s[44:45], s[36:37]
	v_mov_b32_e32 v1, v3
.LBB85_19:                              ; =>This Inner Loop Header: Depth=1
	s_load_dwordx8 s[0:7], s[42:43], 0x4
	s_load_dwordx4 s[12:15], s[42:43], 0x24
	s_load_dwordx4 s[16:19], s[44:45], 0x0
	s_add_u32 s42, s42, 48
	s_addc_u32 s43, s43, 0
	s_waitcnt lgkmcnt(0)
	v_mul_hi_u32 v2, s1, v1
	s_add_i32 s52, s52, 4
	s_add_u32 s44, s44, 16
	s_addc_u32 s45, s45, 0
	v_add_u32_e32 v2, v1, v2
	v_lshrrev_b32_e32 v2, s2, v2
	v_mul_lo_u32 v4, v2, s0
	v_mul_hi_u32 v5, s4, v2
	s_cmp_eq_u32 s50, s52
	v_sub_u32_e32 v1, v1, v4
	v_add_u32_e32 v4, v2, v5
	v_lshrrev_b32_e32 v4, s5, v4
	v_mul_lo_u32 v5, v1, s16
	v_mul_hi_u32 v1, s7, v4
	v_mul_lo_u32 v7, v4, s3
	v_add_u32_e32 v1, v4, v1
	v_lshrrev_b32_e32 v6, s12, v1
	v_mul_hi_u32 v1, s14, v6
	v_sub_u32_e32 v2, v2, v7
	v_mul_lo_u32 v7, v6, s6
	v_mul_lo_u32 v2, v2, s17
	v_add_u32_e32 v1, v6, v1
	v_lshrrev_b32_e32 v1, s15, v1
	v_mul_lo_u32 v8, v1, s13
	v_sub_u32_e32 v4, v4, v7
	v_mul_lo_u32 v4, v4, s18
	v_add3_u32 v0, v5, v0, v2
	v_sub_u32_e32 v6, v6, v8
	v_mul_lo_u32 v6, v6, s19
	v_add3_u32 v0, v4, v0, v6
	s_cbranch_scc0 .LBB85_19
	s_branch .LBB85_92
.LBB85_20:
                                        ; implicit-def: $vgpr0
	s_branch .LBB85_28
.LBB85_21:
                                        ; implicit-def: $vgpr0
	s_branch .LBB85_80
.LBB85_22:
                                        ; implicit-def: $vgpr0
	s_branch .LBB85_96
.LBB85_23:
	v_mov_b32_e32 v0, 0
	s_branch .LBB85_27
.LBB85_24:
	v_mov_b32_e32 v0, 0
	v_mov_b32_e32 v1, v3
	s_and_b32 s6, s25, 3
	s_cmp_eq_u32 s6, 0
	s_cbranch_scc1 .LBB85_27
.LBB85_25:
	s_lshl_b32 s2, s24, 2
	s_add_u32 s2, s20, s2
	s_addc_u32 s3, s21, 0
	s_add_u32 s2, s2, 0xc4
	s_addc_u32 s3, s3, 0
	s_mul_i32 s4, s24, 12
	s_add_u32 s4, s20, s4
	s_addc_u32 s5, s21, 0
.LBB85_26:                              ; =>This Inner Loop Header: Depth=1
	s_waitcnt lgkmcnt(0)
	s_load_dwordx2 s[8:9], s[4:5], 0x4
	s_load_dword s7, s[4:5], 0xc
	s_add_u32 s4, s4, 12
	s_addc_u32 s5, s5, 0
	s_waitcnt lgkmcnt(0)
	v_mul_hi_u32 v2, s9, v1
	s_load_dword s9, s[2:3], 0x0
	s_add_u32 s2, s2, 4
	s_addc_u32 s3, s3, 0
	v_add_u32_e32 v2, v1, v2
	v_lshrrev_b32_e32 v2, s7, v2
	v_mul_lo_u32 v4, v2, s8
	s_add_i32 s6, s6, -1
	s_cmp_lg_u32 s6, 0
	v_sub_u32_e32 v1, v1, v4
	s_waitcnt lgkmcnt(0)
	v_mad_u64_u32 v[0:1], s[8:9], v1, s9, v[0:1]
	v_mov_b32_e32 v1, v2
	s_cbranch_scc1 .LBB85_26
.LBB85_27:
	s_cbranch_execnz .LBB85_30
.LBB85_28:
	s_load_dwordx4 s[4:7], s[20:21], 0x4
	s_load_dword s2, s[20:21], 0xc4
	s_cmp_lt_u32 s33, 2
	s_waitcnt lgkmcnt(0)
	v_mul_hi_u32 v0, s5, v3
	v_add_u32_e32 v0, v3, v0
	v_lshrrev_b32_e32 v1, s6, v0
	v_mul_lo_u32 v0, v1, s4
	v_sub_u32_e32 v0, v3, v0
	v_mul_lo_u32 v0, v0, s2
	s_cbranch_scc1 .LBB85_30
; %bb.29:
	s_load_dwordx4 s[4:7], s[20:21], 0x10
	s_load_dword s2, s[20:21], 0xc8
	s_waitcnt lgkmcnt(0)
	v_mul_hi_u32 v2, s5, v1
	v_add_u32_e32 v2, v1, v2
	v_lshrrev_b32_e32 v2, s6, v2
	v_mul_lo_u32 v2, v2, s4
	v_sub_u32_e32 v1, v1, v2
	v_mad_u64_u32 v[0:1], s[2:3], v1, s2, v[0:1]
.LBB85_30:
	s_and_b64 vcc, exec, s[0:1]
	v_add_u32_e32 v4, 0x80, v3
	s_cbranch_vccnz .LBB85_36
; %bb.31:
	s_cmp_lg_u32 s33, 0
	s_mov_b32 s24, 0
	s_cbranch_scc0 .LBB85_37
; %bb.32:
	s_min_u32 s25, s46, 15
	s_add_i32 s25, s25, 1
	s_cmp_eq_u32 s46, 2
	s_cbranch_scc1 .LBB85_38
; %bb.33:
	s_and_b32 s24, s25, 28
	s_add_u32 s2, s20, 0xc4
	s_addc_u32 s3, s21, 0
	s_waitcnt lgkmcnt(0)
	s_mov_b32 s26, 0
	v_mov_b32_e32 v1, 0
	s_mov_b64 s[22:23], s[20:21]
	v_mov_b32_e32 v2, v4
.LBB85_34:                              ; =>This Inner Loop Header: Depth=1
	s_load_dwordx8 s[4:11], s[22:23], 0x4
	s_load_dwordx4 s[12:15], s[22:23], 0x24
	s_load_dwordx4 s[16:19], s[2:3], 0x0
	s_add_u32 s22, s22, 48
	s_addc_u32 s23, s23, 0
	s_waitcnt lgkmcnt(0)
	v_mul_hi_u32 v6, s5, v2
	s_add_i32 s26, s26, 4
	s_add_u32 s2, s2, 16
	s_addc_u32 s3, s3, 0
	v_add_u32_e32 v6, v2, v6
	v_lshrrev_b32_e32 v6, s6, v6
	v_mul_lo_u32 v7, v6, s4
	v_mul_hi_u32 v8, s8, v6
	s_cmp_lg_u32 s24, s26
	v_sub_u32_e32 v2, v2, v7
	v_add_u32_e32 v7, v6, v8
	v_lshrrev_b32_e32 v7, s9, v7
	v_mul_lo_u32 v8, v2, s16
	v_mul_hi_u32 v2, s11, v7
	v_mul_lo_u32 v10, v7, s7
	v_add_u32_e32 v2, v7, v2
	v_lshrrev_b32_e32 v9, s12, v2
	v_mul_hi_u32 v2, s14, v9
	v_sub_u32_e32 v6, v6, v10
	v_mul_lo_u32 v10, v9, s10
	v_mul_lo_u32 v6, v6, s17
	v_add_u32_e32 v2, v9, v2
	v_lshrrev_b32_e32 v2, s15, v2
	v_mul_lo_u32 v11, v2, s13
	v_sub_u32_e32 v7, v7, v10
	v_mul_lo_u32 v7, v7, s18
	v_add3_u32 v1, v8, v1, v6
	v_sub_u32_e32 v9, v9, v11
	v_mul_lo_u32 v9, v9, s19
	v_add3_u32 v1, v7, v1, v9
	s_cbranch_scc1 .LBB85_34
; %bb.35:
	s_and_b32 s6, s25, 3
	s_cmp_eq_u32 s6, 0
	s_cbranch_scc0 .LBB85_39
	s_branch .LBB85_41
.LBB85_36:
                                        ; implicit-def: $vgpr1
	s_branch .LBB85_42
.LBB85_37:
	v_mov_b32_e32 v1, 0
	s_branch .LBB85_41
.LBB85_38:
	v_mov_b32_e32 v1, 0
	v_mov_b32_e32 v2, v4
	s_and_b32 s6, s25, 3
	s_cmp_eq_u32 s6, 0
	s_cbranch_scc1 .LBB85_41
.LBB85_39:
	s_lshl_b32 s2, s24, 2
	s_add_u32 s2, s20, s2
	s_addc_u32 s3, s21, 0
	s_add_u32 s2, s2, 0xc4
	s_addc_u32 s3, s3, 0
	s_mul_i32 s4, s24, 12
	s_add_u32 s4, s20, s4
	s_addc_u32 s5, s21, 0
.LBB85_40:                              ; =>This Inner Loop Header: Depth=1
	s_waitcnt lgkmcnt(0)
	s_load_dwordx2 s[8:9], s[4:5], 0x4
	s_load_dword s7, s[4:5], 0xc
	s_add_u32 s4, s4, 12
	s_addc_u32 s5, s5, 0
	s_waitcnt lgkmcnt(0)
	v_mul_hi_u32 v6, s9, v2
	s_load_dword s9, s[2:3], 0x0
	s_add_u32 s2, s2, 4
	s_addc_u32 s3, s3, 0
	v_add_u32_e32 v6, v2, v6
	v_lshrrev_b32_e32 v6, s7, v6
	v_mul_lo_u32 v7, v6, s8
	s_add_i32 s6, s6, -1
	s_cmp_lg_u32 s6, 0
	v_sub_u32_e32 v2, v2, v7
	s_waitcnt lgkmcnt(0)
	v_mad_u64_u32 v[1:2], s[8:9], v2, s9, v[1:2]
	v_mov_b32_e32 v2, v6
	s_cbranch_scc1 .LBB85_40
.LBB85_41:
	s_cbranch_execnz .LBB85_44
.LBB85_42:
	s_load_dwordx4 s[4:7], s[20:21], 0x4
	s_load_dword s2, s[20:21], 0xc4
	s_cmp_lt_u32 s33, 2
	s_waitcnt lgkmcnt(0)
	v_mul_hi_u32 v1, s5, v4
	v_add_u32_e32 v1, v4, v1
	v_lshrrev_b32_e32 v2, s6, v1
	v_mul_lo_u32 v1, v2, s4
	v_sub_u32_e32 v1, v4, v1
	v_mul_lo_u32 v1, v1, s2
	s_cbranch_scc1 .LBB85_44
; %bb.43:
	s_load_dwordx4 s[4:7], s[20:21], 0x10
	s_load_dword s2, s[20:21], 0xc8
	s_waitcnt lgkmcnt(0)
	v_mul_hi_u32 v4, s5, v2
	v_add_u32_e32 v4, v2, v4
	v_lshrrev_b32_e32 v4, s6, v4
	v_mul_lo_u32 v4, v4, s4
	v_sub_u32_e32 v2, v2, v4
	v_mad_u64_u32 v[1:2], s[2:3], v2, s2, v[1:2]
.LBB85_44:
	s_and_b64 vcc, exec, s[0:1]
	v_add_u32_e32 v4, 0x100, v3
	s_cbranch_vccnz .LBB85_50
; %bb.45:
	s_cmp_lg_u32 s33, 0
	s_mov_b32 s24, 0
	s_cbranch_scc0 .LBB85_51
; %bb.46:
	s_min_u32 s25, s46, 15
	s_add_i32 s25, s25, 1
	s_cmp_eq_u32 s46, 2
	s_cbranch_scc1 .LBB85_52
; %bb.47:
	s_and_b32 s24, s25, 28
	s_add_u32 s2, s20, 0xc4
	s_addc_u32 s3, s21, 0
	s_waitcnt lgkmcnt(0)
	s_mov_b32 s26, 0
	v_mov_b32_e32 v2, 0
	s_mov_b64 s[22:23], s[20:21]
	v_mov_b32_e32 v3, v4
.LBB85_48:                              ; =>This Inner Loop Header: Depth=1
	s_load_dwordx8 s[4:11], s[22:23], 0x4
	s_load_dwordx4 s[12:15], s[22:23], 0x24
	s_load_dwordx4 s[16:19], s[2:3], 0x0
	s_add_u32 s22, s22, 48
	s_addc_u32 s23, s23, 0
	s_waitcnt lgkmcnt(0)
	v_mul_hi_u32 v6, s5, v3
	s_add_i32 s26, s26, 4
	s_add_u32 s2, s2, 16
	s_addc_u32 s3, s3, 0
	v_add_u32_e32 v6, v3, v6
	v_lshrrev_b32_e32 v6, s6, v6
	v_mul_lo_u32 v7, v6, s4
	v_mul_hi_u32 v8, s8, v6
	s_cmp_lg_u32 s24, s26
	v_sub_u32_e32 v3, v3, v7
	v_add_u32_e32 v7, v6, v8
	v_lshrrev_b32_e32 v7, s9, v7
	v_mul_lo_u32 v8, v3, s16
	v_mul_hi_u32 v3, s11, v7
	v_mul_lo_u32 v10, v7, s7
	v_add_u32_e32 v3, v7, v3
	v_lshrrev_b32_e32 v9, s12, v3
	v_mul_hi_u32 v3, s14, v9
	v_sub_u32_e32 v6, v6, v10
	v_mul_lo_u32 v10, v9, s10
	v_mul_lo_u32 v6, v6, s17
	v_add_u32_e32 v3, v9, v3
	v_lshrrev_b32_e32 v3, s15, v3
	v_mul_lo_u32 v11, v3, s13
	v_sub_u32_e32 v7, v7, v10
	v_mul_lo_u32 v7, v7, s18
	v_add3_u32 v2, v8, v2, v6
	v_sub_u32_e32 v9, v9, v11
	v_mul_lo_u32 v9, v9, s19
	v_add3_u32 v2, v7, v2, v9
	s_cbranch_scc1 .LBB85_48
; %bb.49:
	s_and_b32 s6, s25, 3
	s_cmp_eq_u32 s6, 0
	s_cbranch_scc0 .LBB85_53
	s_branch .LBB85_55
.LBB85_50:
                                        ; implicit-def: $vgpr2
	s_branch .LBB85_56
.LBB85_51:
	v_mov_b32_e32 v2, 0
	s_branch .LBB85_55
.LBB85_52:
	v_mov_b32_e32 v2, 0
	v_mov_b32_e32 v3, v4
	s_and_b32 s6, s25, 3
	s_cmp_eq_u32 s6, 0
	s_cbranch_scc1 .LBB85_55
.LBB85_53:
	s_lshl_b32 s2, s24, 2
	s_add_u32 s2, s20, s2
	s_addc_u32 s3, s21, 0
	s_add_u32 s2, s2, 0xc4
	s_addc_u32 s3, s3, 0
	s_mul_i32 s4, s24, 12
	s_add_u32 s4, s20, s4
	s_addc_u32 s5, s21, 0
.LBB85_54:                              ; =>This Inner Loop Header: Depth=1
	s_waitcnt lgkmcnt(0)
	s_load_dwordx2 s[8:9], s[4:5], 0x4
	s_load_dword s7, s[4:5], 0xc
	s_add_u32 s4, s4, 12
	s_addc_u32 s5, s5, 0
	s_waitcnt lgkmcnt(0)
	v_mul_hi_u32 v6, s9, v3
	s_load_dword s9, s[2:3], 0x0
	s_add_u32 s2, s2, 4
	s_addc_u32 s3, s3, 0
	v_add_u32_e32 v6, v3, v6
	v_lshrrev_b32_e32 v6, s7, v6
	v_mul_lo_u32 v7, v6, s8
	s_add_i32 s6, s6, -1
	s_cmp_lg_u32 s6, 0
	v_sub_u32_e32 v3, v3, v7
	s_waitcnt lgkmcnt(0)
	v_mad_u64_u32 v[2:3], s[8:9], v3, s9, v[2:3]
	v_mov_b32_e32 v3, v6
	s_cbranch_scc1 .LBB85_54
.LBB85_55:
	s_cbranch_execnz .LBB85_58
.LBB85_56:
	s_load_dwordx4 s[4:7], s[20:21], 0x4
	s_load_dword s2, s[20:21], 0xc4
	s_cmp_lt_u32 s33, 2
	s_waitcnt lgkmcnt(0)
	v_mul_hi_u32 v2, s5, v4
	v_add_u32_e32 v2, v4, v2
	v_lshrrev_b32_e32 v3, s6, v2
	v_mul_lo_u32 v2, v3, s4
	v_sub_u32_e32 v2, v4, v2
	v_mul_lo_u32 v2, v2, s2
	s_cbranch_scc1 .LBB85_58
; %bb.57:
	s_load_dwordx4 s[4:7], s[20:21], 0x10
	s_load_dword s2, s[20:21], 0xc8
	s_waitcnt lgkmcnt(0)
	v_mul_hi_u32 v4, s5, v3
	v_add_u32_e32 v4, v3, v4
	v_lshrrev_b32_e32 v4, s6, v4
	v_mul_lo_u32 v4, v4, s4
	v_sub_u32_e32 v3, v3, v4
	v_mad_u64_u32 v[2:3], s[2:3], v3, s2, v[2:3]
.LBB85_58:
	s_and_b64 vcc, exec, s[0:1]
	s_cbranch_vccnz .LBB85_64
; %bb.59:
	s_cmp_lg_u32 s33, 0
	s_mov_b32 s22, 0
	s_cbranch_scc0 .LBB85_65
; %bb.60:
	s_min_u32 s23, s46, 15
	s_add_i32 s23, s23, 1
	s_cmp_eq_u32 s46, 2
	s_cbranch_scc1 .LBB85_66
; %bb.61:
	s_and_b32 s22, s23, 28
	s_add_u32 s16, s20, 0xc4
	s_addc_u32 s17, s21, 0
	s_mov_b32 s24, 0
	v_mov_b32_e32 v3, 0
	s_mov_b64 s[18:19], s[20:21]
	v_mov_b32_e32 v4, v5
.LBB85_62:                              ; =>This Inner Loop Header: Depth=1
	s_load_dwordx8 s[0:7], s[18:19], 0x4
	s_waitcnt lgkmcnt(0)
	s_load_dwordx4 s[8:11], s[18:19], 0x24
	s_load_dwordx4 s[12:15], s[16:17], 0x0
	s_add_u32 s18, s18, 48
	s_addc_u32 s19, s19, 0
	v_mul_hi_u32 v6, s1, v4
	s_add_i32 s24, s24, 4
	s_add_u32 s16, s16, 16
	s_addc_u32 s17, s17, 0
	v_add_u32_e32 v6, v4, v6
	v_lshrrev_b32_e32 v6, s2, v6
	v_mul_lo_u32 v7, v6, s0
	v_mul_hi_u32 v8, s4, v6
	s_cmp_lg_u32 s22, s24
	v_sub_u32_e32 v4, v4, v7
	v_add_u32_e32 v7, v6, v8
	v_lshrrev_b32_e32 v7, s5, v7
	s_waitcnt lgkmcnt(0)
	v_mul_lo_u32 v8, v4, s12
	v_mul_hi_u32 v4, s7, v7
	v_mul_lo_u32 v10, v7, s3
	v_add_u32_e32 v4, v7, v4
	v_lshrrev_b32_e32 v9, s8, v4
	v_mul_hi_u32 v4, s10, v9
	v_sub_u32_e32 v6, v6, v10
	v_mul_lo_u32 v10, v9, s6
	v_mul_lo_u32 v6, v6, s13
	v_add_u32_e32 v4, v9, v4
	v_lshrrev_b32_e32 v4, s11, v4
	v_mul_lo_u32 v11, v4, s9
	v_sub_u32_e32 v7, v7, v10
	v_mul_lo_u32 v7, v7, s14
	v_add3_u32 v3, v8, v3, v6
	v_sub_u32_e32 v9, v9, v11
	v_mul_lo_u32 v9, v9, s15
	v_add3_u32 v3, v7, v3, v9
	s_cbranch_scc1 .LBB85_62
; %bb.63:
	s_and_b32 s4, s23, 3
	s_cmp_eq_u32 s4, 0
	s_cbranch_scc0 .LBB85_67
	s_branch .LBB85_69
.LBB85_64:
                                        ; implicit-def: $vgpr3
	s_branch .LBB85_70
.LBB85_65:
	v_mov_b32_e32 v3, 0
	s_branch .LBB85_69
.LBB85_66:
	v_mov_b32_e32 v3, 0
	v_mov_b32_e32 v4, v5
	s_and_b32 s4, s23, 3
	s_cmp_eq_u32 s4, 0
	s_cbranch_scc1 .LBB85_69
.LBB85_67:
	s_lshl_b32 s0, s22, 2
	s_add_u32 s0, s20, s0
	s_addc_u32 s1, s21, 0
	s_add_u32 s0, s0, 0xc4
	s_addc_u32 s1, s1, 0
	s_mul_i32 s2, s22, 12
	s_add_u32 s2, s20, s2
	s_addc_u32 s3, s21, 0
.LBB85_68:                              ; =>This Inner Loop Header: Depth=1
	s_load_dwordx2 s[6:7], s[2:3], 0x4
	s_load_dword s5, s[2:3], 0xc
	s_add_u32 s2, s2, 12
	s_addc_u32 s3, s3, 0
	s_waitcnt lgkmcnt(0)
	v_mul_hi_u32 v6, s7, v4
	s_load_dword s7, s[0:1], 0x0
	s_add_u32 s0, s0, 4
	s_addc_u32 s1, s1, 0
	v_add_u32_e32 v6, v4, v6
	v_lshrrev_b32_e32 v6, s5, v6
	v_mul_lo_u32 v7, v6, s6
	s_add_i32 s4, s4, -1
	s_cmp_lg_u32 s4, 0
	v_sub_u32_e32 v4, v4, v7
	s_waitcnt lgkmcnt(0)
	v_mad_u64_u32 v[3:4], s[6:7], v4, s7, v[3:4]
	v_mov_b32_e32 v4, v6
	s_cbranch_scc1 .LBB85_68
.LBB85_69:
	s_cbranch_execnz .LBB85_72
.LBB85_70:
	s_load_dwordx4 s[0:3], s[20:21], 0x4
	s_waitcnt lgkmcnt(0)
	s_load_dword s3, s[20:21], 0xc4
	s_cmp_lt_u32 s33, 2
	v_mul_hi_u32 v3, s1, v5
	v_add_u32_e32 v3, v5, v3
	v_lshrrev_b32_e32 v4, s2, v3
	v_mul_lo_u32 v3, v4, s0
	v_sub_u32_e32 v3, v5, v3
	s_waitcnt lgkmcnt(0)
	v_mul_lo_u32 v3, v3, s3
	s_cbranch_scc1 .LBB85_72
; %bb.71:
	s_load_dwordx4 s[0:3], s[20:21], 0x10
	s_waitcnt lgkmcnt(0)
	s_load_dword s3, s[20:21], 0xc8
	v_mul_hi_u32 v5, s1, v4
	v_add_u32_e32 v5, v4, v5
	v_lshrrev_b32_e32 v5, s2, v5
	v_mul_lo_u32 v5, v5, s0
	v_sub_u32_e32 v4, v4, v5
	s_waitcnt lgkmcnt(0)
	v_mad_u64_u32 v[3:4], s[0:1], v4, s3, v[3:4]
.LBB85_72:
	s_load_dword s2, s[20:21], 0x110
	s_load_dwordx2 s[0:1], s[20:21], 0x108
	s_waitcnt lgkmcnt(0)
	v_mov_b32_e32 v4, s2
	s_nop 0
	global_store_dword v0, v4, s[0:1]
	global_store_dword v1, v4, s[0:1]
	;; [unrolled: 1-line block ×4, first 2 shown]
	s_endpgm
.LBB85_73:
	v_mov_b32_e32 v0, 0
	s_branch .LBB85_79
.LBB85_74:
	v_mov_b32_e32 v0, 0
	s_branch .LBB85_95
.LBB85_75:
	v_mov_b32_e32 v0, 0
	s_mov_b32 s50, 0
	v_mov_b32_e32 v1, v3
.LBB85_76:
	s_and_b32 s4, s51, 3
	s_cmp_eq_u32 s4, 0
	s_cbranch_scc1 .LBB85_79
; %bb.77:
	s_lshl_b32 s0, s50, 2
	s_add_u32 s0, s20, s0
	s_addc_u32 s1, s21, 0
	s_add_u32 s0, s0, 0xc4
	s_addc_u32 s1, s1, 0
	s_mul_i32 s2, s50, 12
	s_add_u32 s2, s20, s2
	s_addc_u32 s3, s21, 0
.LBB85_78:                              ; =>This Inner Loop Header: Depth=1
	s_load_dwordx2 s[6:7], s[2:3], 0x4
	s_load_dword s5, s[2:3], 0xc
	s_add_u32 s2, s2, 12
	s_addc_u32 s3, s3, 0
	s_waitcnt lgkmcnt(0)
	v_mul_hi_u32 v2, s7, v1
	s_load_dword s7, s[0:1], 0x0
	s_add_u32 s0, s0, 4
	s_addc_u32 s1, s1, 0
	v_add_u32_e32 v2, v1, v2
	v_lshrrev_b32_e32 v2, s5, v2
	v_mul_lo_u32 v4, v2, s6
	s_add_i32 s4, s4, -1
	s_cmp_lg_u32 s4, 0
	v_sub_u32_e32 v1, v1, v4
	s_waitcnt lgkmcnt(0)
	v_mad_u64_u32 v[0:1], s[6:7], v1, s7, v[0:1]
	v_mov_b32_e32 v1, v2
	s_cbranch_scc1 .LBB85_78
.LBB85_79:
	s_cbranch_execnz .LBB85_82
.LBB85_80:
	s_waitcnt lgkmcnt(0)
	v_mul_hi_u32 v0, s9, v3
	s_andn2_b64 vcc, exec, s[34:35]
	v_add_u32_e32 v0, v3, v0
	v_lshrrev_b32_e32 v1, s10, v0
	v_mul_lo_u32 v0, v1, s8
	v_sub_u32_e32 v0, v3, v0
	v_mul_lo_u32 v0, v0, s28
	s_cbranch_vccnz .LBB85_82
; %bb.81:
	v_mul_hi_u32 v2, s30, v1
	v_add_u32_e32 v2, v1, v2
	v_lshrrev_b32_e32 v2, s31, v2
	v_mul_lo_u32 v2, v2, s11
	v_sub_u32_e32 v1, v1, v2
	v_mad_u64_u32 v[0:1], s[0:1], v1, s29, v[0:1]
.LBB85_82:
	s_waitcnt lgkmcnt(0)
	v_mov_b32_e32 v1, s47
	v_add_u32_e32 v3, 0x80, v3
	global_store_dword v0, v1, s[26:27]
	s_or_b64 exec, exec, s[40:41]
	v_cmp_gt_i32_e32 vcc, s48, v3
	s_and_saveexec_b64 s[40:41], vcc
	s_cbranch_execnz .LBB85_15
.LBB85_83:
	s_or_b64 exec, exec, s[40:41]
	v_cmp_gt_i32_e32 vcc, s48, v3
	s_and_saveexec_b64 s[40:41], vcc
	s_cbranch_execz .LBB85_99
.LBB85_84:
	s_andn2_b64 vcc, exec, s[22:23]
	s_cbranch_vccnz .LBB85_89
; %bb.85:
	s_andn2_b64 vcc, exec, s[38:39]
	s_cbranch_vccnz .LBB85_90
; %bb.86:
	s_add_i32 s51, s49, 1
	s_cmp_eq_u32 s46, 2
	s_cbranch_scc1 .LBB85_102
; %bb.87:
	s_and_b32 s50, s51, 28
	s_mov_b32 s52, 0
	v_mov_b32_e32 v0, 0
	s_mov_b64 s[42:43], s[20:21]
	s_mov_b64 s[44:45], s[36:37]
	v_mov_b32_e32 v1, v3
.LBB85_88:                              ; =>This Inner Loop Header: Depth=1
	s_load_dwordx8 s[0:7], s[42:43], 0x4
	s_load_dwordx4 s[12:15], s[42:43], 0x24
	s_load_dwordx4 s[16:19], s[44:45], 0x0
	s_add_u32 s42, s42, 48
	s_addc_u32 s43, s43, 0
	s_waitcnt lgkmcnt(0)
	v_mul_hi_u32 v2, s1, v1
	s_add_i32 s52, s52, 4
	s_add_u32 s44, s44, 16
	s_addc_u32 s45, s45, 0
	v_add_u32_e32 v2, v1, v2
	v_lshrrev_b32_e32 v2, s2, v2
	v_mul_lo_u32 v4, v2, s0
	v_mul_hi_u32 v5, s4, v2
	s_cmp_eq_u32 s50, s52
	v_sub_u32_e32 v1, v1, v4
	v_add_u32_e32 v4, v2, v5
	v_lshrrev_b32_e32 v4, s5, v4
	v_mul_lo_u32 v5, v1, s16
	v_mul_hi_u32 v1, s7, v4
	v_mul_lo_u32 v7, v4, s3
	v_add_u32_e32 v1, v4, v1
	v_lshrrev_b32_e32 v6, s12, v1
	v_mul_hi_u32 v1, s14, v6
	v_sub_u32_e32 v2, v2, v7
	v_mul_lo_u32 v7, v6, s6
	v_mul_lo_u32 v2, v2, s17
	v_add_u32_e32 v1, v6, v1
	v_lshrrev_b32_e32 v1, s15, v1
	v_mul_lo_u32 v8, v1, s13
	v_sub_u32_e32 v4, v4, v7
	v_mul_lo_u32 v4, v4, s18
	v_add3_u32 v0, v5, v0, v2
	v_sub_u32_e32 v6, v6, v8
	v_mul_lo_u32 v6, v6, s19
	v_add3_u32 v0, v4, v0, v6
	s_cbranch_scc0 .LBB85_88
	s_branch .LBB85_103
.LBB85_89:
                                        ; implicit-def: $vgpr0
	s_branch .LBB85_107
.LBB85_90:
	v_mov_b32_e32 v0, 0
	s_branch .LBB85_106
.LBB85_91:
	v_mov_b32_e32 v0, 0
	s_mov_b32 s50, 0
	v_mov_b32_e32 v1, v3
.LBB85_92:
	s_and_b32 s4, s51, 3
	s_cmp_eq_u32 s4, 0
	s_cbranch_scc1 .LBB85_95
; %bb.93:
	s_lshl_b32 s0, s50, 2
	s_add_u32 s0, s20, s0
	s_addc_u32 s1, s21, 0
	s_add_u32 s0, s0, 0xc4
	s_addc_u32 s1, s1, 0
	s_mul_i32 s2, s50, 12
	s_add_u32 s2, s20, s2
	s_addc_u32 s3, s21, 0
.LBB85_94:                              ; =>This Inner Loop Header: Depth=1
	s_load_dwordx2 s[6:7], s[2:3], 0x4
	s_load_dword s5, s[2:3], 0xc
	s_add_u32 s2, s2, 12
	s_addc_u32 s3, s3, 0
	s_waitcnt lgkmcnt(0)
	v_mul_hi_u32 v2, s7, v1
	s_load_dword s7, s[0:1], 0x0
	s_add_u32 s0, s0, 4
	s_addc_u32 s1, s1, 0
	v_add_u32_e32 v2, v1, v2
	v_lshrrev_b32_e32 v2, s5, v2
	v_mul_lo_u32 v4, v2, s6
	s_add_i32 s4, s4, -1
	s_cmp_lg_u32 s4, 0
	v_sub_u32_e32 v1, v1, v4
	s_waitcnt lgkmcnt(0)
	v_mad_u64_u32 v[0:1], s[6:7], v1, s7, v[0:1]
	v_mov_b32_e32 v1, v2
	s_cbranch_scc1 .LBB85_94
.LBB85_95:
	s_cbranch_execnz .LBB85_98
.LBB85_96:
	s_waitcnt lgkmcnt(0)
	v_mul_hi_u32 v0, s9, v3
	s_andn2_b64 vcc, exec, s[34:35]
	v_add_u32_e32 v0, v3, v0
	v_lshrrev_b32_e32 v1, s10, v0
	v_mul_lo_u32 v0, v1, s8
	v_sub_u32_e32 v0, v3, v0
	v_mul_lo_u32 v0, v0, s28
	s_cbranch_vccnz .LBB85_98
; %bb.97:
	v_mul_hi_u32 v2, s30, v1
	v_add_u32_e32 v2, v1, v2
	v_lshrrev_b32_e32 v2, s31, v2
	v_mul_lo_u32 v2, v2, s11
	v_sub_u32_e32 v1, v1, v2
	v_mad_u64_u32 v[0:1], s[0:1], v1, s29, v[0:1]
.LBB85_98:
	s_waitcnt lgkmcnt(0)
	v_mov_b32_e32 v1, s47
	v_add_u32_e32 v3, 0x80, v3
	global_store_dword v0, v1, s[26:27]
	s_or_b64 exec, exec, s[40:41]
	v_cmp_gt_i32_e32 vcc, s48, v3
	s_and_saveexec_b64 s[40:41], vcc
	s_cbranch_execnz .LBB85_84
.LBB85_99:
	s_or_b64 exec, exec, s[40:41]
	v_cmp_gt_i32_e32 vcc, s48, v3
	s_and_saveexec_b64 s[40:41], vcc
	s_cbranch_execnz .LBB85_110
.LBB85_100:
	s_or_b64 exec, exec, s[40:41]
                                        ; implicit-def: $vgpr5
                                        ; implicit-def: $vgpr3
	s_andn2_saveexec_b64 s[0:1], s[24:25]
	s_cbranch_execnz .LBB85_8
.LBB85_101:
	s_endpgm
.LBB85_102:
	v_mov_b32_e32 v0, 0
	s_mov_b32 s50, 0
	v_mov_b32_e32 v1, v3
.LBB85_103:
	s_and_b32 s4, s51, 3
	s_cmp_eq_u32 s4, 0
	s_cbranch_scc1 .LBB85_106
; %bb.104:
	s_lshl_b32 s0, s50, 2
	s_add_u32 s0, s20, s0
	s_addc_u32 s1, s21, 0
	s_add_u32 s0, s0, 0xc4
	s_addc_u32 s1, s1, 0
	s_mul_i32 s2, s50, 12
	s_add_u32 s2, s20, s2
	s_addc_u32 s3, s21, 0
.LBB85_105:                             ; =>This Inner Loop Header: Depth=1
	s_load_dwordx2 s[6:7], s[2:3], 0x4
	s_load_dword s5, s[2:3], 0xc
	s_add_u32 s2, s2, 12
	s_addc_u32 s3, s3, 0
	s_waitcnt lgkmcnt(0)
	v_mul_hi_u32 v2, s7, v1
	s_load_dword s7, s[0:1], 0x0
	s_add_u32 s0, s0, 4
	s_addc_u32 s1, s1, 0
	v_add_u32_e32 v2, v1, v2
	v_lshrrev_b32_e32 v2, s5, v2
	v_mul_lo_u32 v4, v2, s6
	s_add_i32 s4, s4, -1
	s_cmp_lg_u32 s4, 0
	v_sub_u32_e32 v1, v1, v4
	s_waitcnt lgkmcnt(0)
	v_mad_u64_u32 v[0:1], s[6:7], v1, s7, v[0:1]
	v_mov_b32_e32 v1, v2
	s_cbranch_scc1 .LBB85_105
.LBB85_106:
	s_cbranch_execnz .LBB85_109
.LBB85_107:
	s_waitcnt lgkmcnt(0)
	v_mul_hi_u32 v0, s9, v3
	s_andn2_b64 vcc, exec, s[34:35]
	v_add_u32_e32 v0, v3, v0
	v_lshrrev_b32_e32 v1, s10, v0
	v_mul_lo_u32 v0, v1, s8
	v_sub_u32_e32 v0, v3, v0
	v_mul_lo_u32 v0, v0, s28
	s_cbranch_vccnz .LBB85_109
; %bb.108:
	v_mul_hi_u32 v2, s30, v1
	v_add_u32_e32 v2, v1, v2
	v_lshrrev_b32_e32 v2, s31, v2
	v_mul_lo_u32 v2, v2, s11
	v_sub_u32_e32 v1, v1, v2
	v_mad_u64_u32 v[0:1], s[0:1], v1, s29, v[0:1]
.LBB85_109:
	s_waitcnt lgkmcnt(0)
	v_mov_b32_e32 v1, s47
	v_add_u32_e32 v3, 0x80, v3
	global_store_dword v0, v1, s[26:27]
	s_or_b64 exec, exec, s[40:41]
	v_cmp_gt_i32_e32 vcc, s48, v3
	s_and_saveexec_b64 s[40:41], vcc
	s_cbranch_execz .LBB85_100
.LBB85_110:
	s_andn2_b64 vcc, exec, s[22:23]
	s_cbranch_vccnz .LBB85_115
; %bb.111:
	s_andn2_b64 vcc, exec, s[38:39]
	s_cbranch_vccnz .LBB85_116
; %bb.112:
	s_add_i32 s49, s49, 1
	s_cmp_eq_u32 s46, 2
	s_cbranch_scc1 .LBB85_117
; %bb.113:
	s_and_b32 s42, s49, 28
	s_mov_b32 s43, 0
	v_mov_b32_e32 v0, 0
	s_mov_b64 s[38:39], s[20:21]
	v_mov_b32_e32 v1, v3
.LBB85_114:                             ; =>This Inner Loop Header: Depth=1
	s_load_dwordx8 s[0:7], s[38:39], 0x4
	s_load_dwordx4 s[12:15], s[38:39], 0x24
	s_load_dwordx4 s[16:19], s[36:37], 0x0
	s_add_u32 s38, s38, 48
	s_addc_u32 s39, s39, 0
	s_waitcnt lgkmcnt(0)
	v_mul_hi_u32 v2, s1, v1
	s_add_i32 s43, s43, 4
	s_add_u32 s36, s36, 16
	s_addc_u32 s37, s37, 0
	v_add_u32_e32 v2, v1, v2
	v_lshrrev_b32_e32 v2, s2, v2
	v_mul_lo_u32 v4, v2, s0
	v_mul_hi_u32 v5, s4, v2
	s_cmp_eq_u32 s42, s43
	v_sub_u32_e32 v1, v1, v4
	v_add_u32_e32 v4, v2, v5
	v_lshrrev_b32_e32 v4, s5, v4
	v_mul_lo_u32 v5, v1, s16
	v_mul_hi_u32 v1, s7, v4
	v_mul_lo_u32 v7, v4, s3
	v_add_u32_e32 v1, v4, v1
	v_lshrrev_b32_e32 v6, s12, v1
	v_mul_hi_u32 v1, s14, v6
	v_sub_u32_e32 v2, v2, v7
	v_mul_lo_u32 v7, v6, s6
	v_mul_lo_u32 v2, v2, s17
	v_add_u32_e32 v1, v6, v1
	v_lshrrev_b32_e32 v1, s15, v1
	v_mul_lo_u32 v8, v1, s13
	v_sub_u32_e32 v4, v4, v7
	v_mul_lo_u32 v4, v4, s18
	v_add3_u32 v0, v5, v0, v2
	v_sub_u32_e32 v6, v6, v8
	v_mul_lo_u32 v6, v6, s19
	v_add3_u32 v0, v4, v0, v6
	s_cbranch_scc0 .LBB85_114
	s_branch .LBB85_118
.LBB85_115:
                                        ; implicit-def: $vgpr0
	s_branch .LBB85_122
.LBB85_116:
	v_mov_b32_e32 v0, 0
	s_branch .LBB85_121
.LBB85_117:
	v_mov_b32_e32 v0, 0
	s_mov_b32 s42, 0
	v_mov_b32_e32 v1, v3
.LBB85_118:
	s_and_b32 s4, s49, 3
	s_cmp_eq_u32 s4, 0
	s_cbranch_scc1 .LBB85_121
; %bb.119:
	s_lshl_b32 s0, s42, 2
	s_add_u32 s0, s20, s0
	s_addc_u32 s1, s21, 0
	s_add_u32 s0, s0, 0xc4
	s_addc_u32 s1, s1, 0
	s_mul_i32 s2, s42, 12
	s_add_u32 s2, s20, s2
	s_addc_u32 s3, s21, 0
.LBB85_120:                             ; =>This Inner Loop Header: Depth=1
	s_load_dwordx2 s[6:7], s[2:3], 0x4
	s_load_dword s5, s[2:3], 0xc
	s_add_u32 s2, s2, 12
	s_addc_u32 s3, s3, 0
	s_waitcnt lgkmcnt(0)
	v_mul_hi_u32 v2, s7, v1
	s_load_dword s7, s[0:1], 0x0
	s_add_u32 s0, s0, 4
	s_addc_u32 s1, s1, 0
	v_add_u32_e32 v2, v1, v2
	v_lshrrev_b32_e32 v2, s5, v2
	v_mul_lo_u32 v4, v2, s6
	s_add_i32 s4, s4, -1
	s_cmp_lg_u32 s4, 0
	v_sub_u32_e32 v1, v1, v4
	s_waitcnt lgkmcnt(0)
	v_mad_u64_u32 v[0:1], s[6:7], v1, s7, v[0:1]
	v_mov_b32_e32 v1, v2
	s_cbranch_scc1 .LBB85_120
.LBB85_121:
	s_cbranch_execnz .LBB85_124
.LBB85_122:
	s_waitcnt lgkmcnt(0)
	v_mul_hi_u32 v0, s9, v3
	s_andn2_b64 vcc, exec, s[34:35]
	v_add_u32_e32 v0, v3, v0
	v_lshrrev_b32_e32 v1, s10, v0
	v_mul_lo_u32 v0, v1, s8
	v_sub_u32_e32 v0, v3, v0
	v_mul_lo_u32 v0, v0, s28
	s_cbranch_vccnz .LBB85_124
; %bb.123:
	v_mul_hi_u32 v2, s30, v1
	v_add_u32_e32 v2, v1, v2
	v_lshrrev_b32_e32 v2, s31, v2
	v_mul_lo_u32 v2, v2, s11
	v_sub_u32_e32 v1, v1, v2
	v_mad_u64_u32 v[0:1], s[0:1], v1, s29, v[0:1]
.LBB85_124:
	s_waitcnt lgkmcnt(0)
	v_mov_b32_e32 v1, s47
	global_store_dword v0, v1, s[26:27]
	s_or_b64 exec, exec, s[40:41]
                                        ; implicit-def: $vgpr5
                                        ; implicit-def: $vgpr3
	s_andn2_saveexec_b64 s[0:1], s[24:25]
	s_cbranch_execz .LBB85_101
	s_branch .LBB85_8
	.section	.rodata,"a",@progbits
	.p2align	6, 0x0
	.amdhsa_kernel _ZN2at6native32elementwise_kernel_manual_unrollILi128ELi4EZNS0_22gpu_kernel_impl_nocastINS0_11FillFunctorIN3c107complexINS4_8BFloat16EEEEEEEvRNS_18TensorIteratorBaseERKT_EUlibE_EEviT1_
		.amdhsa_group_segment_fixed_size 0
		.amdhsa_private_segment_fixed_size 0
		.amdhsa_kernarg_size 288
		.amdhsa_user_sgpr_count 6
		.amdhsa_user_sgpr_private_segment_buffer 1
		.amdhsa_user_sgpr_dispatch_ptr 0
		.amdhsa_user_sgpr_queue_ptr 0
		.amdhsa_user_sgpr_kernarg_segment_ptr 1
		.amdhsa_user_sgpr_dispatch_id 0
		.amdhsa_user_sgpr_flat_scratch_init 0
		.amdhsa_user_sgpr_private_segment_size 0
		.amdhsa_uses_dynamic_stack 0
		.amdhsa_system_sgpr_private_segment_wavefront_offset 0
		.amdhsa_system_sgpr_workgroup_id_x 1
		.amdhsa_system_sgpr_workgroup_id_y 0
		.amdhsa_system_sgpr_workgroup_id_z 0
		.amdhsa_system_sgpr_workgroup_info 0
		.amdhsa_system_vgpr_workitem_id 0
		.amdhsa_next_free_vgpr 12
		.amdhsa_next_free_sgpr 53
		.amdhsa_reserve_vcc 1
		.amdhsa_reserve_flat_scratch 0
		.amdhsa_float_round_mode_32 0
		.amdhsa_float_round_mode_16_64 0
		.amdhsa_float_denorm_mode_32 3
		.amdhsa_float_denorm_mode_16_64 3
		.amdhsa_dx10_clamp 1
		.amdhsa_ieee_mode 1
		.amdhsa_fp16_overflow 0
		.amdhsa_exception_fp_ieee_invalid_op 0
		.amdhsa_exception_fp_denorm_src 0
		.amdhsa_exception_fp_ieee_div_zero 0
		.amdhsa_exception_fp_ieee_overflow 0
		.amdhsa_exception_fp_ieee_underflow 0
		.amdhsa_exception_fp_ieee_inexact 0
		.amdhsa_exception_int_div_zero 0
	.end_amdhsa_kernel
	.section	.text._ZN2at6native32elementwise_kernel_manual_unrollILi128ELi4EZNS0_22gpu_kernel_impl_nocastINS0_11FillFunctorIN3c107complexINS4_8BFloat16EEEEEEEvRNS_18TensorIteratorBaseERKT_EUlibE_EEviT1_,"axG",@progbits,_ZN2at6native32elementwise_kernel_manual_unrollILi128ELi4EZNS0_22gpu_kernel_impl_nocastINS0_11FillFunctorIN3c107complexINS4_8BFloat16EEEEEEEvRNS_18TensorIteratorBaseERKT_EUlibE_EEviT1_,comdat
.Lfunc_end85:
	.size	_ZN2at6native32elementwise_kernel_manual_unrollILi128ELi4EZNS0_22gpu_kernel_impl_nocastINS0_11FillFunctorIN3c107complexINS4_8BFloat16EEEEEEEvRNS_18TensorIteratorBaseERKT_EUlibE_EEviT1_, .Lfunc_end85-_ZN2at6native32elementwise_kernel_manual_unrollILi128ELi4EZNS0_22gpu_kernel_impl_nocastINS0_11FillFunctorIN3c107complexINS4_8BFloat16EEEEEEEvRNS_18TensorIteratorBaseERKT_EUlibE_EEviT1_
                                        ; -- End function
	.set _ZN2at6native32elementwise_kernel_manual_unrollILi128ELi4EZNS0_22gpu_kernel_impl_nocastINS0_11FillFunctorIN3c107complexINS4_8BFloat16EEEEEEEvRNS_18TensorIteratorBaseERKT_EUlibE_EEviT1_.num_vgpr, 12
	.set _ZN2at6native32elementwise_kernel_manual_unrollILi128ELi4EZNS0_22gpu_kernel_impl_nocastINS0_11FillFunctorIN3c107complexINS4_8BFloat16EEEEEEEvRNS_18TensorIteratorBaseERKT_EUlibE_EEviT1_.num_agpr, 0
	.set _ZN2at6native32elementwise_kernel_manual_unrollILi128ELi4EZNS0_22gpu_kernel_impl_nocastINS0_11FillFunctorIN3c107complexINS4_8BFloat16EEEEEEEvRNS_18TensorIteratorBaseERKT_EUlibE_EEviT1_.numbered_sgpr, 53
	.set _ZN2at6native32elementwise_kernel_manual_unrollILi128ELi4EZNS0_22gpu_kernel_impl_nocastINS0_11FillFunctorIN3c107complexINS4_8BFloat16EEEEEEEvRNS_18TensorIteratorBaseERKT_EUlibE_EEviT1_.num_named_barrier, 0
	.set _ZN2at6native32elementwise_kernel_manual_unrollILi128ELi4EZNS0_22gpu_kernel_impl_nocastINS0_11FillFunctorIN3c107complexINS4_8BFloat16EEEEEEEvRNS_18TensorIteratorBaseERKT_EUlibE_EEviT1_.private_seg_size, 0
	.set _ZN2at6native32elementwise_kernel_manual_unrollILi128ELi4EZNS0_22gpu_kernel_impl_nocastINS0_11FillFunctorIN3c107complexINS4_8BFloat16EEEEEEEvRNS_18TensorIteratorBaseERKT_EUlibE_EEviT1_.uses_vcc, 1
	.set _ZN2at6native32elementwise_kernel_manual_unrollILi128ELi4EZNS0_22gpu_kernel_impl_nocastINS0_11FillFunctorIN3c107complexINS4_8BFloat16EEEEEEEvRNS_18TensorIteratorBaseERKT_EUlibE_EEviT1_.uses_flat_scratch, 0
	.set _ZN2at6native32elementwise_kernel_manual_unrollILi128ELi4EZNS0_22gpu_kernel_impl_nocastINS0_11FillFunctorIN3c107complexINS4_8BFloat16EEEEEEEvRNS_18TensorIteratorBaseERKT_EUlibE_EEviT1_.has_dyn_sized_stack, 0
	.set _ZN2at6native32elementwise_kernel_manual_unrollILi128ELi4EZNS0_22gpu_kernel_impl_nocastINS0_11FillFunctorIN3c107complexINS4_8BFloat16EEEEEEEvRNS_18TensorIteratorBaseERKT_EUlibE_EEviT1_.has_recursion, 0
	.set _ZN2at6native32elementwise_kernel_manual_unrollILi128ELi4EZNS0_22gpu_kernel_impl_nocastINS0_11FillFunctorIN3c107complexINS4_8BFloat16EEEEEEEvRNS_18TensorIteratorBaseERKT_EUlibE_EEviT1_.has_indirect_call, 0
	.section	.AMDGPU.csdata,"",@progbits
; Kernel info:
; codeLenInByte = 5004
; TotalNumSgprs: 57
; NumVgprs: 12
; ScratchSize: 0
; MemoryBound: 0
; FloatMode: 240
; IeeeMode: 1
; LDSByteSize: 0 bytes/workgroup (compile time only)
; SGPRBlocks: 7
; VGPRBlocks: 2
; NumSGPRsForWavesPerEU: 57
; NumVGPRsForWavesPerEU: 12
; Occupancy: 10
; WaveLimiterHint : 1
; COMPUTE_PGM_RSRC2:SCRATCH_EN: 0
; COMPUTE_PGM_RSRC2:USER_SGPR: 6
; COMPUTE_PGM_RSRC2:TRAP_HANDLER: 0
; COMPUTE_PGM_RSRC2:TGID_X_EN: 1
; COMPUTE_PGM_RSRC2:TGID_Y_EN: 0
; COMPUTE_PGM_RSRC2:TGID_Z_EN: 0
; COMPUTE_PGM_RSRC2:TIDIG_COMP_CNT: 0
	.section	.text._ZN2at6native32elementwise_kernel_manual_unrollILi128ELi4EZNS0_15gpu_kernel_implINS0_11FillFunctorIN3c107complexINS4_8BFloat16EEEEEEEvRNS_18TensorIteratorBaseERKT_EUlibE_EEviT1_,"axG",@progbits,_ZN2at6native32elementwise_kernel_manual_unrollILi128ELi4EZNS0_15gpu_kernel_implINS0_11FillFunctorIN3c107complexINS4_8BFloat16EEEEEEEvRNS_18TensorIteratorBaseERKT_EUlibE_EEviT1_,comdat
	.protected	_ZN2at6native32elementwise_kernel_manual_unrollILi128ELi4EZNS0_15gpu_kernel_implINS0_11FillFunctorIN3c107complexINS4_8BFloat16EEEEEEEvRNS_18TensorIteratorBaseERKT_EUlibE_EEviT1_ ; -- Begin function _ZN2at6native32elementwise_kernel_manual_unrollILi128ELi4EZNS0_15gpu_kernel_implINS0_11FillFunctorIN3c107complexINS4_8BFloat16EEEEEEEvRNS_18TensorIteratorBaseERKT_EUlibE_EEviT1_
	.globl	_ZN2at6native32elementwise_kernel_manual_unrollILi128ELi4EZNS0_15gpu_kernel_implINS0_11FillFunctorIN3c107complexINS4_8BFloat16EEEEEEEvRNS_18TensorIteratorBaseERKT_EUlibE_EEviT1_
	.p2align	8
	.type	_ZN2at6native32elementwise_kernel_manual_unrollILi128ELi4EZNS0_15gpu_kernel_implINS0_11FillFunctorIN3c107complexINS4_8BFloat16EEEEEEEvRNS_18TensorIteratorBaseERKT_EUlibE_EEviT1_,@function
_ZN2at6native32elementwise_kernel_manual_unrollILi128ELi4EZNS0_15gpu_kernel_implINS0_11FillFunctorIN3c107complexINS4_8BFloat16EEEEEEEvRNS_18TensorIteratorBaseERKT_EUlibE_EEviT1_: ; @_ZN2at6native32elementwise_kernel_manual_unrollILi128ELi4EZNS0_15gpu_kernel_implINS0_11FillFunctorIN3c107complexINS4_8BFloat16EEEEEEEvRNS_18TensorIteratorBaseERKT_EUlibE_EEviT1_
; %bb.0:
	s_load_dword s48, s[4:5], 0x0
	s_load_dwordx4 s[8:11], s[4:5], 0x8
	s_load_dword s33, s[4:5], 0x18
	v_lshl_or_b32 v16, s6, 9, v0
	v_or_b32_e32 v0, 0x180, v16
	s_waitcnt lgkmcnt(0)
	v_cmp_le_i32_e32 vcc, s48, v0
	s_mov_b64 s[4:5], 0
	s_mov_b64 s[0:1], 0
	s_and_saveexec_b64 s[2:3], vcc
	s_xor_b64 s[2:3], exec, s[2:3]
	s_cbranch_execz .LBB86_404
; %bb.1:
	s_lshl_b32 s52, s11, 16
	s_bfe_u32 s14, s11, 0x90007
	s_or_b32 s12, s14, s52
	s_bfe_u32 s0, s52, 0x80017
	s_cmpk_eq_i32 s0, 0xff
	s_cselect_b64 s[0:1], -1, 0
	s_bitcmp1_b32 s11, 6
	s_cselect_b64 s[6:7], -1, 0
	s_and_b32 s12, s12, 0x3f00ff
	s_cmp_lg_u32 s12, 0
	v_trunc_f32_e32 v4, s52
	s_cselect_b64 s[12:13], -1, 0
	v_mul_f32_e32 v0, 0x2f800000, v4
	s_and_b64 s[6:7], s[6:7], s[12:13]
	s_and_b32 s30, s52, 0x7fffffff
	v_floor_f32_e32 v0, v0
	v_mov_b32_e32 v1, v4
	s_cmp_lt_u32 s30, 0x43800000
	v_fmac_f32_e32 v1, 0xcf800000, v0
	v_cvt_u32_f32_e32 v7, v0
	v_cndmask_b32_e64 v0, 0, 1, s[6:7]
	s_cselect_b64 s[26:27], -1, 0
	s_cmp_gt_u32 s30, 0x3bffffff
	v_add_u32_e32 v15, s14, v0
	s_cselect_b64 s[24:25], -1, 0
	s_bfe_u32 s6, s11, 0x10004
	v_mov_b32_e32 v0, 0x46000000
	s_or_b32 s12, s52, s6
	v_add_f32_e64 v0, |s52|, v0
	s_add_i32 s6, s12, 0x487ffff
	v_readfirstlane_b32 s64, v0
	s_lshr_b32 s63, s6, 20
	s_and_b32 s6, s64, 0xff
	s_cmp_lg_u32 s6, 0
	s_cselect_b64 s[28:29], -1, 0
	s_lshr_b32 s6, s11, 8
	s_and_b32 s54, s6, 0x80
	s_cmp_gt_u32 s30, 0x477fffff
	s_cselect_b64 s[6:7], -1, 0
	s_cmp_lt_u32 s30, 0x47800000
	s_cselect_b64 s[20:21], -1, 0
	s_cmp_gt_u32 s30, 0x37ffffff
	s_cselect_b64 s[18:19], -1, 0
	s_bfe_u32 s13, s11, 0x10005
	v_mov_b32_e32 v0, 0x42800000
	s_or_b32 s31, s52, s13
	v_add_f32_e64 v0, |s52|, v0
	s_add_i32 s13, s31, 0x88fffff
	v_readfirstlane_b32 s62, v0
	s_lshr_b32 s60, s13, 21
	s_and_b32 s13, s62, 0xff
	s_cmp_lg_u32 s13, 0
	s_cselect_b64 s[22:23], -1, 0
	s_cmp_gt_u32 s30, 0x43efffff
	s_cselect_b64 s[14:15], -1, 0
	s_cmp_lt_u32 s30, 0x3c800000
	s_cselect_b64 s[16:17], -1, 0
	s_add_i32 s12, s12, 0x407ffff
	s_lshr_b32 s13, s12, 20
	s_and_b32 s12, s12, 0xff00000
	s_cmp_lg_u32 s12, 0x7f00000
	s_cselect_b32 s58, s13, 0x7e
	s_cmp_lt_u32 s30, 0x38800000
	s_cselect_b64 s[12:13], -1, 0
	s_add_i32 s31, s31, 0x80fffff
	s_lshr_b32 s55, s31, 21
	s_cmp_gt_u32 s30, 0x7f800000
	s_movk_i32 s30, 0x7f
	s_cselect_b32 s61, s30, 0x7e
	s_movk_i32 s30, 0x7c
	s_mov_b32 s34, 0x2f800000
	s_cselect_b32 s57, 0x7f, s30
	s_and_b32 s30, s11, 0x7fff7fff
	s_cmp_lg_u32 s30, 0
	v_mul_f32_e64 v8, |v4|, s34
	s_mov_b32 s35, 0xcf800000
	s_cselect_b64 s[30:31], -1, 0
	s_and_b32 s53, s11, 0xffff0000
	v_floor_f32_e32 v8, v8
	v_cvt_f16_f32_e32 v11, s52
	v_cvt_f16_f32_sdwa v5, s53 dst_sel:WORD_1 dst_unused:UNUSED_PAD src0_sel:DWORD
	v_fma_f32 v9, v8, s35, |v4|
	v_mov_b32_e32 v0, 0x46800000
	v_cvt_u32_f32_e32 v9, v9
	v_add_f32_e64 v0, |s52|, v0
	v_cvt_u32_f32_e32 v8, v8
	v_readfirstlane_b32 s59, v0
	v_mov_b32_e32 v0, 0x43000000
	v_add_f32_e64 v0, |s52|, v0
	v_or_b32_e32 v12, v5, v11
	v_ashrrev_i32_e32 v5, 31, v4
	v_cvt_u32_f32_e32 v6, v1
	v_cvt_u32_f32_e32 v14, s52
	v_readfirstlane_b32 s56, v0
	v_cvt_f64_f32_e32 v[0:1], s52
	v_cvt_f64_f32_e32 v[2:3], s53
	v_xor_b32_e32 v4, v9, v5
	v_cvt_i32_f32_e32 v10, s52
	v_xor_b32_e32 v8, v8, v5
	v_sub_co_u32_e32 v4, vcc, v4, v5
	v_subb_co_u32_e32 v5, vcc, v8, v5, vcc
	v_cndmask_b32_e64 v13, 0, 1, s[30:31]
	v_cmp_gt_i32_e32 vcc, s48, v16
	s_mov_b64 s[36:37], -1
	s_mov_b64 s[38:39], 0
	s_mov_b64 s[30:31], 0
	s_and_saveexec_b64 s[34:35], vcc
	s_cbranch_execz .LBB86_100
; %bb.2:
	v_mul_lo_u32 v8, v16, s10
	v_mov_b32_e32 v9, s9
	s_and_b32 s42, s33, 0xff
	s_cmp_lt_i32 s42, 11
	v_ashrrev_i32_e32 v17, 31, v8
	v_add_co_u32_e32 v8, vcc, s8, v8
	v_addc_co_u32_e32 v9, vcc, v9, v17, vcc
	s_cbranch_scc1 .LBB86_9
; %bb.3:
	s_and_b32 s43, 0xffff, s42
	s_cmp_gt_i32 s43, 25
	s_cbranch_scc0 .LBB86_12
; %bb.4:
	s_cmp_gt_i32 s43, 28
	s_cbranch_scc0 .LBB86_13
; %bb.5:
	s_cmp_gt_i32 s43, 43
	s_cbranch_scc0 .LBB86_14
; %bb.6:
	s_cmp_gt_i32 s43, 45
	s_cbranch_scc0 .LBB86_15
; %bb.7:
	s_mov_b64 s[40:41], 0
	s_mov_b64 s[30:31], -1
	s_cmp_eq_u32 s43, 46
	s_mov_b64 s[36:37], 0
	s_cbranch_scc0 .LBB86_16
; %bb.8:
	v_mov_b32_e32 v17, s11
	global_store_dword v[8:9], v17, off
	s_mov_b64 s[36:37], -1
	s_mov_b64 s[30:31], 0
	s_branch .LBB86_16
.LBB86_9:
	s_mov_b64 s[36:37], 0
	s_cbranch_execnz .LBB86_60
.LBB86_10:
	s_andn2_b64 vcc, exec, s[36:37]
	s_cbranch_vccnz .LBB86_98
.LBB86_11:
	v_add_u32_e32 v16, 0x80, v16
	s_mov_b64 s[36:37], -1
	s_branch .LBB86_99
.LBB86_12:
	s_mov_b64 s[36:37], 0
	s_cbranch_execnz .LBB86_38
	s_branch .LBB86_59
.LBB86_13:
	s_mov_b64 s[40:41], -1
	s_mov_b64 s[36:37], 0
	s_branch .LBB86_24
.LBB86_14:
	s_mov_b64 s[40:41], -1
	s_mov_b64 s[36:37], 0
	s_branch .LBB86_20
.LBB86_15:
	s_mov_b64 s[40:41], -1
	s_mov_b64 s[36:37], 0
.LBB86_16:
	s_and_b64 vcc, exec, s[40:41]
	s_cbranch_vccz .LBB86_19
; %bb.17:
	s_cmp_eq_u32 s43, 44
	s_mov_b64 s[30:31], -1
	s_cbranch_scc0 .LBB86_19
; %bb.18:
	v_mov_b32_e32 v17, 0xffff
	v_cndmask_b32_e64 v17, v15, v17, s[0:1]
	global_store_byte v[8:9], v17, off
	s_mov_b64 s[36:37], -1
	s_mov_b64 s[30:31], 0
.LBB86_19:
	s_mov_b64 s[40:41], 0
.LBB86_20:
	s_and_b64 vcc, exec, s[40:41]
	s_cbranch_vccz .LBB86_23
; %bb.21:
	s_cmp_eq_u32 s43, 29
	s_mov_b64 s[30:31], -1
	s_cbranch_scc0 .LBB86_23
; %bb.22:
	global_store_dwordx2 v[8:9], v[6:7], off
	s_mov_b64 s[36:37], -1
	s_mov_b64 s[30:31], 0
.LBB86_23:
	s_mov_b64 s[40:41], 0
.LBB86_24:
	s_and_b64 vcc, exec, s[40:41]
	s_cbranch_vccz .LBB86_37
; %bb.25:
	s_cmp_lt_i32 s43, 27
	s_mov_b64 s[36:37], -1
	s_cbranch_scc1 .LBB86_31
; %bb.26:
	s_cmp_gt_i32 s43, 27
	s_cbranch_scc0 .LBB86_28
; %bb.27:
	s_mov_b64 s[36:37], 0
	global_store_dword v[8:9], v14, off
.LBB86_28:
	s_andn2_b64 vcc, exec, s[36:37]
	s_cbranch_vccnz .LBB86_30
; %bb.29:
	global_store_short v[8:9], v14, off
.LBB86_30:
	s_mov_b64 s[36:37], 0
.LBB86_31:
	s_andn2_b64 vcc, exec, s[36:37]
	s_cbranch_vccnz .LBB86_36
; %bb.32:
	s_andn2_b64 vcc, exec, s[26:27]
	s_movk_i32 s36, 0x80
	s_cbranch_vccnz .LBB86_35
; %bb.33:
	s_or_b64 s[36:37], s[24:25], s[28:29]
	s_andn2_b64 vcc, exec, s[36:37]
	s_mov_b32 s36, 0
	s_cbranch_vccnz .LBB86_35
; %bb.34:
	s_and_b64 s[36:37], s[24:25], exec
	s_cselect_b32 s36, s63, s64
	s_or_b32 s36, s36, s54
.LBB86_35:
	v_mov_b32_e32 v17, s36
	global_store_byte v[8:9], v17, off
.LBB86_36:
	s_mov_b64 s[36:37], -1
.LBB86_37:
	s_branch .LBB86_59
.LBB86_38:
	s_cmp_gt_i32 s43, 22
	s_mov_b64 s[40:41], -1
	s_cbranch_scc0 .LBB86_51
; %bb.39:
	s_cmp_lt_i32 s43, 24
	s_mov_b64 s[36:37], -1
	s_cbranch_scc1 .LBB86_48
; %bb.40:
	s_cmp_gt_i32 s43, 24
	s_cbranch_scc0 .LBB86_45
; %bb.41:
	s_andn2_b64 vcc, exec, s[20:21]
	s_movk_i32 s36, 0x80
	s_cbranch_vccnz .LBB86_44
; %bb.42:
	s_or_b64 s[36:37], s[18:19], s[22:23]
	s_andn2_b64 vcc, exec, s[36:37]
	s_mov_b32 s36, 0
	s_cbranch_vccnz .LBB86_44
; %bb.43:
	s_and_b64 s[36:37], s[18:19], exec
	s_cselect_b32 s36, s60, s62
	s_or_b32 s36, s36, s54
.LBB86_44:
	v_mov_b32_e32 v17, s36
	s_mov_b64 s[36:37], 0
	global_store_byte v[8:9], v17, off
.LBB86_45:
	s_and_b64 vcc, exec, s[36:37]
	s_cbranch_vccz .LBB86_47
; %bb.46:
	s_and_b64 s[36:37], s[16:17], exec
	s_cselect_b32 s40, s59, s58
	s_and_b64 s[36:37], s[14:15], exec
	s_cselect_b32 s36, s61, s40
	s_or_b32 s36, s36, s54
	v_mov_b32_e32 v17, s36
	global_store_byte v[8:9], v17, off
.LBB86_47:
	s_mov_b64 s[36:37], 0
.LBB86_48:
	s_andn2_b64 vcc, exec, s[36:37]
	s_cbranch_vccnz .LBB86_50
; %bb.49:
	s_and_b64 s[36:37], s[12:13], exec
	s_cselect_b32 s40, s56, s55
	s_and_b64 s[36:37], s[6:7], exec
	s_cselect_b32 s36, s57, s40
	s_or_b32 s36, s36, s54
	v_mov_b32_e32 v17, s36
	global_store_byte v[8:9], v17, off
.LBB86_50:
	s_mov_b64 s[40:41], 0
	s_mov_b64 s[36:37], -1
.LBB86_51:
	s_andn2_b64 vcc, exec, s[40:41]
	s_cbranch_vccnz .LBB86_59
; %bb.52:
	s_cmp_gt_i32 s43, 14
	s_mov_b64 s[40:41], -1
	s_cbranch_scc0 .LBB86_56
; %bb.53:
	s_cmp_eq_u32 s43, 15
	s_mov_b64 s[30:31], -1
	s_cbranch_scc0 .LBB86_55
; %bb.54:
	v_mov_b32_e32 v17, s11
	global_store_short v[8:9], v17, off
	s_mov_b64 s[36:37], -1
	s_mov_b64 s[30:31], 0
.LBB86_55:
	s_mov_b64 s[40:41], 0
.LBB86_56:
	s_and_b64 vcc, exec, s[40:41]
	s_cbranch_vccz .LBB86_59
; %bb.57:
	s_cmp_eq_u32 s43, 11
	s_mov_b64 s[30:31], -1
	s_cbranch_scc0 .LBB86_59
; %bb.58:
	s_mov_b64 s[36:37], -1
	s_mov_b64 s[30:31], 0
	global_store_byte v[8:9], v13, off
.LBB86_59:
	s_branch .LBB86_10
.LBB86_60:
	s_and_b32 s40, 0xffff, s42
	s_cmp_lt_i32 s40, 5
	s_mov_b64 s[36:37], -1
	s_cbranch_scc1 .LBB86_81
; %bb.61:
	s_cmp_lt_i32 s40, 8
	s_cbranch_scc1 .LBB86_71
; %bb.62:
	s_cmp_lt_i32 s40, 9
	s_cbranch_scc1 .LBB86_68
; %bb.63:
	s_cmp_gt_i32 s40, 9
	s_cbranch_scc0 .LBB86_65
; %bb.64:
	global_store_dwordx4 v[8:9], v[0:3], off
	s_mov_b64 s[36:37], 0
.LBB86_65:
	s_andn2_b64 vcc, exec, s[36:37]
	s_cbranch_vccnz .LBB86_67
; %bb.66:
	v_mov_b32_e32 v17, s52
	v_mov_b32_e32 v18, s53
	global_store_dwordx2 v[8:9], v[17:18], off
.LBB86_67:
	s_mov_b64 s[36:37], 0
.LBB86_68:
	s_andn2_b64 vcc, exec, s[36:37]
	s_cbranch_vccnz .LBB86_70
; %bb.69:
	global_store_dword v[8:9], v12, off
.LBB86_70:
	s_mov_b64 s[36:37], 0
.LBB86_71:
	s_andn2_b64 vcc, exec, s[36:37]
	s_cbranch_vccnz .LBB86_80
; %bb.72:
	s_cmp_lt_i32 s40, 6
	s_mov_b64 s[36:37], -1
	s_cbranch_scc1 .LBB86_78
; %bb.73:
	s_cmp_gt_i32 s40, 6
	s_cbranch_scc0 .LBB86_75
; %bb.74:
	global_store_dwordx2 v[8:9], v[0:1], off
	s_mov_b64 s[36:37], 0
.LBB86_75:
	s_andn2_b64 vcc, exec, s[36:37]
	s_cbranch_vccnz .LBB86_77
; %bb.76:
	v_mov_b32_e32 v17, s52
	global_store_dword v[8:9], v17, off
.LBB86_77:
	s_mov_b64 s[36:37], 0
.LBB86_78:
	s_andn2_b64 vcc, exec, s[36:37]
	s_cbranch_vccnz .LBB86_80
; %bb.79:
	global_store_short v[8:9], v11, off
.LBB86_80:
	s_mov_b64 s[36:37], 0
.LBB86_81:
	s_andn2_b64 vcc, exec, s[36:37]
	s_cbranch_vccnz .LBB86_97
; %bb.82:
	s_cmp_lt_i32 s40, 2
	s_mov_b64 s[36:37], -1
	s_cbranch_scc1 .LBB86_92
; %bb.83:
	s_cmp_lt_i32 s40, 3
	s_cbranch_scc1 .LBB86_89
; %bb.84:
	s_cmp_gt_i32 s40, 3
	s_cbranch_scc0 .LBB86_86
; %bb.85:
	global_store_dwordx2 v[8:9], v[4:5], off
	s_mov_b64 s[36:37], 0
.LBB86_86:
	s_andn2_b64 vcc, exec, s[36:37]
	s_cbranch_vccnz .LBB86_88
; %bb.87:
	global_store_dword v[8:9], v10, off
.LBB86_88:
	s_mov_b64 s[36:37], 0
.LBB86_89:
	s_andn2_b64 vcc, exec, s[36:37]
	s_cbranch_vccnz .LBB86_91
; %bb.90:
	global_store_short v[8:9], v10, off
.LBB86_91:
	s_mov_b64 s[36:37], 0
.LBB86_92:
	s_andn2_b64 vcc, exec, s[36:37]
	s_cbranch_vccnz .LBB86_97
; %bb.93:
	s_cmp_gt_i32 s40, 0
	s_mov_b64 s[36:37], -1
	s_cbranch_scc0 .LBB86_95
; %bb.94:
	global_store_byte v[8:9], v10, off
	s_mov_b64 s[36:37], 0
.LBB86_95:
	s_andn2_b64 vcc, exec, s[36:37]
	s_cbranch_vccnz .LBB86_97
; %bb.96:
	global_store_byte v[8:9], v4, off
.LBB86_97:
	s_branch .LBB86_11
.LBB86_98:
	s_mov_b64 s[36:37], 0
                                        ; implicit-def: $vgpr16
.LBB86_99:
	s_and_b64 s[30:31], s[30:31], exec
	s_orn2_b64 s[36:37], s[36:37], exec
.LBB86_100:
	s_or_b64 exec, exec, s[34:35]
	s_mov_b64 s[40:41], 0
                                        ; implicit-def: $sgpr65
                                        ; implicit-def: $vgpr8_vgpr9
	s_and_saveexec_b64 s[34:35], s[36:37]
	s_cbranch_execz .LBB86_109
; %bb.101:
	v_cmp_gt_i32_e32 vcc, s48, v16
	s_mov_b64 s[42:43], -1
	s_mov_b64 s[36:37], s[30:31]
	s_and_saveexec_b64 s[38:39], vcc
	s_cbranch_execz .LBB86_204
; %bb.102:
	v_mul_lo_u32 v8, v16, s10
	v_mov_b32_e32 v9, s9
	s_and_b32 s44, s33, 0xff
	s_cmp_lt_i32 s44, 11
	v_ashrrev_i32_e32 v17, 31, v8
	v_add_co_u32_e32 v8, vcc, s8, v8
	v_addc_co_u32_e32 v9, vcc, v9, v17, vcc
	s_cbranch_scc1 .LBB86_112
; %bb.103:
	s_and_b32 s45, 0xffff, s44
	s_cmp_gt_i32 s45, 25
	s_cbranch_scc0 .LBB86_115
; %bb.104:
	s_cmp_gt_i32 s45, 28
	s_cbranch_scc0 .LBB86_116
; %bb.105:
	;; [unrolled: 3-line block ×4, first 2 shown]
	s_mov_b64 s[42:43], 0
	s_mov_b64 s[36:37], -1
	s_cmp_eq_u32 s45, 46
	s_cbranch_scc0 .LBB86_119
; %bb.108:
	v_mov_b32_e32 v17, s11
	global_store_dword v[8:9], v17, off
	s_mov_b64 s[40:41], -1
	s_mov_b64 s[36:37], 0
	s_branch .LBB86_119
.LBB86_109:
	s_or_b64 exec, exec, s[34:35]
	s_mov_b64 s[0:1], 0
	s_and_saveexec_b64 s[6:7], s[30:31]
	s_cbranch_execnz .LBB86_364
.LBB86_110:
	s_or_b64 exec, exec, s[6:7]
	s_and_saveexec_b64 s[6:7], s[38:39]
	s_xor_b64 s[6:7], exec, s[6:7]
	s_cbranch_execz .LBB86_365
.LBB86_111:
	global_store_byte v[8:9], v13, off
	s_or_b64 exec, exec, s[6:7]
	s_and_saveexec_b64 s[6:7], s[40:41]
	s_xor_b64 s[6:7], exec, s[6:7]
	s_cbranch_execz .LBB86_403
	s_branch .LBB86_366
.LBB86_112:
	s_mov_b64 s[36:37], s[30:31]
	s_and_b64 vcc, exec, s[42:43]
	s_cbranch_vccnz .LBB86_164
.LBB86_113:
	s_andn2_b64 vcc, exec, s[40:41]
	s_cbranch_vccnz .LBB86_202
.LBB86_114:
	v_add_u32_e32 v16, 0x80, v16
	s_mov_b64 s[40:41], -1
	s_branch .LBB86_203
.LBB86_115:
	s_mov_b64 s[36:37], s[30:31]
	s_branch .LBB86_141
.LBB86_116:
	s_mov_b64 s[36:37], s[30:31]
	s_branch .LBB86_127
.LBB86_117:
	s_mov_b64 s[36:37], s[30:31]
	s_branch .LBB86_123
.LBB86_118:
	s_mov_b64 s[36:37], s[30:31]
.LBB86_119:
	s_and_b64 vcc, exec, s[42:43]
	s_cbranch_vccz .LBB86_122
; %bb.120:
	s_cmp_eq_u32 s45, 44
	s_mov_b64 s[36:37], -1
	s_cbranch_scc0 .LBB86_122
; %bb.121:
	v_mov_b32_e32 v17, 0xffff
	v_cndmask_b32_e64 v17, v15, v17, s[0:1]
	s_mov_b64 s[40:41], -1
	s_mov_b64 s[36:37], 0
	global_store_byte v[8:9], v17, off
.LBB86_122:
	s_mov_b64 s[42:43], 0
.LBB86_123:
	s_and_b64 vcc, exec, s[42:43]
	s_cbranch_vccz .LBB86_126
; %bb.124:
	s_cmp_eq_u32 s45, 29
	s_mov_b64 s[36:37], -1
	s_cbranch_scc0 .LBB86_126
; %bb.125:
	global_store_dwordx2 v[8:9], v[6:7], off
	s_mov_b64 s[40:41], -1
	s_mov_b64 s[36:37], 0
.LBB86_126:
	s_mov_b64 s[42:43], 0
.LBB86_127:
	s_and_b64 vcc, exec, s[42:43]
	s_cbranch_vccz .LBB86_140
; %bb.128:
	s_cmp_lt_i32 s45, 27
	s_mov_b64 s[40:41], -1
	s_cbranch_scc1 .LBB86_134
; %bb.129:
	s_cmp_gt_i32 s45, 27
	s_cbranch_scc0 .LBB86_131
; %bb.130:
	s_mov_b64 s[40:41], 0
	global_store_dword v[8:9], v14, off
.LBB86_131:
	s_andn2_b64 vcc, exec, s[40:41]
	s_cbranch_vccnz .LBB86_133
; %bb.132:
	global_store_short v[8:9], v14, off
.LBB86_133:
	s_mov_b64 s[40:41], 0
.LBB86_134:
	s_andn2_b64 vcc, exec, s[40:41]
	s_cbranch_vccnz .LBB86_139
; %bb.135:
	s_andn2_b64 vcc, exec, s[26:27]
	s_movk_i32 s40, 0x80
	s_cbranch_vccnz .LBB86_138
; %bb.136:
	s_or_b64 s[40:41], s[24:25], s[28:29]
	s_andn2_b64 vcc, exec, s[40:41]
	s_mov_b32 s40, 0
	s_cbranch_vccnz .LBB86_138
; %bb.137:
	s_and_b64 s[40:41], s[24:25], exec
	s_cselect_b32 s40, s63, s64
	s_or_b32 s40, s40, s54
.LBB86_138:
	v_mov_b32_e32 v17, s40
	global_store_byte v[8:9], v17, off
.LBB86_139:
	s_mov_b64 s[40:41], -1
.LBB86_140:
	s_mov_b64 s[42:43], 0
.LBB86_141:
	s_and_b64 vcc, exec, s[42:43]
	s_cbranch_vccz .LBB86_163
; %bb.142:
	s_cmp_gt_i32 s45, 22
	s_mov_b64 s[42:43], -1
	s_cbranch_scc0 .LBB86_155
; %bb.143:
	s_cmp_lt_i32 s45, 24
	s_mov_b64 s[40:41], -1
	s_cbranch_scc1 .LBB86_152
; %bb.144:
	s_cmp_gt_i32 s45, 24
	s_cbranch_scc0 .LBB86_149
; %bb.145:
	s_andn2_b64 vcc, exec, s[20:21]
	s_movk_i32 s40, 0x80
	s_cbranch_vccnz .LBB86_148
; %bb.146:
	s_or_b64 s[40:41], s[18:19], s[22:23]
	s_andn2_b64 vcc, exec, s[40:41]
	s_mov_b32 s40, 0
	s_cbranch_vccnz .LBB86_148
; %bb.147:
	s_and_b64 s[40:41], s[18:19], exec
	s_cselect_b32 s40, s60, s62
	s_or_b32 s40, s40, s54
.LBB86_148:
	v_mov_b32_e32 v17, s40
	s_mov_b64 s[40:41], 0
	global_store_byte v[8:9], v17, off
.LBB86_149:
	s_and_b64 vcc, exec, s[40:41]
	s_cbranch_vccz .LBB86_151
; %bb.150:
	s_and_b64 s[40:41], s[16:17], exec
	s_cselect_b32 s42, s59, s58
	s_and_b64 s[40:41], s[14:15], exec
	s_cselect_b32 s40, s61, s42
	s_or_b32 s40, s40, s54
	v_mov_b32_e32 v17, s40
	global_store_byte v[8:9], v17, off
.LBB86_151:
	s_mov_b64 s[40:41], 0
.LBB86_152:
	s_andn2_b64 vcc, exec, s[40:41]
	s_cbranch_vccnz .LBB86_154
; %bb.153:
	s_and_b64 s[40:41], s[12:13], exec
	s_cselect_b32 s42, s56, s55
	s_and_b64 s[40:41], s[6:7], exec
	s_cselect_b32 s40, s57, s42
	s_or_b32 s40, s40, s54
	v_mov_b32_e32 v17, s40
	global_store_byte v[8:9], v17, off
.LBB86_154:
	s_mov_b64 s[42:43], 0
	s_mov_b64 s[40:41], -1
.LBB86_155:
	s_andn2_b64 vcc, exec, s[42:43]
	s_cbranch_vccnz .LBB86_163
; %bb.156:
	s_cmp_gt_i32 s45, 14
	s_mov_b64 s[42:43], -1
	s_cbranch_scc0 .LBB86_160
; %bb.157:
	s_cmp_eq_u32 s45, 15
	s_mov_b64 s[36:37], -1
	s_cbranch_scc0 .LBB86_159
; %bb.158:
	v_mov_b32_e32 v17, s11
	global_store_short v[8:9], v17, off
	s_mov_b64 s[40:41], -1
	s_mov_b64 s[36:37], 0
.LBB86_159:
	s_mov_b64 s[42:43], 0
.LBB86_160:
	s_and_b64 vcc, exec, s[42:43]
	s_cbranch_vccz .LBB86_163
; %bb.161:
	s_cmp_eq_u32 s45, 11
	s_mov_b64 s[36:37], -1
	s_cbranch_scc0 .LBB86_163
; %bb.162:
	s_mov_b64 s[40:41], -1
	s_mov_b64 s[36:37], 0
	global_store_byte v[8:9], v13, off
.LBB86_163:
	s_branch .LBB86_113
.LBB86_164:
	s_and_b32 s42, 0xffff, s44
	s_cmp_lt_i32 s42, 5
	s_mov_b64 s[40:41], -1
	s_cbranch_scc1 .LBB86_185
; %bb.165:
	s_cmp_lt_i32 s42, 8
	s_cbranch_scc1 .LBB86_175
; %bb.166:
	s_cmp_lt_i32 s42, 9
	s_cbranch_scc1 .LBB86_172
; %bb.167:
	s_cmp_gt_i32 s42, 9
	s_cbranch_scc0 .LBB86_169
; %bb.168:
	s_mov_b64 s[40:41], 0
	global_store_dwordx4 v[8:9], v[0:3], off
.LBB86_169:
	s_andn2_b64 vcc, exec, s[40:41]
	s_cbranch_vccnz .LBB86_171
; %bb.170:
	v_mov_b32_e32 v17, s52
	v_mov_b32_e32 v18, s53
	global_store_dwordx2 v[8:9], v[17:18], off
.LBB86_171:
	s_mov_b64 s[40:41], 0
.LBB86_172:
	s_andn2_b64 vcc, exec, s[40:41]
	s_cbranch_vccnz .LBB86_174
; %bb.173:
	global_store_dword v[8:9], v12, off
.LBB86_174:
	s_mov_b64 s[40:41], 0
.LBB86_175:
	s_andn2_b64 vcc, exec, s[40:41]
	s_cbranch_vccnz .LBB86_184
; %bb.176:
	s_cmp_lt_i32 s42, 6
	s_mov_b64 s[40:41], -1
	s_cbranch_scc1 .LBB86_182
; %bb.177:
	s_cmp_gt_i32 s42, 6
	s_cbranch_scc0 .LBB86_179
; %bb.178:
	s_mov_b64 s[40:41], 0
	global_store_dwordx2 v[8:9], v[0:1], off
.LBB86_179:
	s_andn2_b64 vcc, exec, s[40:41]
	s_cbranch_vccnz .LBB86_181
; %bb.180:
	v_mov_b32_e32 v17, s52
	global_store_dword v[8:9], v17, off
.LBB86_181:
	s_mov_b64 s[40:41], 0
.LBB86_182:
	s_andn2_b64 vcc, exec, s[40:41]
	s_cbranch_vccnz .LBB86_184
; %bb.183:
	global_store_short v[8:9], v11, off
.LBB86_184:
	s_mov_b64 s[40:41], 0
.LBB86_185:
	s_andn2_b64 vcc, exec, s[40:41]
	s_cbranch_vccnz .LBB86_201
; %bb.186:
	s_cmp_lt_i32 s42, 2
	s_mov_b64 s[40:41], -1
	s_cbranch_scc1 .LBB86_196
; %bb.187:
	s_cmp_lt_i32 s42, 3
	s_cbranch_scc1 .LBB86_193
; %bb.188:
	s_cmp_gt_i32 s42, 3
	s_cbranch_scc0 .LBB86_190
; %bb.189:
	s_mov_b64 s[40:41], 0
	global_store_dwordx2 v[8:9], v[4:5], off
.LBB86_190:
	s_andn2_b64 vcc, exec, s[40:41]
	s_cbranch_vccnz .LBB86_192
; %bb.191:
	global_store_dword v[8:9], v10, off
.LBB86_192:
	s_mov_b64 s[40:41], 0
.LBB86_193:
	s_andn2_b64 vcc, exec, s[40:41]
	s_cbranch_vccnz .LBB86_195
; %bb.194:
	global_store_short v[8:9], v10, off
.LBB86_195:
	s_mov_b64 s[40:41], 0
.LBB86_196:
	s_andn2_b64 vcc, exec, s[40:41]
	s_cbranch_vccnz .LBB86_201
; %bb.197:
	s_cmp_gt_i32 s42, 0
	s_mov_b64 s[40:41], -1
	s_cbranch_scc0 .LBB86_199
; %bb.198:
	s_mov_b64 s[40:41], 0
	global_store_byte v[8:9], v10, off
.LBB86_199:
	s_andn2_b64 vcc, exec, s[40:41]
	s_cbranch_vccnz .LBB86_201
; %bb.200:
	global_store_byte v[8:9], v4, off
.LBB86_201:
	s_branch .LBB86_114
.LBB86_202:
	s_mov_b64 s[40:41], 0
                                        ; implicit-def: $vgpr16
.LBB86_203:
	s_andn2_b64 s[42:43], s[30:31], exec
	s_and_b64 s[36:37], s[36:37], exec
	s_or_b64 s[36:37], s[42:43], s[36:37]
	s_orn2_b64 s[42:43], s[40:41], exec
.LBB86_204:
	s_or_b64 exec, exec, s[38:39]
	s_mov_b64 s[44:45], 0
	s_mov_b64 s[40:41], 0
                                        ; implicit-def: $sgpr65
                                        ; implicit-def: $vgpr8_vgpr9
	s_and_saveexec_b64 s[38:39], s[42:43]
	s_cbranch_execz .LBB86_363
; %bb.205:
	v_cmp_gt_i32_e32 vcc, s48, v16
	s_mov_b64 s[46:47], -1
	s_mov_b64 s[42:43], s[36:37]
	s_and_saveexec_b64 s[40:41], vcc
	s_cbranch_execz .LBB86_306
; %bb.206:
	v_mul_lo_u32 v8, v16, s10
	v_mov_b32_e32 v9, s9
	s_and_b32 s49, s33, 0xff
	s_cmp_lt_i32 s49, 11
	v_ashrrev_i32_e32 v17, 31, v8
	v_add_co_u32_e32 v8, vcc, s8, v8
	v_addc_co_u32_e32 v9, vcc, v9, v17, vcc
	s_cbranch_scc1 .LBB86_213
; %bb.207:
	s_and_b32 s50, 0xffff, s49
	s_cmp_gt_i32 s50, 25
	s_cbranch_scc0 .LBB86_214
; %bb.208:
	s_cmp_gt_i32 s50, 28
	s_cbranch_scc0 .LBB86_215
; %bb.209:
	;; [unrolled: 3-line block ×4, first 2 shown]
	s_mov_b64 s[46:47], 0
	s_mov_b64 s[42:43], -1
	s_cmp_eq_u32 s50, 46
	s_cbranch_scc0 .LBB86_218
; %bb.212:
	v_mov_b32_e32 v17, s11
	global_store_dword v[8:9], v17, off
	s_mov_b64 s[44:45], -1
	s_mov_b64 s[42:43], 0
	s_branch .LBB86_218
.LBB86_213:
	s_mov_b64 s[42:43], s[36:37]
	s_branch .LBB86_263
.LBB86_214:
	s_mov_b64 s[42:43], s[36:37]
	s_branch .LBB86_240
.LBB86_215:
	s_mov_b64 s[42:43], s[36:37]
	s_branch .LBB86_226
.LBB86_216:
	s_mov_b64 s[42:43], s[36:37]
	s_branch .LBB86_222
.LBB86_217:
	s_mov_b64 s[42:43], s[36:37]
.LBB86_218:
	s_and_b64 vcc, exec, s[46:47]
	s_cbranch_vccz .LBB86_221
; %bb.219:
	s_cmp_eq_u32 s50, 44
	s_mov_b64 s[42:43], -1
	s_cbranch_scc0 .LBB86_221
; %bb.220:
	v_mov_b32_e32 v17, 0xffff
	v_cndmask_b32_e64 v17, v15, v17, s[0:1]
	s_mov_b64 s[44:45], -1
	s_mov_b64 s[42:43], 0
	global_store_byte v[8:9], v17, off
.LBB86_221:
	s_mov_b64 s[46:47], 0
.LBB86_222:
	s_and_b64 vcc, exec, s[46:47]
	s_cbranch_vccz .LBB86_225
; %bb.223:
	s_cmp_eq_u32 s50, 29
	s_mov_b64 s[42:43], -1
	s_cbranch_scc0 .LBB86_225
; %bb.224:
	global_store_dwordx2 v[8:9], v[6:7], off
	s_mov_b64 s[44:45], -1
	s_mov_b64 s[42:43], 0
.LBB86_225:
	s_mov_b64 s[46:47], 0
.LBB86_226:
	s_and_b64 vcc, exec, s[46:47]
	s_cbranch_vccz .LBB86_239
; %bb.227:
	s_cmp_lt_i32 s50, 27
	s_mov_b64 s[44:45], -1
	s_cbranch_scc1 .LBB86_233
; %bb.228:
	s_cmp_gt_i32 s50, 27
	s_cbranch_scc0 .LBB86_230
; %bb.229:
	s_mov_b64 s[44:45], 0
	global_store_dword v[8:9], v14, off
.LBB86_230:
	s_andn2_b64 vcc, exec, s[44:45]
	s_cbranch_vccnz .LBB86_232
; %bb.231:
	global_store_short v[8:9], v14, off
.LBB86_232:
	s_mov_b64 s[44:45], 0
.LBB86_233:
	s_andn2_b64 vcc, exec, s[44:45]
	s_cbranch_vccnz .LBB86_238
; %bb.234:
	s_andn2_b64 vcc, exec, s[26:27]
	s_movk_i32 s44, 0x80
	s_cbranch_vccnz .LBB86_237
; %bb.235:
	s_or_b64 s[44:45], s[24:25], s[28:29]
	s_andn2_b64 vcc, exec, s[44:45]
	s_mov_b32 s44, 0
	s_cbranch_vccnz .LBB86_237
; %bb.236:
	s_and_b64 s[44:45], s[24:25], exec
	s_cselect_b32 s44, s63, s64
	s_or_b32 s44, s44, s54
.LBB86_237:
	v_mov_b32_e32 v17, s44
	global_store_byte v[8:9], v17, off
.LBB86_238:
	s_mov_b64 s[44:45], -1
.LBB86_239:
	s_mov_b64 s[46:47], 0
.LBB86_240:
	s_and_b64 vcc, exec, s[46:47]
	s_cbranch_vccz .LBB86_262
; %bb.241:
	s_cmp_gt_i32 s50, 22
	s_mov_b64 s[46:47], -1
	s_cbranch_scc0 .LBB86_254
; %bb.242:
	s_cmp_lt_i32 s50, 24
	s_mov_b64 s[44:45], -1
	s_cbranch_scc1 .LBB86_251
; %bb.243:
	s_cmp_gt_i32 s50, 24
	s_cbranch_scc0 .LBB86_248
; %bb.244:
	s_andn2_b64 vcc, exec, s[20:21]
	s_movk_i32 s44, 0x80
	s_cbranch_vccnz .LBB86_247
; %bb.245:
	s_or_b64 s[44:45], s[18:19], s[22:23]
	s_andn2_b64 vcc, exec, s[44:45]
	s_mov_b32 s44, 0
	s_cbranch_vccnz .LBB86_247
; %bb.246:
	s_and_b64 s[44:45], s[18:19], exec
	s_cselect_b32 s44, s60, s62
	s_or_b32 s44, s44, s54
.LBB86_247:
	v_mov_b32_e32 v17, s44
	s_mov_b64 s[44:45], 0
	global_store_byte v[8:9], v17, off
.LBB86_248:
	s_and_b64 vcc, exec, s[44:45]
	s_cbranch_vccz .LBB86_250
; %bb.249:
	s_and_b64 s[44:45], s[16:17], exec
	s_cselect_b32 s46, s59, s58
	s_and_b64 s[44:45], s[14:15], exec
	s_cselect_b32 s44, s61, s46
	s_or_b32 s44, s44, s54
	v_mov_b32_e32 v17, s44
	global_store_byte v[8:9], v17, off
.LBB86_250:
	s_mov_b64 s[44:45], 0
.LBB86_251:
	s_andn2_b64 vcc, exec, s[44:45]
	s_cbranch_vccnz .LBB86_253
; %bb.252:
	s_and_b64 s[44:45], s[12:13], exec
	s_cselect_b32 s46, s56, s55
	s_and_b64 s[44:45], s[6:7], exec
	s_cselect_b32 s44, s57, s46
	s_or_b32 s44, s44, s54
	v_mov_b32_e32 v17, s44
	global_store_byte v[8:9], v17, off
.LBB86_253:
	s_mov_b64 s[46:47], 0
	s_mov_b64 s[44:45], -1
.LBB86_254:
	s_andn2_b64 vcc, exec, s[46:47]
	s_cbranch_vccnz .LBB86_262
; %bb.255:
	s_cmp_gt_i32 s50, 14
	s_mov_b64 s[46:47], -1
	s_cbranch_scc0 .LBB86_259
; %bb.256:
	s_cmp_eq_u32 s50, 15
	s_mov_b64 s[42:43], -1
	s_cbranch_scc0 .LBB86_258
; %bb.257:
	v_mov_b32_e32 v17, s11
	global_store_short v[8:9], v17, off
	s_mov_b64 s[44:45], -1
	s_mov_b64 s[42:43], 0
.LBB86_258:
	s_mov_b64 s[46:47], 0
.LBB86_259:
	s_and_b64 vcc, exec, s[46:47]
	s_cbranch_vccz .LBB86_262
; %bb.260:
	s_cmp_eq_u32 s50, 11
	s_mov_b64 s[42:43], -1
	s_cbranch_scc0 .LBB86_262
; %bb.261:
	s_mov_b64 s[44:45], -1
	s_mov_b64 s[42:43], 0
	global_store_byte v[8:9], v13, off
.LBB86_262:
	s_mov_b64 s[46:47], 0
.LBB86_263:
	s_and_b64 vcc, exec, s[46:47]
	s_cbranch_vccz .LBB86_302
; %bb.264:
	s_and_b32 s46, 0xffff, s49
	s_cmp_lt_i32 s46, 5
	s_mov_b64 s[44:45], -1
	s_cbranch_scc1 .LBB86_285
; %bb.265:
	s_cmp_lt_i32 s46, 8
	s_cbranch_scc1 .LBB86_275
; %bb.266:
	s_cmp_lt_i32 s46, 9
	s_cbranch_scc1 .LBB86_272
; %bb.267:
	s_cmp_gt_i32 s46, 9
	s_cbranch_scc0 .LBB86_269
; %bb.268:
	s_mov_b64 s[44:45], 0
	global_store_dwordx4 v[8:9], v[0:3], off
.LBB86_269:
	s_andn2_b64 vcc, exec, s[44:45]
	s_cbranch_vccnz .LBB86_271
; %bb.270:
	v_mov_b32_e32 v17, s52
	v_mov_b32_e32 v18, s53
	global_store_dwordx2 v[8:9], v[17:18], off
.LBB86_271:
	s_mov_b64 s[44:45], 0
.LBB86_272:
	s_andn2_b64 vcc, exec, s[44:45]
	s_cbranch_vccnz .LBB86_274
; %bb.273:
	global_store_dword v[8:9], v12, off
.LBB86_274:
	s_mov_b64 s[44:45], 0
.LBB86_275:
	s_andn2_b64 vcc, exec, s[44:45]
	s_cbranch_vccnz .LBB86_284
; %bb.276:
	s_cmp_lt_i32 s46, 6
	s_mov_b64 s[44:45], -1
	s_cbranch_scc1 .LBB86_282
; %bb.277:
	s_cmp_gt_i32 s46, 6
	s_cbranch_scc0 .LBB86_279
; %bb.278:
	s_mov_b64 s[44:45], 0
	global_store_dwordx2 v[8:9], v[0:1], off
.LBB86_279:
	s_andn2_b64 vcc, exec, s[44:45]
	s_cbranch_vccnz .LBB86_281
; %bb.280:
	v_mov_b32_e32 v17, s52
	global_store_dword v[8:9], v17, off
.LBB86_281:
	s_mov_b64 s[44:45], 0
.LBB86_282:
	s_andn2_b64 vcc, exec, s[44:45]
	s_cbranch_vccnz .LBB86_284
; %bb.283:
	global_store_short v[8:9], v11, off
.LBB86_284:
	s_mov_b64 s[44:45], 0
.LBB86_285:
	s_andn2_b64 vcc, exec, s[44:45]
	s_cbranch_vccnz .LBB86_301
; %bb.286:
	s_cmp_lt_i32 s46, 2
	s_mov_b64 s[44:45], -1
	s_cbranch_scc1 .LBB86_296
; %bb.287:
	s_cmp_lt_i32 s46, 3
	s_cbranch_scc1 .LBB86_293
; %bb.288:
	s_cmp_gt_i32 s46, 3
	s_cbranch_scc0 .LBB86_290
; %bb.289:
	s_mov_b64 s[44:45], 0
	global_store_dwordx2 v[8:9], v[4:5], off
.LBB86_290:
	s_andn2_b64 vcc, exec, s[44:45]
	s_cbranch_vccnz .LBB86_292
; %bb.291:
	global_store_dword v[8:9], v10, off
.LBB86_292:
	s_mov_b64 s[44:45], 0
.LBB86_293:
	s_andn2_b64 vcc, exec, s[44:45]
	s_cbranch_vccnz .LBB86_295
; %bb.294:
	global_store_short v[8:9], v10, off
.LBB86_295:
	s_mov_b64 s[44:45], 0
.LBB86_296:
	s_andn2_b64 vcc, exec, s[44:45]
	s_cbranch_vccnz .LBB86_301
; %bb.297:
	s_cmp_gt_i32 s46, 0
	s_mov_b64 s[44:45], -1
	s_cbranch_scc0 .LBB86_299
; %bb.298:
	s_mov_b64 s[44:45], 0
	global_store_byte v[8:9], v10, off
.LBB86_299:
	s_andn2_b64 vcc, exec, s[44:45]
	s_cbranch_vccnz .LBB86_301
; %bb.300:
	global_store_byte v[8:9], v4, off
.LBB86_301:
	s_mov_b64 s[44:45], -1
.LBB86_302:
	s_andn2_b64 vcc, exec, s[44:45]
	s_cbranch_vccnz .LBB86_304
; %bb.303:
	v_add_u32_e32 v16, 0x80, v16
	s_mov_b64 s[44:45], -1
	s_branch .LBB86_305
.LBB86_304:
	s_mov_b64 s[44:45], 0
                                        ; implicit-def: $vgpr16
.LBB86_305:
	s_andn2_b64 s[46:47], s[36:37], exec
	s_and_b64 s[42:43], s[42:43], exec
	s_or_b64 s[42:43], s[46:47], s[42:43]
	s_orn2_b64 s[46:47], s[44:45], exec
.LBB86_306:
	s_or_b64 exec, exec, s[40:41]
	s_mov_b64 s[44:45], 0
	s_mov_b64 s[50:51], 0
                                        ; implicit-def: $sgpr65
                                        ; implicit-def: $vgpr8_vgpr9
	s_and_saveexec_b64 s[40:41], s[46:47]
	s_cbranch_execz .LBB86_362
; %bb.307:
	v_cmp_gt_i32_e32 vcc, s48, v16
	s_mov_b64 s[48:49], 0
	s_mov_b64 s[46:47], s[42:43]
                                        ; implicit-def: $sgpr65
                                        ; implicit-def: $vgpr8_vgpr9
	s_and_saveexec_b64 s[44:45], vcc
	s_cbranch_execz .LBB86_361
; %bb.308:
	v_mul_lo_u32 v8, v16, s10
	v_mov_b32_e32 v9, s9
	s_and_b32 s65, s33, 0xff
	s_cmp_lt_i32 s65, 11
	v_ashrrev_i32_e32 v16, 31, v8
	v_add_co_u32_e32 v8, vcc, s8, v8
	v_addc_co_u32_e32 v9, vcc, v9, v16, vcc
	s_cbranch_scc1 .LBB86_358
; %bb.309:
	s_and_b32 s50, 0xffff, s65
	s_mov_b64 s[48:49], -1
	s_cmp_gt_i32 s50, 25
	s_mov_b64 s[46:47], s[42:43]
	s_cbranch_scc0 .LBB86_337
; %bb.310:
	s_cmp_gt_i32 s50, 28
	s_mov_b64 s[46:47], s[42:43]
	s_cbranch_scc0 .LBB86_324
; %bb.311:
	;; [unrolled: 4-line block ×4, first 2 shown]
	s_cmp_eq_u32 s50, 46
	s_mov_b64 s[46:47], -1
	s_cbranch_scc0 .LBB86_315
; %bb.314:
	v_mov_b32_e32 v16, s11
	global_store_dword v[8:9], v16, off
	s_mov_b64 s[46:47], 0
.LBB86_315:
	s_mov_b64 s[48:49], 0
.LBB86_316:
	s_and_b64 vcc, exec, s[48:49]
	s_cbranch_vccz .LBB86_319
; %bb.317:
	s_cmp_eq_u32 s50, 44
	s_mov_b64 s[46:47], -1
	s_cbranch_scc0 .LBB86_319
; %bb.318:
	v_mov_b32_e32 v16, 0xffff
	v_cndmask_b32_e64 v15, v15, v16, s[0:1]
	global_store_byte v[8:9], v15, off
	s_mov_b64 s[46:47], 0
.LBB86_319:
	s_mov_b64 s[48:49], 0
.LBB86_320:
	s_and_b64 vcc, exec, s[48:49]
	s_cbranch_vccz .LBB86_323
; %bb.321:
	s_cmp_eq_u32 s50, 29
	s_mov_b64 s[46:47], -1
	s_cbranch_scc0 .LBB86_323
; %bb.322:
	global_store_dwordx2 v[8:9], v[6:7], off
	s_mov_b64 s[46:47], 0
.LBB86_323:
	s_mov_b64 s[48:49], 0
.LBB86_324:
	s_and_b64 vcc, exec, s[48:49]
	s_cbranch_vccz .LBB86_336
; %bb.325:
	s_cmp_lt_i32 s50, 27
	s_mov_b64 s[0:1], -1
	s_cbranch_scc1 .LBB86_331
; %bb.326:
	s_cmp_gt_i32 s50, 27
	s_cbranch_scc0 .LBB86_328
; %bb.327:
	s_mov_b64 s[0:1], 0
	global_store_dword v[8:9], v14, off
.LBB86_328:
	s_andn2_b64 vcc, exec, s[0:1]
	s_cbranch_vccnz .LBB86_330
; %bb.329:
	global_store_short v[8:9], v14, off
.LBB86_330:
	s_mov_b64 s[0:1], 0
.LBB86_331:
	s_andn2_b64 vcc, exec, s[0:1]
	s_cbranch_vccnz .LBB86_336
; %bb.332:
	s_andn2_b64 vcc, exec, s[26:27]
	s_movk_i32 s0, 0x80
	s_cbranch_vccnz .LBB86_335
; %bb.333:
	s_or_b64 s[0:1], s[24:25], s[28:29]
	s_andn2_b64 vcc, exec, s[0:1]
	s_mov_b32 s0, 0
	s_cbranch_vccnz .LBB86_335
; %bb.334:
	s_and_b64 s[0:1], s[24:25], exec
	s_cselect_b32 s0, s63, s64
	s_or_b32 s0, s0, s54
.LBB86_335:
	v_mov_b32_e32 v6, s0
	global_store_byte v[8:9], v6, off
.LBB86_336:
	s_mov_b64 s[48:49], 0
.LBB86_337:
	s_mov_b64 s[0:1], 0
	s_and_b64 vcc, exec, s[48:49]
	s_cbranch_vccz .LBB86_359
; %bb.338:
	s_cmp_gt_i32 s50, 22
	s_mov_b64 s[24:25], -1
	s_cbranch_scc0 .LBB86_351
; %bb.339:
	s_cmp_lt_i32 s50, 24
	s_cbranch_scc1 .LBB86_348
; %bb.340:
	s_cmp_gt_i32 s50, 24
	s_cbranch_scc0 .LBB86_345
; %bb.341:
	s_andn2_b64 vcc, exec, s[20:21]
	s_movk_i32 s20, 0x80
	s_cbranch_vccnz .LBB86_344
; %bb.342:
	s_or_b64 s[20:21], s[18:19], s[22:23]
	s_andn2_b64 vcc, exec, s[20:21]
	s_mov_b32 s20, 0
	s_cbranch_vccnz .LBB86_344
; %bb.343:
	s_and_b64 s[18:19], s[18:19], exec
	s_cselect_b32 s18, s60, s62
	s_or_b32 s20, s18, s54
.LBB86_344:
	v_mov_b32_e32 v6, s20
	s_mov_b64 s[24:25], 0
	global_store_byte v[8:9], v6, off
.LBB86_345:
	s_and_b64 vcc, exec, s[24:25]
	s_cbranch_vccz .LBB86_347
; %bb.346:
	s_and_b64 s[16:17], s[16:17], exec
	s_cselect_b32 s16, s59, s58
	s_and_b64 s[14:15], s[14:15], exec
	s_cselect_b32 s14, s61, s16
	s_or_b32 s14, s14, s54
	v_mov_b32_e32 v6, s14
	global_store_byte v[8:9], v6, off
.LBB86_347:
	s_mov_b64 s[24:25], 0
.LBB86_348:
	s_andn2_b64 vcc, exec, s[24:25]
	s_cbranch_vccnz .LBB86_350
; %bb.349:
	s_and_b64 s[12:13], s[12:13], exec
	s_cselect_b32 s12, s56, s55
	s_and_b64 s[6:7], s[6:7], exec
	s_cselect_b32 s6, s57, s12
	s_or_b32 s6, s6, s54
	v_mov_b32_e32 v6, s6
	global_store_byte v[8:9], v6, off
.LBB86_350:
	s_mov_b64 s[24:25], 0
.LBB86_351:
	s_andn2_b64 vcc, exec, s[24:25]
	s_mov_b64 s[6:7], 0
	s_cbranch_vccnz .LBB86_360
; %bb.352:
	s_cmp_gt_i32 s50, 14
	s_mov_b64 s[12:13], -1
	s_cbranch_scc0 .LBB86_356
; %bb.353:
	s_cmp_eq_u32 s50, 15
	s_mov_b64 s[46:47], -1
	s_cbranch_scc0 .LBB86_355
; %bb.354:
	v_mov_b32_e32 v6, s11
	global_store_short v[8:9], v6, off
	s_mov_b64 s[46:47], 0
.LBB86_355:
	s_mov_b64 s[12:13], 0
.LBB86_356:
	s_and_b64 vcc, exec, s[12:13]
	s_cbranch_vccz .LBB86_360
; %bb.357:
	s_cmp_lg_u32 s50, 11
	s_cselect_b64 s[12:13], -1, 0
	s_andn2_b64 s[14:15], s[46:47], exec
	s_and_b64 s[12:13], s[12:13], exec
	s_mov_b64 s[6:7], -1
	s_or_b64 s[46:47], s[14:15], s[12:13]
	s_branch .LBB86_360
.LBB86_358:
	s_mov_b64 s[6:7], 0
	s_mov_b64 s[0:1], -1
	s_mov_b64 s[46:47], s[42:43]
	s_branch .LBB86_360
.LBB86_359:
	s_mov_b64 s[6:7], 0
.LBB86_360:
	s_and_b64 s[50:51], s[0:1], exec
	s_and_b64 s[48:49], s[6:7], exec
	s_andn2_b64 s[0:1], s[42:43], exec
	s_and_b64 s[6:7], s[46:47], exec
	s_or_b64 s[46:47], s[0:1], s[6:7]
.LBB86_361:
	s_or_b64 exec, exec, s[44:45]
	s_andn2_b64 s[0:1], s[42:43], exec
	s_and_b64 s[6:7], s[46:47], exec
	s_and_b64 s[50:51], s[50:51], exec
	;; [unrolled: 1-line block ×3, first 2 shown]
	s_or_b64 s[42:43], s[0:1], s[6:7]
.LBB86_362:
	s_or_b64 exec, exec, s[40:41]
	s_andn2_b64 s[0:1], s[36:37], exec
	s_and_b64 s[6:7], s[42:43], exec
	s_and_b64 s[40:41], s[50:51], exec
	;; [unrolled: 1-line block ×3, first 2 shown]
	s_or_b64 s[36:37], s[0:1], s[6:7]
.LBB86_363:
	s_or_b64 exec, exec, s[38:39]
	s_andn2_b64 s[0:1], s[30:31], exec
	s_and_b64 s[6:7], s[36:37], exec
	s_and_b64 s[40:41], s[40:41], exec
	;; [unrolled: 1-line block ×3, first 2 shown]
	s_or_b64 s[30:31], s[0:1], s[6:7]
	s_or_b64 exec, exec, s[34:35]
	s_mov_b64 s[0:1], 0
	s_and_saveexec_b64 s[6:7], s[30:31]
	s_cbranch_execz .LBB86_110
.LBB86_364:
	s_mov_b64 s[0:1], exec
	s_andn2_b64 s[38:39], s[38:39], exec
	s_trap 2
	s_or_b64 exec, exec, s[6:7]
	s_and_saveexec_b64 s[6:7], s[38:39]
	s_xor_b64 s[6:7], exec, s[6:7]
	s_cbranch_execnz .LBB86_111
.LBB86_365:
	s_or_b64 exec, exec, s[6:7]
	s_and_saveexec_b64 s[6:7], s[40:41]
	s_xor_b64 s[6:7], exec, s[6:7]
	s_cbranch_execz .LBB86_403
.LBB86_366:
	s_sext_i32_i16 s14, s65
	s_cmp_lt_i32 s14, 5
	s_mov_b64 s[12:13], -1
	s_cbranch_scc1 .LBB86_387
; %bb.367:
	s_cmp_lt_i32 s14, 8
	s_cbranch_scc1 .LBB86_377
; %bb.368:
	s_cmp_lt_i32 s14, 9
	s_cbranch_scc1 .LBB86_374
; %bb.369:
	s_cmp_gt_i32 s14, 9
	s_cbranch_scc0 .LBB86_371
; %bb.370:
	s_mov_b64 s[12:13], 0
	global_store_dwordx4 v[8:9], v[0:3], off
.LBB86_371:
	s_andn2_b64 vcc, exec, s[12:13]
	s_cbranch_vccnz .LBB86_373
; %bb.372:
	v_mov_b32_e32 v2, s52
	v_mov_b32_e32 v3, s53
	global_store_dwordx2 v[8:9], v[2:3], off
.LBB86_373:
	s_mov_b64 s[12:13], 0
.LBB86_374:
	s_andn2_b64 vcc, exec, s[12:13]
	s_cbranch_vccnz .LBB86_376
; %bb.375:
	global_store_dword v[8:9], v12, off
.LBB86_376:
	s_mov_b64 s[12:13], 0
.LBB86_377:
	s_andn2_b64 vcc, exec, s[12:13]
	s_cbranch_vccnz .LBB86_386
; %bb.378:
	s_sext_i32_i16 s14, s65
	s_cmp_lt_i32 s14, 6
	s_mov_b64 s[12:13], -1
	s_cbranch_scc1 .LBB86_384
; %bb.379:
	s_cmp_gt_i32 s14, 6
	s_cbranch_scc0 .LBB86_381
; %bb.380:
	s_mov_b64 s[12:13], 0
	global_store_dwordx2 v[8:9], v[0:1], off
.LBB86_381:
	s_andn2_b64 vcc, exec, s[12:13]
	s_cbranch_vccnz .LBB86_383
; %bb.382:
	v_mov_b32_e32 v0, s52
	global_store_dword v[8:9], v0, off
.LBB86_383:
	s_mov_b64 s[12:13], 0
.LBB86_384:
	s_andn2_b64 vcc, exec, s[12:13]
	s_cbranch_vccnz .LBB86_386
; %bb.385:
	global_store_short v[8:9], v11, off
.LBB86_386:
	s_mov_b64 s[12:13], 0
.LBB86_387:
	s_andn2_b64 vcc, exec, s[12:13]
	s_cbranch_vccnz .LBB86_403
; %bb.388:
	s_sext_i32_i16 s14, s65
	s_cmp_lt_i32 s14, 2
	s_mov_b64 s[12:13], -1
	s_cbranch_scc1 .LBB86_398
; %bb.389:
	s_cmp_lt_i32 s14, 3
	s_cbranch_scc1 .LBB86_395
; %bb.390:
	s_cmp_gt_i32 s14, 3
	s_cbranch_scc0 .LBB86_392
; %bb.391:
	s_mov_b64 s[12:13], 0
	global_store_dwordx2 v[8:9], v[4:5], off
.LBB86_392:
	s_andn2_b64 vcc, exec, s[12:13]
	s_cbranch_vccnz .LBB86_394
; %bb.393:
	global_store_dword v[8:9], v10, off
.LBB86_394:
	s_mov_b64 s[12:13], 0
.LBB86_395:
	s_andn2_b64 vcc, exec, s[12:13]
	s_cbranch_vccnz .LBB86_397
; %bb.396:
	global_store_short v[8:9], v10, off
.LBB86_397:
	s_mov_b64 s[12:13], 0
.LBB86_398:
	s_andn2_b64 vcc, exec, s[12:13]
	s_cbranch_vccnz .LBB86_403
; %bb.399:
	s_sext_i32_i16 s12, s65
	s_cmp_gt_i32 s12, 0
	s_mov_b64 s[12:13], -1
	s_cbranch_scc0 .LBB86_401
; %bb.400:
	s_mov_b64 s[12:13], 0
	global_store_byte v[8:9], v10, off
.LBB86_401:
	s_andn2_b64 vcc, exec, s[12:13]
	s_cbranch_vccnz .LBB86_403
; %bb.402:
	global_store_byte v[8:9], v4, off
.LBB86_403:
	s_or_b64 exec, exec, s[6:7]
	s_and_b64 s[0:1], s[0:1], exec
                                        ; implicit-def: $vgpr16
.LBB86_404:
	s_or_saveexec_b64 s[2:3], s[2:3]
	s_mov_b64 s[12:13], 0
                                        ; implicit-def: $sgpr18
                                        ; implicit-def: $vgpr0_vgpr1
	s_xor_b64 exec, exec, s[2:3]
	s_cbranch_execz .LBB86_433
; %bb.405:
	v_mul_lo_u32 v2, s10, v16
	v_mov_b32_e32 v1, s9
	s_and_b32 s18, s33, 0xff
	s_cmp_lt_i32 s18, 11
	v_ashrrev_i32_e32 v3, 31, v2
	v_add_co_u32_e32 v0, vcc, s8, v2
	v_addc_co_u32_e32 v1, vcc, v1, v3, vcc
	s_cbranch_scc1 .LBB86_436
; %bb.406:
	s_and_b32 s16, 0xffff, s18
	s_mov_b64 s[6:7], -1
	s_cmp_gt_i32 s16, 25
	s_mov_b64 s[14:15], 0
	s_cbranch_scc0 .LBB86_446
; %bb.407:
	s_cmp_gt_i32 s16, 28
	s_cbranch_scc0 .LBB86_422
; %bb.408:
	s_cmp_gt_i32 s16, 43
	s_cbranch_scc0 .LBB86_418
; %bb.409:
	s_cmp_gt_i32 s16, 45
	s_cbranch_scc0 .LBB86_412
; %bb.410:
	s_mov_b64 s[4:5], -1
	s_mov_b64 s[6:7], 0
	s_cmp_eq_u32 s16, 46
	s_cbranch_scc0 .LBB86_412
; %bb.411:
	v_mov_b32_e32 v3, s11
	global_store_dword v[0:1], v3, off
	s_mov_b64 s[4:5], 0
	s_mov_b64 s[14:15], -1
.LBB86_412:
	s_and_b64 vcc, exec, s[6:7]
	s_cbranch_vccz .LBB86_417
; %bb.413:
	s_cmp_eq_u32 s16, 44
	s_mov_b64 s[4:5], -1
	s_cbranch_scc0 .LBB86_417
; %bb.414:
	s_lshl_b32 s4, s11, 16
	s_bfe_u32 s5, s4, 0x80017
	s_cmpk_eq_i32 s5, 0xff
	v_mov_b32_e32 v3, 0xff
	s_cbranch_scc1 .LBB86_416
; %bb.415:
	s_bfe_u32 s14, s11, 0x90007
	s_bitcmp1_b32 s11, 6
	s_cselect_b64 s[6:7], -1, 0
	s_and_b32 s4, s4, 0x3f0000
	s_or_b32 s4, s5, s4
	s_cmp_lg_u32 s4, 0
	s_cselect_b64 s[4:5], -1, 0
	s_and_b64 s[4:5], s[6:7], s[4:5]
	v_cndmask_b32_e64 v3, 0, 1, s[4:5]
	v_add_u32_e32 v3, s14, v3
.LBB86_416:
	s_mov_b64 s[4:5], 0
	s_mov_b64 s[14:15], -1
	global_store_byte v[0:1], v3, off
.LBB86_417:
	s_mov_b64 s[6:7], 0
.LBB86_418:
	s_and_b64 vcc, exec, s[6:7]
	s_cbranch_vccz .LBB86_421
; %bb.419:
	s_cmp_eq_u32 s16, 29
	s_mov_b64 s[4:5], -1
	s_cbranch_scc0 .LBB86_421
; %bb.420:
	s_lshl_b32 s4, s11, 16
	v_trunc_f32_e32 v3, s4
	v_mul_f32_e32 v4, 0x2f800000, v3
	v_floor_f32_e32 v4, v4
	v_fmac_f32_e32 v3, 0xcf800000, v4
	v_cvt_u32_f32_e32 v4, v4
	v_cvt_u32_f32_e32 v3, v3
	s_mov_b64 s[4:5], 0
	s_mov_b64 s[14:15], -1
	global_store_dwordx2 v[0:1], v[3:4], off
.LBB86_421:
	s_mov_b64 s[6:7], 0
.LBB86_422:
	s_and_b64 vcc, exec, s[6:7]
	s_cbranch_vccz .LBB86_445
; %bb.423:
	s_cmp_lt_i32 s16, 27
	s_mov_b64 s[6:7], -1
	s_cbranch_scc1 .LBB86_429
; %bb.424:
	s_cmp_gt_i32 s16, 27
	s_cbranch_scc0 .LBB86_426
; %bb.425:
	s_lshl_b32 s6, s11, 16
	v_cvt_u32_f32_e32 v3, s6
	s_mov_b64 s[6:7], 0
	global_store_dword v[0:1], v3, off
.LBB86_426:
	s_andn2_b64 vcc, exec, s[6:7]
	s_cbranch_vccnz .LBB86_428
; %bb.427:
	s_lshl_b32 s6, s11, 16
	v_cvt_u32_f32_e32 v3, s6
	global_store_short v[0:1], v3, off
.LBB86_428:
	s_mov_b64 s[6:7], 0
.LBB86_429:
	s_andn2_b64 vcc, exec, s[6:7]
	s_cbranch_vccnz .LBB86_444
; %bb.430:
	s_lshl_b32 s17, s11, 16
	s_and_b32 s6, s17, 0x7fffffff
	s_cmp_gt_u32 s6, 0x437fffff
	v_mov_b32_e32 v4, 0x80
	s_cbranch_scc1 .LBB86_443
; %bb.431:
	s_cmp_gt_u32 s6, 0x3bffffff
	s_cbranch_scc0 .LBB86_438
; %bb.432:
	s_bfe_u32 s6, s17, 0x10014
	s_add_i32 s6, s17, s6
	s_add_i32 s6, s6, 0x487ffff
	s_lshr_b32 s19, s6, 20
	s_mov_b64 s[14:15], 0
	s_mov_b64 s[6:7], -1
	s_branch .LBB86_439
.LBB86_433:
	s_or_b64 exec, exec, s[2:3]
	s_and_saveexec_b64 s[2:3], s[0:1]
	s_cbranch_execz .LBB86_834
.LBB86_434:
	; divergent unreachable
	s_or_b64 exec, exec, s[2:3]
	s_and_saveexec_b64 s[0:1], s[4:5]
	s_xor_b64 s[0:1], exec, s[0:1]
	s_cbranch_execnz .LBB86_835
.LBB86_435:
	s_or_b64 exec, exec, s[0:1]
	s_and_saveexec_b64 s[0:1], s[12:13]
	s_cbranch_execnz .LBB86_836
	s_branch .LBB86_873
.LBB86_436:
	s_mov_b64 s[14:15], 0
	s_mov_b64 s[6:7], s[0:1]
	s_cbranch_execnz .LBB86_496
.LBB86_437:
	s_andn2_b64 vcc, exec, s[14:15]
	s_cbranch_vccz .LBB86_534
	s_branch .LBB86_832
.LBB86_438:
	s_mov_b64 s[14:15], -1
	s_mov_b64 s[6:7], 0
                                        ; implicit-def: $sgpr19
.LBB86_439:
	s_andn2_b64 vcc, exec, s[14:15]
	v_mov_b32_e32 v3, s19
	s_cbranch_vccnz .LBB86_441
; %bb.440:
	v_mov_b32_e32 v3, 0x46000000
	v_add_f32_e64 v3, |s17|, v3
	v_and_b32_e32 v3, 0xff, v3
	v_cmp_ne_u32_e64 s[6:7], 0, v3
.LBB86_441:
	s_andn2_b64 vcc, exec, s[6:7]
	v_mov_b32_e32 v4, 0
	s_cbranch_vccnz .LBB86_443
; %bb.442:
	s_lshr_b32 s6, s17, 24
	s_and_b32 s6, s6, 0x80
	v_or_b32_e32 v4, s6, v3
.LBB86_443:
	global_store_byte v[0:1], v4, off
.LBB86_444:
	s_mov_b64 s[14:15], -1
.LBB86_445:
	s_mov_b64 s[6:7], 0
.LBB86_446:
	s_and_b64 vcc, exec, s[6:7]
	s_cbranch_vccz .LBB86_492
; %bb.447:
	s_cmp_gt_i32 s16, 22
	s_mov_b64 s[6:7], -1
	s_cbranch_scc0 .LBB86_485
; %bb.448:
	s_cmp_lt_i32 s16, 24
	s_cbranch_scc1 .LBB86_472
; %bb.449:
	s_cmp_gt_i32 s16, 24
	s_cbranch_scc0 .LBB86_459
; %bb.450:
	s_lshl_b32 s14, s11, 16
	s_and_b32 s6, s14, 0x7fffffff
	s_cmp_gt_u32 s6, 0x477fffff
	v_mov_b32_e32 v4, 0x80
	s_cbranch_scc1 .LBB86_458
; %bb.451:
	s_cmp_gt_u32 s6, 0x37ffffff
	s_cbranch_scc0 .LBB86_453
; %bb.452:
	s_bfe_u32 s6, s14, 0x10015
	s_add_i32 s6, s14, s6
	s_add_i32 s6, s6, 0x88fffff
	s_lshr_b32 s15, s6, 21
	s_mov_b64 s[6:7], -1
	s_branch .LBB86_454
.LBB86_453:
	s_mov_b64 s[12:13], -1
	s_mov_b64 s[6:7], 0
                                        ; implicit-def: $sgpr15
.LBB86_454:
	s_andn2_b64 vcc, exec, s[12:13]
	v_mov_b32_e32 v3, s15
	s_cbranch_vccnz .LBB86_456
; %bb.455:
	v_mov_b32_e32 v3, 0x42800000
	v_add_f32_e64 v3, |s14|, v3
	v_and_b32_e32 v3, 0xff, v3
	v_cmp_ne_u32_e64 s[6:7], 0, v3
.LBB86_456:
	s_andn2_b64 vcc, exec, s[6:7]
	v_mov_b32_e32 v4, 0
	s_cbranch_vccnz .LBB86_458
; %bb.457:
	s_lshr_b32 s6, s14, 24
	s_and_b32 s6, s6, 0x80
	v_or_b32_e32 v4, s6, v3
.LBB86_458:
	s_mov_b64 s[6:7], 0
	global_store_byte v[0:1], v4, off
.LBB86_459:
	s_and_b64 vcc, exec, s[6:7]
	s_cbranch_vccz .LBB86_471
; %bb.460:
	s_lshl_b32 s12, s11, 16
	s_and_b32 s13, s12, 0x7fffffff
	s_cmp_lt_u32 s13, 0x43f00000
	s_cbranch_scc0 .LBB86_463
; %bb.461:
	s_cmp_gt_u32 s13, 0x3c7fffff
	s_cbranch_scc0 .LBB86_464
; %bb.462:
	s_bfe_u32 s6, s12, 0x10014
	s_add_i32 s6, s12, s6
	s_add_i32 s6, s6, 0x407ffff
	s_lshr_b32 s7, s6, 20
	s_and_b32 s6, s6, 0xff00000
	s_cmp_lg_u32 s6, 0x7f00000
	s_cselect_b32 s14, s7, 0x7e
	s_mov_b64 s[6:7], 0
	s_branch .LBB86_465
.LBB86_463:
	s_mov_b64 s[6:7], -1
                                        ; implicit-def: $vgpr3
	s_branch .LBB86_468
.LBB86_464:
	s_mov_b64 s[6:7], -1
                                        ; implicit-def: $sgpr14
.LBB86_465:
	s_andn2_b64 vcc, exec, s[6:7]
	v_mov_b32_e32 v3, s14
	s_cbranch_vccnz .LBB86_467
; %bb.466:
	v_mov_b32_e32 v3, 0x46800000
	v_add_f32_e64 v3, |s12|, v3
.LBB86_467:
	s_mov_b64 s[6:7], 0
.LBB86_468:
	s_andn2_b64 vcc, exec, s[6:7]
	s_cbranch_vccnz .LBB86_470
; %bb.469:
	s_cmp_gt_u32 s13, 0x7f800000
	s_movk_i32 s6, 0x7f
	s_cselect_b32 s6, s6, 0x7e
	v_mov_b32_e32 v3, s6
.LBB86_470:
	s_lshr_b32 s6, s12, 24
	s_and_b32 s6, s6, 0x80
	v_or_b32_e32 v3, s6, v3
	global_store_byte v[0:1], v3, off
.LBB86_471:
	s_mov_b64 s[6:7], 0
.LBB86_472:
	s_andn2_b64 vcc, exec, s[6:7]
	s_cbranch_vccnz .LBB86_484
; %bb.473:
	s_lshl_b32 s12, s11, 16
	s_and_b32 s13, s12, 0x7fffffff
	s_cmp_lt_u32 s13, 0x47800000
	s_cbranch_scc0 .LBB86_476
; %bb.474:
	s_cmp_gt_u32 s13, 0x387fffff
	s_cbranch_scc0 .LBB86_477
; %bb.475:
	s_bfe_u32 s6, s12, 0x10015
	s_add_i32 s6, s12, s6
	s_add_i32 s6, s6, 0x80fffff
	s_lshr_b32 s14, s6, 21
	s_mov_b64 s[6:7], 0
	s_branch .LBB86_478
.LBB86_476:
	s_mov_b64 s[6:7], -1
                                        ; implicit-def: $vgpr3
	s_branch .LBB86_481
.LBB86_477:
	s_mov_b64 s[6:7], -1
                                        ; implicit-def: $sgpr14
.LBB86_478:
	s_andn2_b64 vcc, exec, s[6:7]
	v_mov_b32_e32 v3, s14
	s_cbranch_vccnz .LBB86_480
; %bb.479:
	v_mov_b32_e32 v3, 0x43000000
	v_add_f32_e64 v3, |s12|, v3
.LBB86_480:
	s_mov_b64 s[6:7], 0
.LBB86_481:
	s_andn2_b64 vcc, exec, s[6:7]
	s_cbranch_vccnz .LBB86_483
; %bb.482:
	s_cmp_gt_u32 s13, 0x7f800000
	s_movk_i32 s6, 0x7f
	s_cselect_b32 s6, s6, 0x7c
	v_mov_b32_e32 v3, s6
.LBB86_483:
	s_lshr_b32 s6, s12, 24
	s_and_b32 s6, s6, 0x80
	v_or_b32_e32 v3, s6, v3
	global_store_byte v[0:1], v3, off
.LBB86_484:
	s_mov_b64 s[6:7], 0
	s_mov_b64 s[14:15], -1
.LBB86_485:
	s_andn2_b64 vcc, exec, s[6:7]
	s_mov_b64 s[12:13], 0
	s_cbranch_vccnz .LBB86_492
; %bb.486:
	s_cmp_gt_i32 s16, 14
	s_mov_b64 s[6:7], -1
	s_cbranch_scc0 .LBB86_490
; %bb.487:
	s_cmp_eq_u32 s16, 15
	s_mov_b64 s[4:5], -1
	s_cbranch_scc0 .LBB86_489
; %bb.488:
	v_mov_b32_e32 v3, s11
	global_store_short v[0:1], v3, off
	s_mov_b64 s[4:5], 0
	s_mov_b64 s[14:15], -1
.LBB86_489:
	s_mov_b64 s[6:7], 0
.LBB86_490:
	s_and_b64 vcc, exec, s[6:7]
	s_cbranch_vccz .LBB86_492
; %bb.491:
	s_cmp_lg_u32 s16, 11
	s_mov_b64 s[12:13], -1
	s_cselect_b64 s[4:5], -1, 0
.LBB86_492:
	s_and_b64 vcc, exec, s[4:5]
	s_mov_b64 s[6:7], s[0:1]
	s_cbranch_vccnz .LBB86_564
; %bb.493:
	s_andn2_b64 vcc, exec, s[12:13]
	s_cbranch_vccnz .LBB86_495
.LBB86_494:
	s_and_b32 s4, s11, 0x7fff7fff
	s_cmp_lg_u32 s4, 0
	s_cselect_b64 s[4:5], -1, 0
	v_cndmask_b32_e64 v3, 0, 1, s[4:5]
	s_mov_b64 s[14:15], -1
	global_store_byte v[0:1], v3, off
.LBB86_495:
	s_branch .LBB86_437
.LBB86_496:
	s_and_b32 s12, 0xffff, s18
	s_cmp_lt_i32 s12, 5
	s_mov_b64 s[4:5], -1
	s_cbranch_scc1 .LBB86_517
; %bb.497:
	s_cmp_lt_i32 s12, 8
	s_cbranch_scc1 .LBB86_507
; %bb.498:
	s_cmp_lt_i32 s12, 9
	s_cbranch_scc1 .LBB86_504
; %bb.499:
	s_cmp_gt_i32 s12, 9
	s_cbranch_scc0 .LBB86_501
; %bb.500:
	s_and_b32 s4, s11, 0xffff0000
	s_lshl_b32 s5, s11, 16
	v_cvt_f64_f32_e32 v[3:4], s5
	v_cvt_f64_f32_e32 v[5:6], s4
	s_mov_b64 s[4:5], 0
	global_store_dwordx4 v[0:1], v[3:6], off
.LBB86_501:
	s_andn2_b64 vcc, exec, s[4:5]
	s_cbranch_vccnz .LBB86_503
; %bb.502:
	s_and_b32 s4, s11, 0xffff0000
	s_lshl_b32 s5, s11, 16
	v_mov_b32_e32 v3, s5
	v_mov_b32_e32 v4, s4
	global_store_dwordx2 v[0:1], v[3:4], off
.LBB86_503:
	s_mov_b64 s[4:5], 0
.LBB86_504:
	s_andn2_b64 vcc, exec, s[4:5]
	s_cbranch_vccnz .LBB86_506
; %bb.505:
	s_and_b32 s4, s11, 0xffff0000
	s_lshl_b32 s5, s11, 16
	v_cvt_f16_f32_e32 v3, s5
	v_cvt_f16_f32_sdwa v4, s4 dst_sel:WORD_1 dst_unused:UNUSED_PAD src0_sel:DWORD
	v_or_b32_e32 v3, v4, v3
	global_store_dword v[0:1], v3, off
.LBB86_506:
	s_mov_b64 s[4:5], 0
.LBB86_507:
	s_andn2_b64 vcc, exec, s[4:5]
	s_cbranch_vccnz .LBB86_516
; %bb.508:
	s_cmp_lt_i32 s12, 6
	s_mov_b64 s[4:5], -1
	s_cbranch_scc1 .LBB86_514
; %bb.509:
	s_cmp_gt_i32 s12, 6
	s_cbranch_scc0 .LBB86_511
; %bb.510:
	s_lshl_b32 s4, s11, 16
	v_cvt_f64_f32_e32 v[3:4], s4
	s_mov_b64 s[4:5], 0
	global_store_dwordx2 v[0:1], v[3:4], off
.LBB86_511:
	s_andn2_b64 vcc, exec, s[4:5]
	s_cbranch_vccnz .LBB86_513
; %bb.512:
	s_lshl_b32 s4, s11, 16
	v_mov_b32_e32 v3, s4
	global_store_dword v[0:1], v3, off
.LBB86_513:
	s_mov_b64 s[4:5], 0
.LBB86_514:
	s_andn2_b64 vcc, exec, s[4:5]
	s_cbranch_vccnz .LBB86_516
; %bb.515:
	s_lshl_b32 s4, s11, 16
	v_cvt_f16_f32_e32 v3, s4
	global_store_short v[0:1], v3, off
.LBB86_516:
	s_mov_b64 s[4:5], 0
.LBB86_517:
	s_andn2_b64 vcc, exec, s[4:5]
	s_cbranch_vccnz .LBB86_533
; %bb.518:
	s_cmp_lt_i32 s12, 2
	s_mov_b64 s[4:5], -1
	s_cbranch_scc1 .LBB86_528
; %bb.519:
	s_cmp_lt_i32 s12, 3
	s_cbranch_scc1 .LBB86_525
; %bb.520:
	s_cmp_gt_i32 s12, 3
	s_cbranch_scc0 .LBB86_522
; %bb.521:
	s_lshl_b32 s4, s11, 16
	v_trunc_f32_e32 v3, s4
	s_mov_b32 s4, 0x2f800000
	v_mul_f32_e64 v4, |v3|, s4
	v_floor_f32_e32 v4, v4
	s_mov_b32 s4, 0xcf800000
	v_fma_f32 v5, v4, s4, |v3|
	v_cvt_u32_f32_e32 v5, v5
	v_cvt_u32_f32_e32 v4, v4
	v_ashrrev_i32_e32 v6, 31, v3
	s_mov_b64 s[4:5], 0
	v_xor_b32_e32 v3, v5, v6
	v_xor_b32_e32 v4, v4, v6
	v_sub_co_u32_e32 v3, vcc, v3, v6
	v_subb_co_u32_e32 v4, vcc, v4, v6, vcc
	global_store_dwordx2 v[0:1], v[3:4], off
.LBB86_522:
	s_andn2_b64 vcc, exec, s[4:5]
	s_cbranch_vccnz .LBB86_524
; %bb.523:
	s_lshl_b32 s4, s11, 16
	v_cvt_i32_f32_e32 v3, s4
	global_store_dword v[0:1], v3, off
.LBB86_524:
	s_mov_b64 s[4:5], 0
.LBB86_525:
	s_andn2_b64 vcc, exec, s[4:5]
	s_cbranch_vccnz .LBB86_527
; %bb.526:
	s_lshl_b32 s4, s11, 16
	v_cvt_i32_f32_e32 v3, s4
	global_store_short v[0:1], v3, off
.LBB86_527:
	s_mov_b64 s[4:5], 0
.LBB86_528:
	s_andn2_b64 vcc, exec, s[4:5]
	s_cbranch_vccnz .LBB86_533
; %bb.529:
	s_cmp_gt_i32 s12, 0
	s_mov_b64 s[4:5], -1
	s_cbranch_scc0 .LBB86_531
; %bb.530:
	s_lshl_b32 s4, s11, 16
	v_cvt_i32_f32_e32 v3, s4
	s_mov_b64 s[4:5], 0
	global_store_byte v[0:1], v3, off
.LBB86_531:
	s_andn2_b64 vcc, exec, s[4:5]
	s_cbranch_vccnz .LBB86_533
; %bb.532:
	s_lshl_b32 s4, s11, 16
	v_trunc_f32_e32 v3, s4
	s_mov_b32 s4, 0x2f800000
	v_mul_f32_e64 v4, |v3|, s4
	v_floor_f32_e32 v4, v4
	s_mov_b32 s4, 0xcf800000
	v_fma_f32 v4, v4, s4, |v3|
	v_cvt_u32_f32_e32 v4, v4
	v_ashrrev_i32_e32 v3, 31, v3
	v_xor_b32_e32 v4, v4, v3
	v_sub_u32_e32 v3, v4, v3
	global_store_byte v[0:1], v3, off
.LBB86_533:
.LBB86_534:
	s_lshl_b32 s10, s10, 7
	v_add_u32_e32 v2, s10, v2
	v_ashrrev_i32_e32 v1, 31, v2
	v_mov_b32_e32 v3, s9
	v_add_co_u32_e32 v0, vcc, s8, v2
	s_cmp_lt_i32 s18, 11
	v_addc_co_u32_e32 v1, vcc, v3, v1, vcc
	s_cbranch_scc1 .LBB86_562
; %bb.535:
	s_and_b32 s19, 0xffff, s18
	s_mov_b64 s[16:17], -1
	s_mov_b64 s[12:13], 0
	s_cmp_gt_i32 s19, 25
	s_mov_b64 s[14:15], 0
	s_mov_b64 s[4:5], 0
	s_cbranch_scc0 .LBB86_573
; %bb.536:
	s_cmp_gt_i32 s19, 28
	s_cbranch_scc0 .LBB86_551
; %bb.537:
	s_cmp_gt_i32 s19, 43
	;; [unrolled: 3-line block ×3, first 2 shown]
	s_cbranch_scc0 .LBB86_541
; %bb.539:
	s_mov_b64 s[4:5], -1
	s_mov_b64 s[16:17], 0
	s_cmp_eq_u32 s19, 46
	s_cbranch_scc0 .LBB86_541
; %bb.540:
	v_mov_b32_e32 v3, s11
	global_store_dword v[0:1], v3, off
	s_mov_b64 s[4:5], 0
	s_mov_b64 s[14:15], -1
.LBB86_541:
	s_and_b64 vcc, exec, s[16:17]
	s_cbranch_vccz .LBB86_546
; %bb.542:
	s_cmp_eq_u32 s19, 44
	s_mov_b64 s[4:5], -1
	s_cbranch_scc0 .LBB86_546
; %bb.543:
	s_lshl_b32 s4, s11, 16
	s_bfe_u32 s5, s4, 0x80017
	s_cmpk_eq_i32 s5, 0xff
	v_mov_b32_e32 v3, 0xff
	s_cbranch_scc1 .LBB86_545
; %bb.544:
	s_bfe_u32 s16, s11, 0x90007
	s_bitcmp1_b32 s11, 6
	s_cselect_b64 s[14:15], -1, 0
	s_and_b32 s4, s4, 0x3f0000
	s_or_b32 s4, s5, s4
	s_cmp_lg_u32 s4, 0
	s_cselect_b64 s[4:5], -1, 0
	s_and_b64 s[4:5], s[14:15], s[4:5]
	v_cndmask_b32_e64 v3, 0, 1, s[4:5]
	v_add_u32_e32 v3, s16, v3
.LBB86_545:
	s_mov_b64 s[4:5], 0
	s_mov_b64 s[14:15], -1
	global_store_byte v[0:1], v3, off
.LBB86_546:
	s_mov_b64 s[16:17], 0
.LBB86_547:
	s_and_b64 vcc, exec, s[16:17]
	s_cbranch_vccz .LBB86_550
; %bb.548:
	s_cmp_eq_u32 s19, 29
	s_mov_b64 s[4:5], -1
	s_cbranch_scc0 .LBB86_550
; %bb.549:
	s_lshl_b32 s4, s11, 16
	v_trunc_f32_e32 v3, s4
	v_mul_f32_e32 v4, 0x2f800000, v3
	v_floor_f32_e32 v4, v4
	v_fmac_f32_e32 v3, 0xcf800000, v4
	v_cvt_u32_f32_e32 v4, v4
	v_cvt_u32_f32_e32 v3, v3
	s_mov_b64 s[4:5], 0
	s_mov_b64 s[14:15], -1
	global_store_dwordx2 v[0:1], v[3:4], off
.LBB86_550:
	s_mov_b64 s[16:17], 0
.LBB86_551:
	s_and_b64 vcc, exec, s[16:17]
	s_cbranch_vccz .LBB86_572
; %bb.552:
	s_cmp_lt_i32 s19, 27
	s_mov_b64 s[14:15], -1
	s_cbranch_scc1 .LBB86_558
; %bb.553:
	s_cmp_gt_i32 s19, 27
	s_cbranch_scc0 .LBB86_555
; %bb.554:
	s_lshl_b32 s14, s11, 16
	v_cvt_u32_f32_e32 v3, s14
	s_mov_b64 s[14:15], 0
	global_store_dword v[0:1], v3, off
.LBB86_555:
	s_andn2_b64 vcc, exec, s[14:15]
	s_cbranch_vccnz .LBB86_557
; %bb.556:
	s_lshl_b32 s14, s11, 16
	v_cvt_u32_f32_e32 v3, s14
	global_store_short v[0:1], v3, off
.LBB86_557:
	s_mov_b64 s[14:15], 0
.LBB86_558:
	s_andn2_b64 vcc, exec, s[14:15]
	s_cbranch_vccnz .LBB86_571
; %bb.559:
	s_lshl_b32 s20, s11, 16
	s_and_b32 s14, s20, 0x7fffffff
	s_cmp_gt_u32 s14, 0x437fffff
	v_mov_b32_e32 v4, 0x80
	s_cbranch_scc1 .LBB86_570
; %bb.560:
	s_cmp_gt_u32 s14, 0x3bffffff
	s_cbranch_scc0 .LBB86_565
; %bb.561:
	s_bfe_u32 s14, s20, 0x10014
	s_add_i32 s14, s20, s14
	s_add_i32 s14, s14, 0x487ffff
	s_lshr_b32 s21, s14, 20
	s_mov_b64 s[16:17], 0
	s_mov_b64 s[14:15], -1
	s_branch .LBB86_566
.LBB86_562:
	s_mov_b64 s[14:15], 0
	s_cbranch_execnz .LBB86_623
.LBB86_563:
	s_andn2_b64 vcc, exec, s[14:15]
	s_cbranch_vccz .LBB86_661
	s_branch .LBB86_832
.LBB86_564:
	s_or_b64 s[6:7], s[0:1], exec
	s_trap 2
	s_cbranch_execz .LBB86_494
	s_branch .LBB86_495
.LBB86_565:
	s_mov_b64 s[16:17], -1
	s_mov_b64 s[14:15], 0
                                        ; implicit-def: $sgpr21
.LBB86_566:
	s_andn2_b64 vcc, exec, s[16:17]
	v_mov_b32_e32 v3, s21
	s_cbranch_vccnz .LBB86_568
; %bb.567:
	v_mov_b32_e32 v3, 0x46000000
	v_add_f32_e64 v3, |s20|, v3
	v_and_b32_e32 v3, 0xff, v3
	v_cmp_ne_u32_e64 s[14:15], 0, v3
.LBB86_568:
	s_andn2_b64 vcc, exec, s[14:15]
	v_mov_b32_e32 v4, 0
	s_cbranch_vccnz .LBB86_570
; %bb.569:
	s_lshr_b32 s14, s20, 24
	s_and_b32 s14, s14, 0x80
	v_or_b32_e32 v4, s14, v3
.LBB86_570:
	global_store_byte v[0:1], v4, off
.LBB86_571:
	s_mov_b64 s[14:15], -1
.LBB86_572:
	s_mov_b64 s[16:17], 0
.LBB86_573:
	s_and_b64 vcc, exec, s[16:17]
	s_cbranch_vccz .LBB86_619
; %bb.574:
	s_cmp_gt_i32 s19, 22
	s_mov_b64 s[12:13], -1
	s_cbranch_scc0 .LBB86_612
; %bb.575:
	s_cmp_lt_i32 s19, 24
	s_cbranch_scc1 .LBB86_599
; %bb.576:
	s_cmp_gt_i32 s19, 24
	s_cbranch_scc0 .LBB86_586
; %bb.577:
	s_lshl_b32 s16, s11, 16
	s_and_b32 s12, s16, 0x7fffffff
	s_cmp_gt_u32 s12, 0x477fffff
	v_mov_b32_e32 v4, 0x80
	s_cbranch_scc1 .LBB86_585
; %bb.578:
	s_cmp_gt_u32 s12, 0x37ffffff
	s_cbranch_scc0 .LBB86_580
; %bb.579:
	s_bfe_u32 s12, s16, 0x10015
	s_add_i32 s12, s16, s12
	s_add_i32 s12, s12, 0x88fffff
	s_lshr_b32 s17, s12, 21
	s_mov_b64 s[14:15], 0
	s_mov_b64 s[12:13], -1
	s_branch .LBB86_581
.LBB86_580:
	s_mov_b64 s[14:15], -1
	s_mov_b64 s[12:13], 0
                                        ; implicit-def: $sgpr17
.LBB86_581:
	s_andn2_b64 vcc, exec, s[14:15]
	v_mov_b32_e32 v3, s17
	s_cbranch_vccnz .LBB86_583
; %bb.582:
	v_mov_b32_e32 v3, 0x42800000
	v_add_f32_e64 v3, |s16|, v3
	v_and_b32_e32 v3, 0xff, v3
	v_cmp_ne_u32_e64 s[12:13], 0, v3
.LBB86_583:
	s_andn2_b64 vcc, exec, s[12:13]
	v_mov_b32_e32 v4, 0
	s_cbranch_vccnz .LBB86_585
; %bb.584:
	s_lshr_b32 s12, s16, 24
	s_and_b32 s12, s12, 0x80
	v_or_b32_e32 v4, s12, v3
.LBB86_585:
	s_mov_b64 s[12:13], 0
	global_store_byte v[0:1], v4, off
.LBB86_586:
	s_and_b64 vcc, exec, s[12:13]
	s_cbranch_vccz .LBB86_598
; %bb.587:
	s_lshl_b32 s14, s11, 16
	s_and_b32 s15, s14, 0x7fffffff
	s_cmp_lt_u32 s15, 0x43f00000
	s_cbranch_scc0 .LBB86_590
; %bb.588:
	s_cmp_gt_u32 s15, 0x3c7fffff
	s_cbranch_scc0 .LBB86_591
; %bb.589:
	s_bfe_u32 s12, s14, 0x10014
	s_add_i32 s12, s14, s12
	s_add_i32 s12, s12, 0x407ffff
	s_lshr_b32 s13, s12, 20
	s_and_b32 s12, s12, 0xff00000
	s_cmp_lg_u32 s12, 0x7f00000
	s_cselect_b32 s16, s13, 0x7e
	s_mov_b64 s[12:13], 0
	s_branch .LBB86_592
.LBB86_590:
	s_mov_b64 s[12:13], -1
                                        ; implicit-def: $vgpr3
	s_branch .LBB86_595
.LBB86_591:
	s_mov_b64 s[12:13], -1
                                        ; implicit-def: $sgpr16
.LBB86_592:
	s_andn2_b64 vcc, exec, s[12:13]
	v_mov_b32_e32 v3, s16
	s_cbranch_vccnz .LBB86_594
; %bb.593:
	v_mov_b32_e32 v3, 0x46800000
	v_add_f32_e64 v3, |s14|, v3
.LBB86_594:
	s_mov_b64 s[12:13], 0
.LBB86_595:
	s_andn2_b64 vcc, exec, s[12:13]
	s_cbranch_vccnz .LBB86_597
; %bb.596:
	s_cmp_gt_u32 s15, 0x7f800000
	s_movk_i32 s12, 0x7f
	s_cselect_b32 s12, s12, 0x7e
	v_mov_b32_e32 v3, s12
.LBB86_597:
	s_lshr_b32 s12, s14, 24
	s_and_b32 s12, s12, 0x80
	v_or_b32_e32 v3, s12, v3
	global_store_byte v[0:1], v3, off
.LBB86_598:
	s_mov_b64 s[12:13], 0
.LBB86_599:
	s_andn2_b64 vcc, exec, s[12:13]
	s_cbranch_vccnz .LBB86_611
; %bb.600:
	s_lshl_b32 s14, s11, 16
	s_and_b32 s15, s14, 0x7fffffff
	s_cmp_lt_u32 s15, 0x47800000
	s_cbranch_scc0 .LBB86_603
; %bb.601:
	s_cmp_gt_u32 s15, 0x387fffff
	s_cbranch_scc0 .LBB86_604
; %bb.602:
	s_bfe_u32 s12, s14, 0x10015
	s_add_i32 s12, s14, s12
	s_add_i32 s12, s12, 0x80fffff
	s_lshr_b32 s16, s12, 21
	s_mov_b64 s[12:13], 0
	s_branch .LBB86_605
.LBB86_603:
	s_mov_b64 s[12:13], -1
                                        ; implicit-def: $vgpr3
	s_branch .LBB86_608
.LBB86_604:
	s_mov_b64 s[12:13], -1
                                        ; implicit-def: $sgpr16
.LBB86_605:
	s_andn2_b64 vcc, exec, s[12:13]
	v_mov_b32_e32 v3, s16
	s_cbranch_vccnz .LBB86_607
; %bb.606:
	v_mov_b32_e32 v3, 0x43000000
	v_add_f32_e64 v3, |s14|, v3
.LBB86_607:
	s_mov_b64 s[12:13], 0
.LBB86_608:
	s_andn2_b64 vcc, exec, s[12:13]
	s_cbranch_vccnz .LBB86_610
; %bb.609:
	s_cmp_gt_u32 s15, 0x7f800000
	s_movk_i32 s12, 0x7f
	s_cselect_b32 s12, s12, 0x7c
	v_mov_b32_e32 v3, s12
.LBB86_610:
	s_lshr_b32 s12, s14, 24
	s_and_b32 s12, s12, 0x80
	v_or_b32_e32 v3, s12, v3
	global_store_byte v[0:1], v3, off
.LBB86_611:
	s_mov_b64 s[12:13], 0
	s_mov_b64 s[14:15], -1
.LBB86_612:
	s_andn2_b64 vcc, exec, s[12:13]
	s_mov_b64 s[12:13], 0
	s_cbranch_vccnz .LBB86_619
; %bb.613:
	s_cmp_gt_i32 s19, 14
	s_mov_b64 s[16:17], -1
	s_cbranch_scc0 .LBB86_617
; %bb.614:
	s_cmp_eq_u32 s19, 15
	s_mov_b64 s[4:5], -1
	s_cbranch_scc0 .LBB86_616
; %bb.615:
	v_mov_b32_e32 v3, s11
	global_store_short v[0:1], v3, off
	s_mov_b64 s[4:5], 0
	s_mov_b64 s[14:15], -1
.LBB86_616:
	s_mov_b64 s[16:17], 0
.LBB86_617:
	s_and_b64 vcc, exec, s[16:17]
	s_cbranch_vccz .LBB86_619
; %bb.618:
	s_cmp_lg_u32 s19, 11
	s_mov_b64 s[12:13], -1
	s_cselect_b64 s[4:5], -1, 0
.LBB86_619:
	s_and_b64 vcc, exec, s[4:5]
	s_cbranch_vccnz .LBB86_721
; %bb.620:
	s_andn2_b64 vcc, exec, s[12:13]
	s_cbranch_vccnz .LBB86_622
.LBB86_621:
	s_and_b32 s4, s11, 0x7fff7fff
	s_cmp_lg_u32 s4, 0
	s_cselect_b64 s[4:5], -1, 0
	v_cndmask_b32_e64 v3, 0, 1, s[4:5]
	s_mov_b64 s[14:15], -1
	global_store_byte v[0:1], v3, off
.LBB86_622:
	s_branch .LBB86_563
.LBB86_623:
	s_and_b32 s12, 0xffff, s18
	s_cmp_lt_i32 s12, 5
	s_mov_b64 s[4:5], -1
	s_cbranch_scc1 .LBB86_644
; %bb.624:
	s_cmp_lt_i32 s12, 8
	s_cbranch_scc1 .LBB86_634
; %bb.625:
	s_cmp_lt_i32 s12, 9
	s_cbranch_scc1 .LBB86_631
; %bb.626:
	s_cmp_gt_i32 s12, 9
	s_cbranch_scc0 .LBB86_628
; %bb.627:
	s_and_b32 s4, s11, 0xffff0000
	s_lshl_b32 s5, s11, 16
	v_cvt_f64_f32_e32 v[3:4], s5
	v_cvt_f64_f32_e32 v[5:6], s4
	s_mov_b64 s[4:5], 0
	global_store_dwordx4 v[0:1], v[3:6], off
.LBB86_628:
	s_andn2_b64 vcc, exec, s[4:5]
	s_cbranch_vccnz .LBB86_630
; %bb.629:
	s_and_b32 s4, s11, 0xffff0000
	s_lshl_b32 s5, s11, 16
	v_mov_b32_e32 v3, s5
	v_mov_b32_e32 v4, s4
	global_store_dwordx2 v[0:1], v[3:4], off
.LBB86_630:
	s_mov_b64 s[4:5], 0
.LBB86_631:
	s_andn2_b64 vcc, exec, s[4:5]
	s_cbranch_vccnz .LBB86_633
; %bb.632:
	s_and_b32 s4, s11, 0xffff0000
	s_lshl_b32 s5, s11, 16
	v_cvt_f16_f32_e32 v3, s5
	v_cvt_f16_f32_sdwa v4, s4 dst_sel:WORD_1 dst_unused:UNUSED_PAD src0_sel:DWORD
	v_or_b32_e32 v3, v4, v3
	global_store_dword v[0:1], v3, off
.LBB86_633:
	s_mov_b64 s[4:5], 0
.LBB86_634:
	s_andn2_b64 vcc, exec, s[4:5]
	s_cbranch_vccnz .LBB86_643
; %bb.635:
	s_cmp_lt_i32 s12, 6
	s_mov_b64 s[4:5], -1
	s_cbranch_scc1 .LBB86_641
; %bb.636:
	s_cmp_gt_i32 s12, 6
	s_cbranch_scc0 .LBB86_638
; %bb.637:
	s_lshl_b32 s4, s11, 16
	v_cvt_f64_f32_e32 v[3:4], s4
	s_mov_b64 s[4:5], 0
	global_store_dwordx2 v[0:1], v[3:4], off
.LBB86_638:
	s_andn2_b64 vcc, exec, s[4:5]
	s_cbranch_vccnz .LBB86_640
; %bb.639:
	s_lshl_b32 s4, s11, 16
	v_mov_b32_e32 v3, s4
	global_store_dword v[0:1], v3, off
.LBB86_640:
	s_mov_b64 s[4:5], 0
.LBB86_641:
	s_andn2_b64 vcc, exec, s[4:5]
	s_cbranch_vccnz .LBB86_643
; %bb.642:
	s_lshl_b32 s4, s11, 16
	v_cvt_f16_f32_e32 v3, s4
	global_store_short v[0:1], v3, off
.LBB86_643:
	s_mov_b64 s[4:5], 0
.LBB86_644:
	s_andn2_b64 vcc, exec, s[4:5]
	s_cbranch_vccnz .LBB86_660
; %bb.645:
	s_cmp_lt_i32 s12, 2
	s_mov_b64 s[4:5], -1
	s_cbranch_scc1 .LBB86_655
; %bb.646:
	s_cmp_lt_i32 s12, 3
	s_cbranch_scc1 .LBB86_652
; %bb.647:
	s_cmp_gt_i32 s12, 3
	s_cbranch_scc0 .LBB86_649
; %bb.648:
	s_lshl_b32 s4, s11, 16
	v_trunc_f32_e32 v3, s4
	s_mov_b32 s4, 0x2f800000
	v_mul_f32_e64 v4, |v3|, s4
	v_floor_f32_e32 v4, v4
	s_mov_b32 s4, 0xcf800000
	v_fma_f32 v5, v4, s4, |v3|
	v_cvt_u32_f32_e32 v5, v5
	v_cvt_u32_f32_e32 v4, v4
	v_ashrrev_i32_e32 v6, 31, v3
	s_mov_b64 s[4:5], 0
	v_xor_b32_e32 v3, v5, v6
	v_xor_b32_e32 v4, v4, v6
	v_sub_co_u32_e32 v3, vcc, v3, v6
	v_subb_co_u32_e32 v4, vcc, v4, v6, vcc
	global_store_dwordx2 v[0:1], v[3:4], off
.LBB86_649:
	s_andn2_b64 vcc, exec, s[4:5]
	s_cbranch_vccnz .LBB86_651
; %bb.650:
	s_lshl_b32 s4, s11, 16
	v_cvt_i32_f32_e32 v3, s4
	global_store_dword v[0:1], v3, off
.LBB86_651:
	s_mov_b64 s[4:5], 0
.LBB86_652:
	s_andn2_b64 vcc, exec, s[4:5]
	s_cbranch_vccnz .LBB86_654
; %bb.653:
	s_lshl_b32 s4, s11, 16
	v_cvt_i32_f32_e32 v3, s4
	global_store_short v[0:1], v3, off
.LBB86_654:
	s_mov_b64 s[4:5], 0
.LBB86_655:
	s_andn2_b64 vcc, exec, s[4:5]
	s_cbranch_vccnz .LBB86_660
; %bb.656:
	s_cmp_gt_i32 s12, 0
	s_mov_b64 s[4:5], -1
	s_cbranch_scc0 .LBB86_658
; %bb.657:
	s_lshl_b32 s4, s11, 16
	v_cvt_i32_f32_e32 v3, s4
	s_mov_b64 s[4:5], 0
	global_store_byte v[0:1], v3, off
.LBB86_658:
	s_andn2_b64 vcc, exec, s[4:5]
	s_cbranch_vccnz .LBB86_660
; %bb.659:
	s_lshl_b32 s4, s11, 16
	v_trunc_f32_e32 v3, s4
	s_mov_b32 s4, 0x2f800000
	v_mul_f32_e64 v4, |v3|, s4
	v_floor_f32_e32 v4, v4
	s_mov_b32 s4, 0xcf800000
	v_fma_f32 v4, v4, s4, |v3|
	v_cvt_u32_f32_e32 v4, v4
	v_ashrrev_i32_e32 v3, 31, v3
	v_xor_b32_e32 v4, v4, v3
	v_sub_u32_e32 v3, v4, v3
	global_store_byte v[0:1], v3, off
.LBB86_660:
.LBB86_661:
	v_add_u32_e32 v2, s10, v2
	v_ashrrev_i32_e32 v1, 31, v2
	v_mov_b32_e32 v3, s9
	v_add_co_u32_e32 v0, vcc, s8, v2
	s_cmp_lt_i32 s18, 11
	v_addc_co_u32_e32 v1, vcc, v3, v1, vcc
	s_cbranch_scc1 .LBB86_689
; %bb.662:
	s_and_b32 s19, 0xffff, s18
	s_mov_b64 s[16:17], -1
	s_mov_b64 s[12:13], 0
	s_cmp_gt_i32 s19, 25
	s_mov_b64 s[14:15], 0
	s_mov_b64 s[4:5], 0
	s_cbranch_scc0 .LBB86_730
; %bb.663:
	s_cmp_gt_i32 s19, 28
	s_cbranch_scc0 .LBB86_678
; %bb.664:
	s_cmp_gt_i32 s19, 43
	;; [unrolled: 3-line block ×3, first 2 shown]
	s_cbranch_scc0 .LBB86_668
; %bb.666:
	s_mov_b64 s[4:5], -1
	s_mov_b64 s[16:17], 0
	s_cmp_eq_u32 s19, 46
	s_cbranch_scc0 .LBB86_668
; %bb.667:
	v_mov_b32_e32 v3, s11
	global_store_dword v[0:1], v3, off
	s_mov_b64 s[4:5], 0
	s_mov_b64 s[14:15], -1
.LBB86_668:
	s_and_b64 vcc, exec, s[16:17]
	s_cbranch_vccz .LBB86_673
; %bb.669:
	s_cmp_eq_u32 s19, 44
	s_mov_b64 s[4:5], -1
	s_cbranch_scc0 .LBB86_673
; %bb.670:
	s_lshl_b32 s4, s11, 16
	s_bfe_u32 s5, s4, 0x80017
	s_cmpk_eq_i32 s5, 0xff
	v_mov_b32_e32 v3, 0xff
	s_cbranch_scc1 .LBB86_672
; %bb.671:
	s_bfe_u32 s16, s11, 0x90007
	s_bitcmp1_b32 s11, 6
	s_cselect_b64 s[14:15], -1, 0
	s_and_b32 s4, s4, 0x3f0000
	s_or_b32 s4, s5, s4
	s_cmp_lg_u32 s4, 0
	s_cselect_b64 s[4:5], -1, 0
	s_and_b64 s[4:5], s[14:15], s[4:5]
	v_cndmask_b32_e64 v3, 0, 1, s[4:5]
	v_add_u32_e32 v3, s16, v3
.LBB86_672:
	s_mov_b64 s[4:5], 0
	s_mov_b64 s[14:15], -1
	global_store_byte v[0:1], v3, off
.LBB86_673:
	s_mov_b64 s[16:17], 0
.LBB86_674:
	s_and_b64 vcc, exec, s[16:17]
	s_cbranch_vccz .LBB86_677
; %bb.675:
	s_cmp_eq_u32 s19, 29
	s_mov_b64 s[4:5], -1
	s_cbranch_scc0 .LBB86_677
; %bb.676:
	s_lshl_b32 s4, s11, 16
	v_trunc_f32_e32 v3, s4
	v_mul_f32_e32 v4, 0x2f800000, v3
	v_floor_f32_e32 v4, v4
	v_fmac_f32_e32 v3, 0xcf800000, v4
	v_cvt_u32_f32_e32 v4, v4
	v_cvt_u32_f32_e32 v3, v3
	s_mov_b64 s[4:5], 0
	s_mov_b64 s[14:15], -1
	global_store_dwordx2 v[0:1], v[3:4], off
.LBB86_677:
	s_mov_b64 s[16:17], 0
.LBB86_678:
	s_and_b64 vcc, exec, s[16:17]
	s_cbranch_vccz .LBB86_729
; %bb.679:
	s_cmp_lt_i32 s19, 27
	s_mov_b64 s[14:15], -1
	s_cbranch_scc1 .LBB86_685
; %bb.680:
	s_cmp_gt_i32 s19, 27
	s_cbranch_scc0 .LBB86_682
; %bb.681:
	s_lshl_b32 s14, s11, 16
	v_cvt_u32_f32_e32 v3, s14
	s_mov_b64 s[14:15], 0
	global_store_dword v[0:1], v3, off
.LBB86_682:
	s_andn2_b64 vcc, exec, s[14:15]
	s_cbranch_vccnz .LBB86_684
; %bb.683:
	s_lshl_b32 s14, s11, 16
	v_cvt_u32_f32_e32 v3, s14
	global_store_short v[0:1], v3, off
.LBB86_684:
	s_mov_b64 s[14:15], 0
.LBB86_685:
	s_andn2_b64 vcc, exec, s[14:15]
	s_cbranch_vccnz .LBB86_728
; %bb.686:
	s_lshl_b32 s20, s11, 16
	s_and_b32 s14, s20, 0x7fffffff
	s_cmp_gt_u32 s14, 0x437fffff
	v_mov_b32_e32 v4, 0x80
	s_cbranch_scc1 .LBB86_727
; %bb.687:
	s_cmp_gt_u32 s14, 0x3bffffff
	s_cbranch_scc0 .LBB86_722
; %bb.688:
	s_bfe_u32 s14, s20, 0x10014
	s_add_i32 s14, s20, s14
	s_add_i32 s14, s14, 0x487ffff
	s_lshr_b32 s21, s14, 20
	s_mov_b64 s[16:17], 0
	s_mov_b64 s[14:15], -1
	s_branch .LBB86_723
.LBB86_689:
	s_mov_b64 s[14:15], 0
	s_cbranch_execnz .LBB86_794
.LBB86_690:
	s_andn2_b64 vcc, exec, s[14:15]
	s_cbranch_vccnz .LBB86_832
.LBB86_691:
	v_add_u32_e32 v0, s10, v2
	v_ashrrev_i32_e32 v1, 31, v0
	v_mov_b32_e32 v2, s9
	v_add_co_u32_e32 v0, vcc, s8, v0
	s_cmp_lt_i32 s18, 11
	v_addc_co_u32_e32 v1, vcc, v2, v1, vcc
	s_cbranch_scc1 .LBB86_720
; %bb.692:
	s_and_b32 s10, 0xffff, s18
	s_mov_b64 s[12:13], -1
	s_mov_b64 s[8:9], 0
	s_cmp_gt_i32 s10, 25
	s_mov_b64 s[4:5], 0
	s_cbranch_scc0 .LBB86_744
; %bb.693:
	s_cmp_gt_i32 s10, 28
	s_cbranch_scc0 .LBB86_709
; %bb.694:
	s_cmp_gt_i32 s10, 43
	;; [unrolled: 3-line block ×3, first 2 shown]
	s_cbranch_scc0 .LBB86_699
; %bb.696:
	s_cmp_eq_u32 s10, 46
	s_mov_b64 s[4:5], -1
	s_cbranch_scc0 .LBB86_698
; %bb.697:
	v_mov_b32_e32 v2, s11
	global_store_dword v[0:1], v2, off
	s_mov_b64 s[4:5], 0
.LBB86_698:
	s_mov_b64 s[12:13], 0
.LBB86_699:
	s_and_b64 vcc, exec, s[12:13]
	s_cbranch_vccz .LBB86_704
; %bb.700:
	s_cmp_eq_u32 s10, 44
	s_mov_b64 s[4:5], -1
	s_cbranch_scc0 .LBB86_704
; %bb.701:
	s_lshl_b32 s4, s11, 16
	s_bfe_u32 s5, s4, 0x80017
	s_cmpk_eq_i32 s5, 0xff
	v_mov_b32_e32 v2, 0xff
	s_cbranch_scc1 .LBB86_703
; %bb.702:
	s_bfe_u32 s14, s11, 0x90007
	s_bitcmp1_b32 s11, 6
	s_cselect_b64 s[12:13], -1, 0
	s_and_b32 s4, s4, 0x3f0000
	s_or_b32 s4, s5, s4
	s_cmp_lg_u32 s4, 0
	s_cselect_b64 s[4:5], -1, 0
	s_and_b64 s[4:5], s[12:13], s[4:5]
	v_cndmask_b32_e64 v2, 0, 1, s[4:5]
	v_add_u32_e32 v2, s14, v2
.LBB86_703:
	s_mov_b64 s[4:5], 0
	global_store_byte v[0:1], v2, off
.LBB86_704:
	s_mov_b64 s[12:13], 0
.LBB86_705:
	s_and_b64 vcc, exec, s[12:13]
	s_cbranch_vccz .LBB86_708
; %bb.706:
	s_cmp_eq_u32 s10, 29
	s_mov_b64 s[4:5], -1
	s_cbranch_scc0 .LBB86_708
; %bb.707:
	s_lshl_b32 s4, s11, 16
	v_trunc_f32_e32 v2, s4
	v_mul_f32_e32 v3, 0x2f800000, v2
	v_floor_f32_e32 v3, v3
	v_fmac_f32_e32 v2, 0xcf800000, v3
	v_cvt_u32_f32_e32 v3, v3
	v_cvt_u32_f32_e32 v2, v2
	s_mov_b64 s[4:5], 0
	global_store_dwordx2 v[0:1], v[2:3], off
.LBB86_708:
	s_mov_b64 s[12:13], 0
.LBB86_709:
	s_and_b64 vcc, exec, s[12:13]
	s_cbranch_vccz .LBB86_743
; %bb.710:
	s_cmp_lt_i32 s10, 27
	s_mov_b64 s[12:13], -1
	s_cbranch_scc1 .LBB86_716
; %bb.711:
	s_cmp_gt_i32 s10, 27
	s_cbranch_scc0 .LBB86_713
; %bb.712:
	s_lshl_b32 s12, s11, 16
	v_cvt_u32_f32_e32 v2, s12
	s_mov_b64 s[12:13], 0
	global_store_dword v[0:1], v2, off
.LBB86_713:
	s_andn2_b64 vcc, exec, s[12:13]
	s_cbranch_vccnz .LBB86_715
; %bb.714:
	s_lshl_b32 s12, s11, 16
	v_cvt_u32_f32_e32 v2, s12
	global_store_short v[0:1], v2, off
.LBB86_715:
	s_mov_b64 s[12:13], 0
.LBB86_716:
	s_andn2_b64 vcc, exec, s[12:13]
	s_cbranch_vccnz .LBB86_743
; %bb.717:
	s_lshl_b32 s16, s11, 16
	s_and_b32 s12, s16, 0x7fffffff
	s_cmp_gt_u32 s12, 0x437fffff
	v_mov_b32_e32 v3, 0x80
	s_cbranch_scc1 .LBB86_742
; %bb.718:
	s_cmp_gt_u32 s12, 0x3bffffff
	s_cbranch_scc0 .LBB86_737
; %bb.719:
	s_bfe_u32 s12, s16, 0x10014
	s_add_i32 s12, s16, s12
	s_add_i32 s12, s12, 0x487ffff
	s_lshr_b32 s17, s12, 20
	s_mov_b64 s[14:15], 0
	s_mov_b64 s[12:13], -1
	s_branch .LBB86_738
.LBB86_720:
	s_mov_b64 s[8:9], 0
	s_mov_b64 s[4:5], -1
	s_branch .LBB86_833
.LBB86_721:
	s_trap 2
	s_or_b64 s[6:7], s[6:7], exec
	s_cbranch_execz .LBB86_621
	s_branch .LBB86_622
.LBB86_722:
	s_mov_b64 s[16:17], -1
	s_mov_b64 s[14:15], 0
                                        ; implicit-def: $sgpr21
.LBB86_723:
	s_andn2_b64 vcc, exec, s[16:17]
	v_mov_b32_e32 v3, s21
	s_cbranch_vccnz .LBB86_725
; %bb.724:
	v_mov_b32_e32 v3, 0x46000000
	v_add_f32_e64 v3, |s20|, v3
	v_and_b32_e32 v3, 0xff, v3
	v_cmp_ne_u32_e64 s[14:15], 0, v3
.LBB86_725:
	s_andn2_b64 vcc, exec, s[14:15]
	v_mov_b32_e32 v4, 0
	s_cbranch_vccnz .LBB86_727
; %bb.726:
	s_lshr_b32 s14, s20, 24
	s_and_b32 s14, s14, 0x80
	v_or_b32_e32 v4, s14, v3
.LBB86_727:
	global_store_byte v[0:1], v4, off
.LBB86_728:
	s_mov_b64 s[14:15], -1
.LBB86_729:
	s_mov_b64 s[16:17], 0
.LBB86_730:
	s_and_b64 vcc, exec, s[16:17]
	s_cbranch_vccz .LBB86_790
; %bb.731:
	s_cmp_gt_i32 s19, 22
	s_mov_b64 s[12:13], -1
	s_cbranch_scc0 .LBB86_783
; %bb.732:
	s_cmp_lt_i32 s19, 24
	s_cbranch_scc1 .LBB86_770
; %bb.733:
	s_cmp_gt_i32 s19, 24
	s_cbranch_scc0 .LBB86_757
; %bb.734:
	s_lshl_b32 s16, s11, 16
	s_and_b32 s12, s16, 0x7fffffff
	s_cmp_gt_u32 s12, 0x477fffff
	v_mov_b32_e32 v4, 0x80
	s_cbranch_scc1 .LBB86_756
; %bb.735:
	s_cmp_gt_u32 s12, 0x37ffffff
	s_cbranch_scc0 .LBB86_751
; %bb.736:
	s_bfe_u32 s12, s16, 0x10015
	s_add_i32 s12, s16, s12
	s_add_i32 s12, s12, 0x88fffff
	s_lshr_b32 s17, s12, 21
	s_mov_b64 s[14:15], 0
	s_mov_b64 s[12:13], -1
	s_branch .LBB86_752
.LBB86_737:
	s_mov_b64 s[14:15], -1
	s_mov_b64 s[12:13], 0
                                        ; implicit-def: $sgpr17
.LBB86_738:
	s_andn2_b64 vcc, exec, s[14:15]
	v_mov_b32_e32 v2, s17
	s_cbranch_vccnz .LBB86_740
; %bb.739:
	v_mov_b32_e32 v2, 0x46000000
	v_add_f32_e64 v2, |s16|, v2
	v_and_b32_e32 v2, 0xff, v2
	v_cmp_ne_u32_e64 s[12:13], 0, v2
.LBB86_740:
	s_andn2_b64 vcc, exec, s[12:13]
	v_mov_b32_e32 v3, 0
	s_cbranch_vccnz .LBB86_742
; %bb.741:
	s_lshr_b32 s12, s16, 24
	s_and_b32 s12, s12, 0x80
	v_or_b32_e32 v3, s12, v2
.LBB86_742:
	global_store_byte v[0:1], v3, off
.LBB86_743:
	s_mov_b64 s[12:13], 0
.LBB86_744:
	s_and_b64 vcc, exec, s[12:13]
	s_cbranch_vccz .LBB86_914
; %bb.745:
	s_cmp_gt_i32 s10, 22
	s_mov_b64 s[8:9], -1
	s_cbranch_scc0 .LBB86_907
; %bb.746:
	s_cmp_lt_i32 s10, 24
	s_cbranch_scc1 .LBB86_894
; %bb.747:
	s_cmp_gt_i32 s10, 24
	s_cbranch_scc0 .LBB86_881
; %bb.748:
	s_lshl_b32 s14, s11, 16
	s_and_b32 s8, s14, 0x7fffffff
	s_cmp_gt_u32 s8, 0x477fffff
	v_mov_b32_e32 v3, 0x80
	s_cbranch_scc1 .LBB86_880
; %bb.749:
	s_cmp_gt_u32 s8, 0x37ffffff
	s_cbranch_scc0 .LBB86_875
; %bb.750:
	s_bfe_u32 s8, s14, 0x10015
	s_add_i32 s8, s14, s8
	s_add_i32 s8, s8, 0x88fffff
	s_lshr_b32 s15, s8, 21
	s_mov_b64 s[12:13], 0
	s_mov_b64 s[8:9], -1
	s_branch .LBB86_876
.LBB86_751:
	s_mov_b64 s[14:15], -1
	s_mov_b64 s[12:13], 0
                                        ; implicit-def: $sgpr17
.LBB86_752:
	s_andn2_b64 vcc, exec, s[14:15]
	v_mov_b32_e32 v3, s17
	s_cbranch_vccnz .LBB86_754
; %bb.753:
	v_mov_b32_e32 v3, 0x42800000
	v_add_f32_e64 v3, |s16|, v3
	v_and_b32_e32 v3, 0xff, v3
	v_cmp_ne_u32_e64 s[12:13], 0, v3
.LBB86_754:
	s_andn2_b64 vcc, exec, s[12:13]
	v_mov_b32_e32 v4, 0
	s_cbranch_vccnz .LBB86_756
; %bb.755:
	s_lshr_b32 s12, s16, 24
	s_and_b32 s12, s12, 0x80
	v_or_b32_e32 v4, s12, v3
.LBB86_756:
	s_mov_b64 s[12:13], 0
	global_store_byte v[0:1], v4, off
.LBB86_757:
	s_and_b64 vcc, exec, s[12:13]
	s_cbranch_vccz .LBB86_769
; %bb.758:
	s_lshl_b32 s14, s11, 16
	s_and_b32 s15, s14, 0x7fffffff
	s_cmp_lt_u32 s15, 0x43f00000
	s_cbranch_scc0 .LBB86_761
; %bb.759:
	s_cmp_gt_u32 s15, 0x3c7fffff
	s_cbranch_scc0 .LBB86_762
; %bb.760:
	s_bfe_u32 s12, s14, 0x10014
	s_add_i32 s12, s14, s12
	s_add_i32 s12, s12, 0x407ffff
	s_lshr_b32 s13, s12, 20
	s_and_b32 s12, s12, 0xff00000
	s_cmp_lg_u32 s12, 0x7f00000
	s_cselect_b32 s16, s13, 0x7e
	s_mov_b64 s[12:13], 0
	s_branch .LBB86_763
.LBB86_761:
	s_mov_b64 s[12:13], -1
                                        ; implicit-def: $vgpr3
	s_branch .LBB86_766
.LBB86_762:
	s_mov_b64 s[12:13], -1
                                        ; implicit-def: $sgpr16
.LBB86_763:
	s_andn2_b64 vcc, exec, s[12:13]
	v_mov_b32_e32 v3, s16
	s_cbranch_vccnz .LBB86_765
; %bb.764:
	v_mov_b32_e32 v3, 0x46800000
	v_add_f32_e64 v3, |s14|, v3
.LBB86_765:
	s_mov_b64 s[12:13], 0
.LBB86_766:
	s_andn2_b64 vcc, exec, s[12:13]
	s_cbranch_vccnz .LBB86_768
; %bb.767:
	s_cmp_gt_u32 s15, 0x7f800000
	s_movk_i32 s12, 0x7f
	s_cselect_b32 s12, s12, 0x7e
	v_mov_b32_e32 v3, s12
.LBB86_768:
	s_lshr_b32 s12, s14, 24
	s_and_b32 s12, s12, 0x80
	v_or_b32_e32 v3, s12, v3
	global_store_byte v[0:1], v3, off
.LBB86_769:
	s_mov_b64 s[12:13], 0
.LBB86_770:
	s_andn2_b64 vcc, exec, s[12:13]
	s_cbranch_vccnz .LBB86_782
; %bb.771:
	s_lshl_b32 s14, s11, 16
	s_and_b32 s15, s14, 0x7fffffff
	s_cmp_lt_u32 s15, 0x47800000
	s_cbranch_scc0 .LBB86_774
; %bb.772:
	s_cmp_gt_u32 s15, 0x387fffff
	s_cbranch_scc0 .LBB86_775
; %bb.773:
	s_bfe_u32 s12, s14, 0x10015
	s_add_i32 s12, s14, s12
	s_add_i32 s12, s12, 0x80fffff
	s_lshr_b32 s16, s12, 21
	s_mov_b64 s[12:13], 0
	s_branch .LBB86_776
.LBB86_774:
	s_mov_b64 s[12:13], -1
                                        ; implicit-def: $vgpr3
	s_branch .LBB86_779
.LBB86_775:
	s_mov_b64 s[12:13], -1
                                        ; implicit-def: $sgpr16
.LBB86_776:
	s_andn2_b64 vcc, exec, s[12:13]
	v_mov_b32_e32 v3, s16
	s_cbranch_vccnz .LBB86_778
; %bb.777:
	v_mov_b32_e32 v3, 0x43000000
	v_add_f32_e64 v3, |s14|, v3
.LBB86_778:
	s_mov_b64 s[12:13], 0
.LBB86_779:
	s_andn2_b64 vcc, exec, s[12:13]
	s_cbranch_vccnz .LBB86_781
; %bb.780:
	s_cmp_gt_u32 s15, 0x7f800000
	s_movk_i32 s12, 0x7f
	s_cselect_b32 s12, s12, 0x7c
	v_mov_b32_e32 v3, s12
.LBB86_781:
	s_lshr_b32 s12, s14, 24
	s_and_b32 s12, s12, 0x80
	v_or_b32_e32 v3, s12, v3
	global_store_byte v[0:1], v3, off
.LBB86_782:
	s_mov_b64 s[12:13], 0
	s_mov_b64 s[14:15], -1
.LBB86_783:
	s_andn2_b64 vcc, exec, s[12:13]
	s_mov_b64 s[12:13], 0
	s_cbranch_vccnz .LBB86_790
; %bb.784:
	s_cmp_gt_i32 s19, 14
	s_mov_b64 s[16:17], -1
	s_cbranch_scc0 .LBB86_788
; %bb.785:
	s_cmp_eq_u32 s19, 15
	s_mov_b64 s[4:5], -1
	s_cbranch_scc0 .LBB86_787
; %bb.786:
	v_mov_b32_e32 v3, s11
	global_store_short v[0:1], v3, off
	s_mov_b64 s[4:5], 0
	s_mov_b64 s[14:15], -1
.LBB86_787:
	s_mov_b64 s[16:17], 0
.LBB86_788:
	s_and_b64 vcc, exec, s[16:17]
	s_cbranch_vccz .LBB86_790
; %bb.789:
	s_cmp_lg_u32 s19, 11
	s_mov_b64 s[12:13], -1
	s_cselect_b64 s[4:5], -1, 0
.LBB86_790:
	s_and_b64 vcc, exec, s[4:5]
	s_cbranch_vccnz .LBB86_874
; %bb.791:
	s_andn2_b64 vcc, exec, s[12:13]
	s_cbranch_vccnz .LBB86_793
.LBB86_792:
	s_and_b32 s4, s11, 0x7fff7fff
	s_cmp_lg_u32 s4, 0
	s_cselect_b64 s[4:5], -1, 0
	v_cndmask_b32_e64 v3, 0, 1, s[4:5]
	s_mov_b64 s[14:15], -1
	global_store_byte v[0:1], v3, off
.LBB86_793:
	s_branch .LBB86_690
.LBB86_794:
	s_and_b32 s12, 0xffff, s18
	s_cmp_lt_i32 s12, 5
	s_mov_b64 s[4:5], -1
	s_cbranch_scc1 .LBB86_815
; %bb.795:
	s_cmp_lt_i32 s12, 8
	s_cbranch_scc1 .LBB86_805
; %bb.796:
	s_cmp_lt_i32 s12, 9
	s_cbranch_scc1 .LBB86_802
; %bb.797:
	s_cmp_gt_i32 s12, 9
	s_cbranch_scc0 .LBB86_799
; %bb.798:
	s_and_b32 s4, s11, 0xffff0000
	s_lshl_b32 s5, s11, 16
	v_cvt_f64_f32_e32 v[3:4], s5
	v_cvt_f64_f32_e32 v[5:6], s4
	s_mov_b64 s[4:5], 0
	global_store_dwordx4 v[0:1], v[3:6], off
.LBB86_799:
	s_andn2_b64 vcc, exec, s[4:5]
	s_cbranch_vccnz .LBB86_801
; %bb.800:
	s_and_b32 s4, s11, 0xffff0000
	s_lshl_b32 s5, s11, 16
	v_mov_b32_e32 v3, s5
	v_mov_b32_e32 v4, s4
	global_store_dwordx2 v[0:1], v[3:4], off
.LBB86_801:
	s_mov_b64 s[4:5], 0
.LBB86_802:
	s_andn2_b64 vcc, exec, s[4:5]
	s_cbranch_vccnz .LBB86_804
; %bb.803:
	s_and_b32 s4, s11, 0xffff0000
	s_lshl_b32 s5, s11, 16
	v_cvt_f16_f32_e32 v3, s5
	v_cvt_f16_f32_sdwa v4, s4 dst_sel:WORD_1 dst_unused:UNUSED_PAD src0_sel:DWORD
	v_or_b32_e32 v3, v4, v3
	global_store_dword v[0:1], v3, off
.LBB86_804:
	s_mov_b64 s[4:5], 0
.LBB86_805:
	s_andn2_b64 vcc, exec, s[4:5]
	s_cbranch_vccnz .LBB86_814
; %bb.806:
	s_cmp_lt_i32 s12, 6
	s_mov_b64 s[4:5], -1
	s_cbranch_scc1 .LBB86_812
; %bb.807:
	s_cmp_gt_i32 s12, 6
	s_cbranch_scc0 .LBB86_809
; %bb.808:
	s_lshl_b32 s4, s11, 16
	v_cvt_f64_f32_e32 v[3:4], s4
	s_mov_b64 s[4:5], 0
	global_store_dwordx2 v[0:1], v[3:4], off
.LBB86_809:
	s_andn2_b64 vcc, exec, s[4:5]
	s_cbranch_vccnz .LBB86_811
; %bb.810:
	s_lshl_b32 s4, s11, 16
	v_mov_b32_e32 v3, s4
	global_store_dword v[0:1], v3, off
.LBB86_811:
	s_mov_b64 s[4:5], 0
.LBB86_812:
	s_andn2_b64 vcc, exec, s[4:5]
	s_cbranch_vccnz .LBB86_814
; %bb.813:
	s_lshl_b32 s4, s11, 16
	v_cvt_f16_f32_e32 v3, s4
	global_store_short v[0:1], v3, off
.LBB86_814:
	s_mov_b64 s[4:5], 0
.LBB86_815:
	s_andn2_b64 vcc, exec, s[4:5]
	s_cbranch_vccnz .LBB86_831
; %bb.816:
	s_cmp_lt_i32 s12, 2
	s_mov_b64 s[4:5], -1
	s_cbranch_scc1 .LBB86_826
; %bb.817:
	s_cmp_lt_i32 s12, 3
	s_cbranch_scc1 .LBB86_823
; %bb.818:
	s_cmp_gt_i32 s12, 3
	s_cbranch_scc0 .LBB86_820
; %bb.819:
	s_lshl_b32 s4, s11, 16
	v_trunc_f32_e32 v3, s4
	s_mov_b32 s4, 0x2f800000
	v_mul_f32_e64 v4, |v3|, s4
	v_floor_f32_e32 v4, v4
	s_mov_b32 s4, 0xcf800000
	v_fma_f32 v5, v4, s4, |v3|
	v_cvt_u32_f32_e32 v5, v5
	v_cvt_u32_f32_e32 v4, v4
	v_ashrrev_i32_e32 v6, 31, v3
	s_mov_b64 s[4:5], 0
	v_xor_b32_e32 v3, v5, v6
	v_xor_b32_e32 v4, v4, v6
	v_sub_co_u32_e32 v3, vcc, v3, v6
	v_subb_co_u32_e32 v4, vcc, v4, v6, vcc
	global_store_dwordx2 v[0:1], v[3:4], off
.LBB86_820:
	s_andn2_b64 vcc, exec, s[4:5]
	s_cbranch_vccnz .LBB86_822
; %bb.821:
	s_lshl_b32 s4, s11, 16
	v_cvt_i32_f32_e32 v3, s4
	global_store_dword v[0:1], v3, off
.LBB86_822:
	s_mov_b64 s[4:5], 0
.LBB86_823:
	s_andn2_b64 vcc, exec, s[4:5]
	s_cbranch_vccnz .LBB86_825
; %bb.824:
	s_lshl_b32 s4, s11, 16
	v_cvt_i32_f32_e32 v3, s4
	global_store_short v[0:1], v3, off
.LBB86_825:
	s_mov_b64 s[4:5], 0
.LBB86_826:
	s_andn2_b64 vcc, exec, s[4:5]
	s_cbranch_vccnz .LBB86_831
; %bb.827:
	s_cmp_gt_i32 s12, 0
	s_mov_b64 s[4:5], -1
	s_cbranch_scc0 .LBB86_829
; %bb.828:
	s_lshl_b32 s4, s11, 16
	v_cvt_i32_f32_e32 v3, s4
	s_mov_b64 s[4:5], 0
	global_store_byte v[0:1], v3, off
.LBB86_829:
	s_andn2_b64 vcc, exec, s[4:5]
	s_cbranch_vccnz .LBB86_831
; %bb.830:
	s_lshl_b32 s4, s11, 16
	v_trunc_f32_e32 v3, s4
	s_mov_b32 s4, 0x2f800000
	v_mul_f32_e64 v4, |v3|, s4
	v_floor_f32_e32 v4, v4
	s_mov_b32 s4, 0xcf800000
	v_fma_f32 v4, v4, s4, |v3|
	v_cvt_u32_f32_e32 v4, v4
	v_ashrrev_i32_e32 v3, 31, v3
	v_xor_b32_e32 v4, v4, v3
	v_sub_u32_e32 v3, v4, v3
	global_store_byte v[0:1], v3, off
.LBB86_831:
	s_branch .LBB86_691
.LBB86_832:
	s_mov_b64 s[4:5], 0
	s_mov_b64 s[8:9], 0
                                        ; implicit-def: $sgpr18
                                        ; implicit-def: $vgpr0_vgpr1
.LBB86_833:
	s_andn2_b64 s[0:1], s[0:1], exec
	s_and_b64 s[6:7], s[6:7], exec
	s_and_b64 s[12:13], s[4:5], exec
	;; [unrolled: 1-line block ×3, first 2 shown]
	s_or_b64 s[0:1], s[0:1], s[6:7]
	s_or_b64 exec, exec, s[2:3]
	s_and_saveexec_b64 s[2:3], s[0:1]
	s_cbranch_execnz .LBB86_434
.LBB86_834:
	s_or_b64 exec, exec, s[2:3]
	s_and_saveexec_b64 s[0:1], s[4:5]
	s_xor_b64 s[0:1], exec, s[0:1]
	s_cbranch_execz .LBB86_435
.LBB86_835:
	s_and_b32 s2, s11, 0x7fff7fff
	s_cmp_lg_u32 s2, 0
	s_cselect_b64 s[2:3], -1, 0
	v_cndmask_b32_e64 v2, 0, 1, s[2:3]
	global_store_byte v[0:1], v2, off
	s_or_b64 exec, exec, s[0:1]
	s_and_saveexec_b64 s[0:1], s[12:13]
	s_cbranch_execz .LBB86_873
.LBB86_836:
	s_sext_i32_i16 s2, s18
	s_cmp_lt_i32 s2, 5
	s_mov_b64 s[0:1], -1
	s_cbranch_scc1 .LBB86_857
; %bb.837:
	s_cmp_lt_i32 s2, 8
	s_cbranch_scc1 .LBB86_847
; %bb.838:
	s_cmp_lt_i32 s2, 9
	s_cbranch_scc1 .LBB86_844
; %bb.839:
	s_cmp_gt_i32 s2, 9
	s_cbranch_scc0 .LBB86_841
; %bb.840:
	s_and_b32 s0, s11, 0xffff0000
	s_lshl_b32 s1, s11, 16
	v_cvt_f64_f32_e32 v[2:3], s1
	v_cvt_f64_f32_e32 v[4:5], s0
	s_mov_b64 s[0:1], 0
	global_store_dwordx4 v[0:1], v[2:5], off
.LBB86_841:
	s_andn2_b64 vcc, exec, s[0:1]
	s_cbranch_vccnz .LBB86_843
; %bb.842:
	s_and_b32 s0, s11, 0xffff0000
	s_lshl_b32 s1, s11, 16
	v_mov_b32_e32 v2, s1
	v_mov_b32_e32 v3, s0
	global_store_dwordx2 v[0:1], v[2:3], off
.LBB86_843:
	s_mov_b64 s[0:1], 0
.LBB86_844:
	s_andn2_b64 vcc, exec, s[0:1]
	s_cbranch_vccnz .LBB86_846
; %bb.845:
	s_and_b32 s0, s11, 0xffff0000
	s_lshl_b32 s1, s11, 16
	v_cvt_f16_f32_e32 v2, s1
	v_cvt_f16_f32_sdwa v3, s0 dst_sel:WORD_1 dst_unused:UNUSED_PAD src0_sel:DWORD
	v_or_b32_e32 v2, v3, v2
	global_store_dword v[0:1], v2, off
.LBB86_846:
	s_mov_b64 s[0:1], 0
.LBB86_847:
	s_andn2_b64 vcc, exec, s[0:1]
	s_cbranch_vccnz .LBB86_856
; %bb.848:
	s_sext_i32_i16 s2, s18
	s_cmp_lt_i32 s2, 6
	s_mov_b64 s[0:1], -1
	s_cbranch_scc1 .LBB86_854
; %bb.849:
	s_cmp_gt_i32 s2, 6
	s_cbranch_scc0 .LBB86_851
; %bb.850:
	s_lshl_b32 s0, s11, 16
	v_cvt_f64_f32_e32 v[2:3], s0
	s_mov_b64 s[0:1], 0
	global_store_dwordx2 v[0:1], v[2:3], off
.LBB86_851:
	s_andn2_b64 vcc, exec, s[0:1]
	s_cbranch_vccnz .LBB86_853
; %bb.852:
	s_lshl_b32 s0, s11, 16
	v_mov_b32_e32 v2, s0
	global_store_dword v[0:1], v2, off
.LBB86_853:
	s_mov_b64 s[0:1], 0
.LBB86_854:
	s_andn2_b64 vcc, exec, s[0:1]
	s_cbranch_vccnz .LBB86_856
; %bb.855:
	s_lshl_b32 s0, s11, 16
	v_cvt_f16_f32_e32 v2, s0
	global_store_short v[0:1], v2, off
.LBB86_856:
	s_mov_b64 s[0:1], 0
.LBB86_857:
	s_andn2_b64 vcc, exec, s[0:1]
	s_cbranch_vccnz .LBB86_873
; %bb.858:
	s_sext_i32_i16 s2, s18
	s_cmp_lt_i32 s2, 2
	s_mov_b64 s[0:1], -1
	s_cbranch_scc1 .LBB86_868
; %bb.859:
	s_cmp_lt_i32 s2, 3
	s_cbranch_scc1 .LBB86_865
; %bb.860:
	s_cmp_gt_i32 s2, 3
	s_cbranch_scc0 .LBB86_862
; %bb.861:
	s_lshl_b32 s0, s11, 16
	v_trunc_f32_e32 v2, s0
	s_mov_b32 s0, 0x2f800000
	v_mul_f32_e64 v3, |v2|, s0
	v_floor_f32_e32 v3, v3
	s_mov_b32 s0, 0xcf800000
	v_fma_f32 v4, v3, s0, |v2|
	v_cvt_u32_f32_e32 v4, v4
	v_cvt_u32_f32_e32 v3, v3
	v_ashrrev_i32_e32 v5, 31, v2
	s_mov_b64 s[0:1], 0
	v_xor_b32_e32 v2, v4, v5
	v_xor_b32_e32 v3, v3, v5
	v_sub_co_u32_e32 v2, vcc, v2, v5
	v_subb_co_u32_e32 v3, vcc, v3, v5, vcc
	global_store_dwordx2 v[0:1], v[2:3], off
.LBB86_862:
	s_andn2_b64 vcc, exec, s[0:1]
	s_cbranch_vccnz .LBB86_864
; %bb.863:
	s_lshl_b32 s0, s11, 16
	v_cvt_i32_f32_e32 v2, s0
	global_store_dword v[0:1], v2, off
.LBB86_864:
	s_mov_b64 s[0:1], 0
.LBB86_865:
	s_andn2_b64 vcc, exec, s[0:1]
	s_cbranch_vccnz .LBB86_867
; %bb.866:
	s_lshl_b32 s0, s11, 16
	v_cvt_i32_f32_e32 v2, s0
	global_store_short v[0:1], v2, off
.LBB86_867:
	s_mov_b64 s[0:1], 0
.LBB86_868:
	s_andn2_b64 vcc, exec, s[0:1]
	s_cbranch_vccnz .LBB86_873
; %bb.869:
	s_sext_i32_i16 s0, s18
	s_cmp_gt_i32 s0, 0
	s_mov_b64 s[0:1], -1
	s_cbranch_scc0 .LBB86_871
; %bb.870:
	s_lshl_b32 s0, s11, 16
	v_cvt_i32_f32_e32 v2, s0
	s_mov_b64 s[0:1], 0
	global_store_byte v[0:1], v2, off
.LBB86_871:
	s_andn2_b64 vcc, exec, s[0:1]
	s_cbranch_vccnz .LBB86_873
; %bb.872:
	s_lshl_b32 s0, s11, 16
	v_trunc_f32_e32 v2, s0
	s_mov_b32 s0, 0x2f800000
	v_mul_f32_e64 v3, |v2|, s0
	v_floor_f32_e32 v3, v3
	s_mov_b32 s0, 0xcf800000
	v_fma_f32 v3, v3, s0, |v2|
	v_cvt_u32_f32_e32 v3, v3
	v_ashrrev_i32_e32 v2, 31, v2
	v_xor_b32_e32 v3, v3, v2
	v_sub_u32_e32 v2, v3, v2
	global_store_byte v[0:1], v2, off
	s_endpgm
.LBB86_873:
	s_endpgm
.LBB86_874:
	s_trap 2
	s_or_b64 s[6:7], s[6:7], exec
	s_cbranch_execz .LBB86_792
	s_branch .LBB86_793
.LBB86_875:
	s_mov_b64 s[12:13], -1
	s_mov_b64 s[8:9], 0
                                        ; implicit-def: $sgpr15
.LBB86_876:
	s_andn2_b64 vcc, exec, s[12:13]
	v_mov_b32_e32 v2, s15
	s_cbranch_vccnz .LBB86_878
; %bb.877:
	v_mov_b32_e32 v2, 0x42800000
	v_add_f32_e64 v2, |s14|, v2
	v_and_b32_e32 v2, 0xff, v2
	v_cmp_ne_u32_e64 s[8:9], 0, v2
.LBB86_878:
	s_andn2_b64 vcc, exec, s[8:9]
	v_mov_b32_e32 v3, 0
	s_cbranch_vccnz .LBB86_880
; %bb.879:
	s_lshr_b32 s8, s14, 24
	s_and_b32 s8, s8, 0x80
	v_or_b32_e32 v3, s8, v2
.LBB86_880:
	s_mov_b64 s[8:9], 0
	global_store_byte v[0:1], v3, off
.LBB86_881:
	s_and_b64 vcc, exec, s[8:9]
	s_cbranch_vccz .LBB86_893
; %bb.882:
	s_lshl_b32 s12, s11, 16
	s_and_b32 s13, s12, 0x7fffffff
	s_cmp_lt_u32 s13, 0x43f00000
	s_cbranch_scc0 .LBB86_885
; %bb.883:
	s_cmp_gt_u32 s13, 0x3c7fffff
	s_cbranch_scc0 .LBB86_886
; %bb.884:
	s_bfe_u32 s8, s12, 0x10014
	s_add_i32 s8, s12, s8
	s_add_i32 s8, s8, 0x407ffff
	s_lshr_b32 s9, s8, 20
	s_and_b32 s8, s8, 0xff00000
	s_cmp_lg_u32 s8, 0x7f00000
	s_cselect_b32 s14, s9, 0x7e
	s_mov_b64 s[8:9], 0
	s_branch .LBB86_887
.LBB86_885:
	s_mov_b64 s[8:9], -1
                                        ; implicit-def: $vgpr2
	s_branch .LBB86_890
.LBB86_886:
	s_mov_b64 s[8:9], -1
                                        ; implicit-def: $sgpr14
.LBB86_887:
	s_andn2_b64 vcc, exec, s[8:9]
	v_mov_b32_e32 v2, s14
	s_cbranch_vccnz .LBB86_889
; %bb.888:
	v_mov_b32_e32 v2, 0x46800000
	v_add_f32_e64 v2, |s12|, v2
.LBB86_889:
	s_mov_b64 s[8:9], 0
.LBB86_890:
	s_andn2_b64 vcc, exec, s[8:9]
	s_cbranch_vccnz .LBB86_892
; %bb.891:
	s_cmp_gt_u32 s13, 0x7f800000
	s_movk_i32 s8, 0x7f
	s_cselect_b32 s8, s8, 0x7e
	v_mov_b32_e32 v2, s8
.LBB86_892:
	s_lshr_b32 s8, s12, 24
	s_and_b32 s8, s8, 0x80
	v_or_b32_e32 v2, s8, v2
	global_store_byte v[0:1], v2, off
.LBB86_893:
	s_mov_b64 s[8:9], 0
.LBB86_894:
	s_andn2_b64 vcc, exec, s[8:9]
	s_cbranch_vccnz .LBB86_906
; %bb.895:
	s_lshl_b32 s12, s11, 16
	s_and_b32 s13, s12, 0x7fffffff
	s_cmp_lt_u32 s13, 0x47800000
	s_cbranch_scc0 .LBB86_898
; %bb.896:
	s_cmp_gt_u32 s13, 0x387fffff
	s_cbranch_scc0 .LBB86_899
; %bb.897:
	s_bfe_u32 s8, s12, 0x10015
	s_add_i32 s8, s12, s8
	s_add_i32 s8, s8, 0x80fffff
	s_lshr_b32 s14, s8, 21
	s_mov_b64 s[8:9], 0
	s_branch .LBB86_900
.LBB86_898:
	s_mov_b64 s[8:9], -1
                                        ; implicit-def: $vgpr2
	s_branch .LBB86_903
.LBB86_899:
	s_mov_b64 s[8:9], -1
                                        ; implicit-def: $sgpr14
.LBB86_900:
	s_andn2_b64 vcc, exec, s[8:9]
	v_mov_b32_e32 v2, s14
	s_cbranch_vccnz .LBB86_902
; %bb.901:
	v_mov_b32_e32 v2, 0x43000000
	v_add_f32_e64 v2, |s12|, v2
.LBB86_902:
	s_mov_b64 s[8:9], 0
.LBB86_903:
	s_andn2_b64 vcc, exec, s[8:9]
	s_cbranch_vccnz .LBB86_905
; %bb.904:
	s_cmp_gt_u32 s13, 0x7f800000
	s_movk_i32 s8, 0x7f
	s_cselect_b32 s8, s8, 0x7c
	v_mov_b32_e32 v2, s8
.LBB86_905:
	s_lshr_b32 s8, s12, 24
	s_and_b32 s8, s8, 0x80
	v_or_b32_e32 v2, s8, v2
	global_store_byte v[0:1], v2, off
.LBB86_906:
	s_mov_b64 s[8:9], 0
.LBB86_907:
	s_andn2_b64 vcc, exec, s[8:9]
	s_mov_b64 s[8:9], 0
	s_cbranch_vccnz .LBB86_914
; %bb.908:
	s_cmp_gt_i32 s10, 14
	s_mov_b64 s[12:13], -1
	s_cbranch_scc0 .LBB86_912
; %bb.909:
	s_cmp_eq_u32 s10, 15
	s_mov_b64 s[4:5], -1
	s_cbranch_scc0 .LBB86_911
; %bb.910:
	v_mov_b32_e32 v2, s11
	global_store_short v[0:1], v2, off
	s_mov_b64 s[4:5], 0
.LBB86_911:
	s_mov_b64 s[12:13], 0
.LBB86_912:
	s_and_b64 vcc, exec, s[12:13]
	s_cbranch_vccz .LBB86_914
; %bb.913:
	s_cmp_lg_u32 s10, 11
	s_mov_b64 s[8:9], -1
	s_cselect_b64 s[4:5], -1, 0
.LBB86_914:
	s_and_b64 vcc, exec, s[4:5]
	s_cbranch_vccnz .LBB86_916
.LBB86_915:
	s_mov_b64 s[4:5], 0
	s_branch .LBB86_833
.LBB86_916:
	s_mov_b64 s[8:9], 0
	s_or_b64 s[6:7], s[6:7], exec
	s_trap 2
	s_branch .LBB86_915
	.section	.rodata,"a",@progbits
	.p2align	6, 0x0
	.amdhsa_kernel _ZN2at6native32elementwise_kernel_manual_unrollILi128ELi4EZNS0_15gpu_kernel_implINS0_11FillFunctorIN3c107complexINS4_8BFloat16EEEEEEEvRNS_18TensorIteratorBaseERKT_EUlibE_EEviT1_
		.amdhsa_group_segment_fixed_size 0
		.amdhsa_private_segment_fixed_size 0
		.amdhsa_kernarg_size 32
		.amdhsa_user_sgpr_count 6
		.amdhsa_user_sgpr_private_segment_buffer 1
		.amdhsa_user_sgpr_dispatch_ptr 0
		.amdhsa_user_sgpr_queue_ptr 0
		.amdhsa_user_sgpr_kernarg_segment_ptr 1
		.amdhsa_user_sgpr_dispatch_id 0
		.amdhsa_user_sgpr_flat_scratch_init 0
		.amdhsa_user_sgpr_private_segment_size 0
		.amdhsa_uses_dynamic_stack 0
		.amdhsa_system_sgpr_private_segment_wavefront_offset 0
		.amdhsa_system_sgpr_workgroup_id_x 1
		.amdhsa_system_sgpr_workgroup_id_y 0
		.amdhsa_system_sgpr_workgroup_id_z 0
		.amdhsa_system_sgpr_workgroup_info 0
		.amdhsa_system_vgpr_workitem_id 0
		.amdhsa_next_free_vgpr 19
		.amdhsa_next_free_sgpr 66
		.amdhsa_reserve_vcc 1
		.amdhsa_reserve_flat_scratch 0
		.amdhsa_float_round_mode_32 0
		.amdhsa_float_round_mode_16_64 0
		.amdhsa_float_denorm_mode_32 3
		.amdhsa_float_denorm_mode_16_64 3
		.amdhsa_dx10_clamp 1
		.amdhsa_ieee_mode 1
		.amdhsa_fp16_overflow 0
		.amdhsa_exception_fp_ieee_invalid_op 0
		.amdhsa_exception_fp_denorm_src 0
		.amdhsa_exception_fp_ieee_div_zero 0
		.amdhsa_exception_fp_ieee_overflow 0
		.amdhsa_exception_fp_ieee_underflow 0
		.amdhsa_exception_fp_ieee_inexact 0
		.amdhsa_exception_int_div_zero 0
	.end_amdhsa_kernel
	.section	.text._ZN2at6native32elementwise_kernel_manual_unrollILi128ELi4EZNS0_15gpu_kernel_implINS0_11FillFunctorIN3c107complexINS4_8BFloat16EEEEEEEvRNS_18TensorIteratorBaseERKT_EUlibE_EEviT1_,"axG",@progbits,_ZN2at6native32elementwise_kernel_manual_unrollILi128ELi4EZNS0_15gpu_kernel_implINS0_11FillFunctorIN3c107complexINS4_8BFloat16EEEEEEEvRNS_18TensorIteratorBaseERKT_EUlibE_EEviT1_,comdat
.Lfunc_end86:
	.size	_ZN2at6native32elementwise_kernel_manual_unrollILi128ELi4EZNS0_15gpu_kernel_implINS0_11FillFunctorIN3c107complexINS4_8BFloat16EEEEEEEvRNS_18TensorIteratorBaseERKT_EUlibE_EEviT1_, .Lfunc_end86-_ZN2at6native32elementwise_kernel_manual_unrollILi128ELi4EZNS0_15gpu_kernel_implINS0_11FillFunctorIN3c107complexINS4_8BFloat16EEEEEEEvRNS_18TensorIteratorBaseERKT_EUlibE_EEviT1_
                                        ; -- End function
	.set _ZN2at6native32elementwise_kernel_manual_unrollILi128ELi4EZNS0_15gpu_kernel_implINS0_11FillFunctorIN3c107complexINS4_8BFloat16EEEEEEEvRNS_18TensorIteratorBaseERKT_EUlibE_EEviT1_.num_vgpr, 19
	.set _ZN2at6native32elementwise_kernel_manual_unrollILi128ELi4EZNS0_15gpu_kernel_implINS0_11FillFunctorIN3c107complexINS4_8BFloat16EEEEEEEvRNS_18TensorIteratorBaseERKT_EUlibE_EEviT1_.num_agpr, 0
	.set _ZN2at6native32elementwise_kernel_manual_unrollILi128ELi4EZNS0_15gpu_kernel_implINS0_11FillFunctorIN3c107complexINS4_8BFloat16EEEEEEEvRNS_18TensorIteratorBaseERKT_EUlibE_EEviT1_.numbered_sgpr, 66
	.set _ZN2at6native32elementwise_kernel_manual_unrollILi128ELi4EZNS0_15gpu_kernel_implINS0_11FillFunctorIN3c107complexINS4_8BFloat16EEEEEEEvRNS_18TensorIteratorBaseERKT_EUlibE_EEviT1_.num_named_barrier, 0
	.set _ZN2at6native32elementwise_kernel_manual_unrollILi128ELi4EZNS0_15gpu_kernel_implINS0_11FillFunctorIN3c107complexINS4_8BFloat16EEEEEEEvRNS_18TensorIteratorBaseERKT_EUlibE_EEviT1_.private_seg_size, 0
	.set _ZN2at6native32elementwise_kernel_manual_unrollILi128ELi4EZNS0_15gpu_kernel_implINS0_11FillFunctorIN3c107complexINS4_8BFloat16EEEEEEEvRNS_18TensorIteratorBaseERKT_EUlibE_EEviT1_.uses_vcc, 1
	.set _ZN2at6native32elementwise_kernel_manual_unrollILi128ELi4EZNS0_15gpu_kernel_implINS0_11FillFunctorIN3c107complexINS4_8BFloat16EEEEEEEvRNS_18TensorIteratorBaseERKT_EUlibE_EEviT1_.uses_flat_scratch, 0
	.set _ZN2at6native32elementwise_kernel_manual_unrollILi128ELi4EZNS0_15gpu_kernel_implINS0_11FillFunctorIN3c107complexINS4_8BFloat16EEEEEEEvRNS_18TensorIteratorBaseERKT_EUlibE_EEviT1_.has_dyn_sized_stack, 0
	.set _ZN2at6native32elementwise_kernel_manual_unrollILi128ELi4EZNS0_15gpu_kernel_implINS0_11FillFunctorIN3c107complexINS4_8BFloat16EEEEEEEvRNS_18TensorIteratorBaseERKT_EUlibE_EEviT1_.has_recursion, 0
	.set _ZN2at6native32elementwise_kernel_manual_unrollILi128ELi4EZNS0_15gpu_kernel_implINS0_11FillFunctorIN3c107complexINS4_8BFloat16EEEEEEEvRNS_18TensorIteratorBaseERKT_EUlibE_EEviT1_.has_indirect_call, 0
	.section	.AMDGPU.csdata,"",@progbits
; Kernel info:
; codeLenInByte = 12844
; TotalNumSgprs: 70
; NumVgprs: 19
; ScratchSize: 0
; MemoryBound: 0
; FloatMode: 240
; IeeeMode: 1
; LDSByteSize: 0 bytes/workgroup (compile time only)
; SGPRBlocks: 8
; VGPRBlocks: 4
; NumSGPRsForWavesPerEU: 70
; NumVGPRsForWavesPerEU: 19
; Occupancy: 10
; WaveLimiterHint : 0
; COMPUTE_PGM_RSRC2:SCRATCH_EN: 0
; COMPUTE_PGM_RSRC2:USER_SGPR: 6
; COMPUTE_PGM_RSRC2:TRAP_HANDLER: 0
; COMPUTE_PGM_RSRC2:TGID_X_EN: 1
; COMPUTE_PGM_RSRC2:TGID_Y_EN: 0
; COMPUTE_PGM_RSRC2:TGID_Z_EN: 0
; COMPUTE_PGM_RSRC2:TIDIG_COMP_CNT: 0
	.section	.text._ZN2at6native32elementwise_kernel_manual_unrollILi128ELi4EZNS0_15gpu_kernel_implINS0_11FillFunctorIN3c107complexINS4_8BFloat16EEEEEEEvRNS_18TensorIteratorBaseERKT_EUlibE0_EEviT1_,"axG",@progbits,_ZN2at6native32elementwise_kernel_manual_unrollILi128ELi4EZNS0_15gpu_kernel_implINS0_11FillFunctorIN3c107complexINS4_8BFloat16EEEEEEEvRNS_18TensorIteratorBaseERKT_EUlibE0_EEviT1_,comdat
	.protected	_ZN2at6native32elementwise_kernel_manual_unrollILi128ELi4EZNS0_15gpu_kernel_implINS0_11FillFunctorIN3c107complexINS4_8BFloat16EEEEEEEvRNS_18TensorIteratorBaseERKT_EUlibE0_EEviT1_ ; -- Begin function _ZN2at6native32elementwise_kernel_manual_unrollILi128ELi4EZNS0_15gpu_kernel_implINS0_11FillFunctorIN3c107complexINS4_8BFloat16EEEEEEEvRNS_18TensorIteratorBaseERKT_EUlibE0_EEviT1_
	.globl	_ZN2at6native32elementwise_kernel_manual_unrollILi128ELi4EZNS0_15gpu_kernel_implINS0_11FillFunctorIN3c107complexINS4_8BFloat16EEEEEEEvRNS_18TensorIteratorBaseERKT_EUlibE0_EEviT1_
	.p2align	8
	.type	_ZN2at6native32elementwise_kernel_manual_unrollILi128ELi4EZNS0_15gpu_kernel_implINS0_11FillFunctorIN3c107complexINS4_8BFloat16EEEEEEEvRNS_18TensorIteratorBaseERKT_EUlibE0_EEviT1_,@function
_ZN2at6native32elementwise_kernel_manual_unrollILi128ELi4EZNS0_15gpu_kernel_implINS0_11FillFunctorIN3c107complexINS4_8BFloat16EEEEEEEvRNS_18TensorIteratorBaseERKT_EUlibE0_EEviT1_: ; @_ZN2at6native32elementwise_kernel_manual_unrollILi128ELi4EZNS0_15gpu_kernel_implINS0_11FillFunctorIN3c107complexINS4_8BFloat16EEEEEEEvRNS_18TensorIteratorBaseERKT_EUlibE0_EEviT1_
; %bb.0:
	s_load_dword s94, s[4:5], 0x0
	s_load_dword s33, s[4:5], 0x8
	s_add_u32 s28, s4, 8
	s_addc_u32 s29, s5, 0
	v_lshl_or_b32 v12, s6, 9, v0
	v_or_b32_e32 v8, 0x180, v12
	s_waitcnt lgkmcnt(0)
	s_add_i32 s80, s33, -1
	s_cmp_gt_u32 s80, 1
	v_cmp_le_i32_e32 vcc, s94, v8
	s_cselect_b64 s[34:35], -1, 0
	s_mov_b64 s[30:31], 0
	s_mov_b64 s[20:21], 0
	s_and_saveexec_b64 s[0:1], vcc
	s_xor_b64 s[2:3], exec, s[0:1]
	s_cbranch_execz .LBB87_463
; %bb.1:
	s_load_dwordx2 s[56:57], s[28:29], 0xc4
	s_load_dwordx4 s[12:15], s[28:29], 0x108
	s_cmp_lg_u32 s33, 0
	s_cselect_b64 s[64:65], -1, 0
	s_add_u32 s62, s28, 0xc4
	s_addc_u32 s63, s29, 0
	s_min_u32 s95, s80, 15
	s_cmp_gt_u32 s33, 1
	s_cselect_b64 s[58:59], -1, 0
	s_waitcnt lgkmcnt(0)
	s_lshl_b32 s81, s14, 16
	s_bfe_u32 s10, s14, 0x90007
	s_or_b32 s6, s10, s81
	s_bfe_u32 s0, s81, 0x80017
	s_cmpk_eq_i32 s0, 0xff
	s_cselect_b64 s[0:1], -1, 0
	s_bitcmp1_b32 s14, 6
	s_cselect_b64 s[4:5], -1, 0
	s_and_b32 s6, s6, 0x3f00ff
	v_trunc_f32_e32 v4, s81
	s_cmp_lg_u32 s6, 0
	v_mul_f32_e32 v0, 0x2f800000, v4
	s_cselect_b64 s[6:7], -1, 0
	v_floor_f32_e32 v0, v0
	v_mov_b32_e32 v1, v4
	s_and_b64 s[4:5], s[4:5], s[6:7]
	v_fmac_f32_e32 v1, 0xcf800000, v0
	v_cvt_u32_f32_e32 v7, v0
	v_cndmask_b32_e64 v0, 0, 1, s[4:5]
	s_and_b32 s4, s81, 0x7fffffff
	s_cmp_lt_u32 s4, 0x43800000
	s_cselect_b64 s[52:53], -1, 0
	s_cmp_gt_u32 s4, 0x3bffffff
	v_add_u32_e32 v16, s10, v0
	s_cselect_b64 s[50:51], -1, 0
	s_bfe_u32 s5, s14, 0x10004
	v_mov_b32_e32 v0, 0x46000000
	s_or_b32 s5, s81, s5
	v_add_f32_e64 v0, |s81|, v0
	s_add_i32 s6, s5, 0x487ffff
	v_readfirstlane_b32 s93, v0
	s_lshr_b32 s87, s6, 20
	s_and_b32 s6, s93, 0xff
	s_cmp_lg_u32 s6, 0
	s_cselect_b64 s[54:55], -1, 0
	s_lshr_b32 s6, s14, 8
	s_and_b32 s83, s6, 0x80
	s_cmp_gt_u32 s4, 0x477fffff
	s_cselect_b64 s[36:37], -1, 0
	s_cmp_lt_u32 s4, 0x47800000
	s_cselect_b64 s[46:47], -1, 0
	s_cmp_gt_u32 s4, 0x37ffffff
	s_cselect_b64 s[44:45], -1, 0
	s_bfe_u32 s6, s14, 0x10005
	v_mov_b32_e32 v0, 0x42800000
	s_or_b32 s6, s81, s6
	v_add_f32_e64 v0, |s81|, v0
	s_add_i32 s7, s6, 0x88fffff
	v_readfirstlane_b32 s91, v0
	s_lshr_b32 s89, s7, 21
	s_and_b32 s7, s91, 0xff
	s_cmp_lg_u32 s7, 0
	s_cselect_b64 s[48:49], -1, 0
	s_cmp_gt_u32 s4, 0x43efffff
	s_cselect_b64 s[40:41], -1, 0
	s_cmp_lt_u32 s4, 0x3c800000
	s_cselect_b64 s[42:43], -1, 0
	s_add_i32 s5, s5, 0x407ffff
	s_lshr_b32 s7, s5, 20
	s_and_b32 s5, s5, 0xff00000
	s_cmp_lg_u32 s5, 0x7f00000
	s_cselect_b32 s88, s7, 0x7e
	s_cmp_lt_u32 s4, 0x38800000
	s_cselect_b64 s[38:39], -1, 0
	s_add_i32 s6, s6, 0x80fffff
	s_lshr_b32 s90, s6, 21
	s_cmp_gt_u32 s4, 0x7f800000
	s_movk_i32 s4, 0x7f
	s_cselect_b32 s86, s4, 0x7e
	s_movk_i32 s4, 0x7c
	s_mov_b32 s8, 0x2f800000
	s_cselect_b32 s85, 0x7f, s4
	s_and_b32 s4, s14, 0x7fff7fff
	s_cmp_lg_u32 s4, 0
	v_mul_f32_e64 v8, |v4|, s8
	s_mov_b32 s9, 0xcf800000
	s_cselect_b64 s[4:5], -1, 0
	s_and_b32 s82, s14, 0xffff0000
	v_floor_f32_e32 v8, v8
	v_cvt_f16_f32_e32 v11, s81
	v_cvt_f16_f32_sdwa v5, s82 dst_sel:WORD_1 dst_unused:UNUSED_PAD src0_sel:DWORD
	v_fma_f32 v9, v8, s9, |v4|
	v_mov_b32_e32 v0, 0x46800000
	v_cvt_u32_f32_e32 v9, v9
	v_add_f32_e64 v0, |s81|, v0
	v_cvt_u32_f32_e32 v8, v8
	v_readfirstlane_b32 s84, v0
	v_mov_b32_e32 v0, 0x43000000
	v_add_f32_e64 v0, |s81|, v0
	v_or_b32_e32 v13, v5, v11
	v_ashrrev_i32_e32 v5, 31, v4
	s_load_dwordx2 s[78:79], s[28:29], 0x14
	s_load_dwordx4 s[16:19], s[28:29], 0x4
	v_cvt_u32_f32_e32 v6, v1
	v_cvt_u32_f32_e32 v15, s81
	v_readfirstlane_b32 s92, v0
	v_cvt_f64_f32_e32 v[0:1], s81
	v_cvt_f64_f32_e32 v[2:3], s82
	v_xor_b32_e32 v4, v9, v5
	v_cvt_i32_f32_e32 v10, s81
	v_xor_b32_e32 v8, v8, v5
	v_sub_co_u32_e32 v4, vcc, v4, v5
	v_subb_co_u32_e32 v5, vcc, v8, v5, vcc
	v_cndmask_b32_e64 v14, 0, 1, s[4:5]
	v_cmp_gt_i32_e32 vcc, s94, v12
	s_mov_b64 s[6:7], -1
	s_mov_b64 s[72:73], 0
	s_mov_b64 s[66:67], 0
	s_and_saveexec_b64 s[68:69], vcc
	s_cbranch_execz .LBB87_114
; %bb.2:
	s_andn2_b64 vcc, exec, s[34:35]
	s_cbranch_vccnz .LBB87_7
; %bb.3:
	s_andn2_b64 vcc, exec, s[64:65]
	s_cbranch_vccnz .LBB87_8
; %bb.4:
	s_add_i32 s60, s95, 1
	s_cmp_eq_u32 s80, 2
	s_cbranch_scc1 .LBB87_9
; %bb.5:
	s_and_b32 s74, s60, 28
	s_mov_b32 s61, 0
	v_mov_b32_e32 v8, 0
	s_mov_b64 s[66:67], s[28:29]
	s_mov_b64 s[70:71], s[62:63]
	v_mov_b32_e32 v9, v12
.LBB87_6:                               ; =>This Inner Loop Header: Depth=1
	s_load_dwordx8 s[4:11], s[66:67], 0x4
	s_load_dwordx4 s[20:23], s[66:67], 0x24
	s_load_dwordx4 s[24:27], s[70:71], 0x0
	s_add_u32 s66, s66, 48
	s_addc_u32 s67, s67, 0
	s_waitcnt lgkmcnt(0)
	v_mul_hi_u32 v17, s5, v9
	s_add_i32 s61, s61, 4
	s_add_u32 s70, s70, 16
	s_addc_u32 s71, s71, 0
	v_add_u32_e32 v17, v9, v17
	v_lshrrev_b32_e32 v17, s6, v17
	v_mul_lo_u32 v18, v17, s4
	v_mul_hi_u32 v19, s8, v17
	s_cmp_lg_u32 s74, s61
	v_sub_u32_e32 v9, v9, v18
	v_add_u32_e32 v18, v17, v19
	v_lshrrev_b32_e32 v18, s9, v18
	v_mul_lo_u32 v19, v9, s24
	v_mul_hi_u32 v9, s11, v18
	v_mul_lo_u32 v21, v18, s7
	v_add_u32_e32 v9, v18, v9
	v_lshrrev_b32_e32 v20, s20, v9
	v_mul_hi_u32 v9, s22, v20
	v_sub_u32_e32 v17, v17, v21
	v_mul_lo_u32 v21, v20, s10
	v_mul_lo_u32 v17, v17, s25
	v_add_u32_e32 v9, v20, v9
	v_lshrrev_b32_e32 v9, s23, v9
	v_mul_lo_u32 v22, v9, s21
	v_sub_u32_e32 v18, v18, v21
	v_mul_lo_u32 v18, v18, s26
	v_add3_u32 v8, v19, v8, v17
	v_sub_u32_e32 v20, v20, v22
	v_mul_lo_u32 v20, v20, s27
	v_add3_u32 v8, v18, v8, v20
	s_cbranch_scc1 .LBB87_6
	s_branch .LBB87_10
.LBB87_7:
                                        ; implicit-def: $vgpr8
	s_branch .LBB87_14
.LBB87_8:
	v_mov_b32_e32 v8, 0
	s_branch .LBB87_13
.LBB87_9:
	v_mov_b32_e32 v8, 0
	s_mov_b32 s74, 0
	v_mov_b32_e32 v9, v12
.LBB87_10:
	s_and_b32 s8, s60, 3
	s_cmp_eq_u32 s8, 0
	s_cbranch_scc1 .LBB87_13
; %bb.11:
	s_lshl_b32 s4, s74, 2
	s_add_u32 s4, s28, s4
	s_addc_u32 s5, s29, 0
	s_add_u32 s4, s4, 0xc4
	s_addc_u32 s5, s5, 0
	s_mul_i32 s6, s74, 12
	s_add_u32 s6, s28, s6
	s_addc_u32 s7, s29, 0
.LBB87_12:                              ; =>This Inner Loop Header: Depth=1
	s_load_dwordx2 s[10:11], s[6:7], 0x4
	s_load_dword s9, s[6:7], 0xc
	s_add_u32 s6, s6, 12
	s_addc_u32 s7, s7, 0
	s_waitcnt lgkmcnt(0)
	v_mul_hi_u32 v17, s11, v9
	s_load_dword s11, s[4:5], 0x0
	s_add_u32 s4, s4, 4
	s_addc_u32 s5, s5, 0
	v_add_u32_e32 v17, v9, v17
	v_lshrrev_b32_e32 v17, s9, v17
	v_mul_lo_u32 v18, v17, s10
	s_add_i32 s8, s8, -1
	s_cmp_lg_u32 s8, 0
	v_sub_u32_e32 v9, v9, v18
	s_waitcnt lgkmcnt(0)
	v_mad_u64_u32 v[8:9], s[10:11], v9, s11, v[8:9]
	v_mov_b32_e32 v9, v17
	s_cbranch_scc1 .LBB87_12
.LBB87_13:
	s_cbranch_execnz .LBB87_16
.LBB87_14:
	s_waitcnt lgkmcnt(0)
	v_mul_hi_u32 v8, s17, v12
	s_andn2_b64 vcc, exec, s[58:59]
	v_add_u32_e32 v8, v12, v8
	v_lshrrev_b32_e32 v9, s18, v8
	v_mul_lo_u32 v8, v9, s16
	v_sub_u32_e32 v8, v12, v8
	v_mul_lo_u32 v8, v8, s56
	s_cbranch_vccnz .LBB87_16
; %bb.15:
	v_mul_hi_u32 v17, s78, v9
	v_add_u32_e32 v17, v9, v17
	v_lshrrev_b32_e32 v17, s79, v17
	v_mul_lo_u32 v17, v17, s19
	v_sub_u32_e32 v9, v9, v17
	v_mad_u64_u32 v[8:9], s[4:5], v9, s57, v[8:9]
.LBB87_16:
	v_mov_b32_e32 v9, s13
	s_and_b32 s10, s15, 0xff
	v_add_co_u32_e32 v8, vcc, s12, v8
	s_cmp_lt_i32 s10, 11
	v_addc_co_u32_e32 v9, vcc, 0, v9, vcc
	s_cbranch_scc1 .LBB87_23
; %bb.17:
	s_and_b32 s11, 0xffff, s10
	s_cmp_gt_i32 s11, 25
	s_cbranch_scc0 .LBB87_26
; %bb.18:
	s_cmp_gt_i32 s11, 28
	s_cbranch_scc0 .LBB87_27
; %bb.19:
	;; [unrolled: 3-line block ×4, first 2 shown]
	s_mov_b64 s[8:9], 0
	s_mov_b64 s[4:5], -1
	s_cmp_eq_u32 s11, 46
	s_mov_b64 s[6:7], 0
	s_cbranch_scc0 .LBB87_30
; %bb.22:
	v_mov_b32_e32 v17, s14
	global_store_dword v[8:9], v17, off
	s_mov_b64 s[6:7], -1
	s_mov_b64 s[4:5], 0
	s_branch .LBB87_30
.LBB87_23:
	s_mov_b64 s[4:5], 0
	s_mov_b64 s[6:7], 0
	s_cbranch_execnz .LBB87_74
.LBB87_24:
	s_andn2_b64 vcc, exec, s[6:7]
	s_cbranch_vccnz .LBB87_112
.LBB87_25:
	v_add_u32_e32 v12, 0x80, v12
	s_mov_b64 s[6:7], -1
	s_branch .LBB87_113
.LBB87_26:
	s_mov_b64 s[4:5], 0
	s_mov_b64 s[6:7], 0
	s_cbranch_execnz .LBB87_52
	s_branch .LBB87_73
.LBB87_27:
	s_mov_b64 s[8:9], -1
	s_mov_b64 s[4:5], 0
	s_mov_b64 s[6:7], 0
	s_branch .LBB87_38
.LBB87_28:
	s_mov_b64 s[8:9], -1
	s_mov_b64 s[4:5], 0
	s_mov_b64 s[6:7], 0
	s_branch .LBB87_34
.LBB87_29:
	s_mov_b64 s[8:9], -1
	s_mov_b64 s[4:5], 0
	s_mov_b64 s[6:7], 0
.LBB87_30:
	s_and_b64 vcc, exec, s[8:9]
	s_cbranch_vccz .LBB87_33
; %bb.31:
	s_cmp_eq_u32 s11, 44
	s_mov_b64 s[4:5], -1
	s_cbranch_scc0 .LBB87_33
; %bb.32:
	v_mov_b32_e32 v17, 0xffff
	v_cndmask_b32_e64 v17, v16, v17, s[0:1]
	global_store_byte v[8:9], v17, off
	s_mov_b64 s[6:7], -1
	s_mov_b64 s[4:5], 0
.LBB87_33:
	s_mov_b64 s[8:9], 0
.LBB87_34:
	s_and_b64 vcc, exec, s[8:9]
	s_cbranch_vccz .LBB87_37
; %bb.35:
	s_cmp_eq_u32 s11, 29
	s_mov_b64 s[4:5], -1
	s_cbranch_scc0 .LBB87_37
; %bb.36:
	global_store_dwordx2 v[8:9], v[6:7], off
	s_mov_b64 s[6:7], -1
	s_mov_b64 s[4:5], 0
.LBB87_37:
	s_mov_b64 s[8:9], 0
.LBB87_38:
	s_and_b64 vcc, exec, s[8:9]
	s_cbranch_vccz .LBB87_51
; %bb.39:
	s_cmp_lt_i32 s11, 27
	s_mov_b64 s[6:7], -1
	s_cbranch_scc1 .LBB87_45
; %bb.40:
	s_cmp_gt_i32 s11, 27
	s_cbranch_scc0 .LBB87_42
; %bb.41:
	s_mov_b64 s[6:7], 0
	global_store_dword v[8:9], v15, off
.LBB87_42:
	s_andn2_b64 vcc, exec, s[6:7]
	s_cbranch_vccnz .LBB87_44
; %bb.43:
	global_store_short v[8:9], v15, off
.LBB87_44:
	s_mov_b64 s[6:7], 0
.LBB87_45:
	s_andn2_b64 vcc, exec, s[6:7]
	s_cbranch_vccnz .LBB87_50
; %bb.46:
	s_andn2_b64 vcc, exec, s[52:53]
	s_movk_i32 s6, 0x80
	s_cbranch_vccnz .LBB87_49
; %bb.47:
	s_or_b64 s[6:7], s[50:51], s[54:55]
	s_andn2_b64 vcc, exec, s[6:7]
	s_mov_b32 s6, 0
	s_cbranch_vccnz .LBB87_49
; %bb.48:
	s_and_b64 s[6:7], s[50:51], exec
	s_cselect_b32 s6, s87, s93
	s_or_b32 s6, s6, s83
.LBB87_49:
	v_mov_b32_e32 v17, s6
	global_store_byte v[8:9], v17, off
.LBB87_50:
	s_mov_b64 s[6:7], -1
.LBB87_51:
	s_branch .LBB87_73
.LBB87_52:
	s_cmp_gt_i32 s11, 22
	s_mov_b64 s[8:9], -1
	s_cbranch_scc0 .LBB87_65
; %bb.53:
	s_cmp_lt_i32 s11, 24
	s_mov_b64 s[6:7], -1
	s_cbranch_scc1 .LBB87_62
; %bb.54:
	s_cmp_gt_i32 s11, 24
	s_cbranch_scc0 .LBB87_59
; %bb.55:
	s_andn2_b64 vcc, exec, s[46:47]
	s_movk_i32 s6, 0x80
	s_cbranch_vccnz .LBB87_58
; %bb.56:
	s_or_b64 s[6:7], s[44:45], s[48:49]
	s_andn2_b64 vcc, exec, s[6:7]
	s_mov_b32 s6, 0
	s_cbranch_vccnz .LBB87_58
; %bb.57:
	s_and_b64 s[6:7], s[44:45], exec
	s_cselect_b32 s6, s89, s91
	s_or_b32 s6, s6, s83
.LBB87_58:
	v_mov_b32_e32 v17, s6
	s_mov_b64 s[6:7], 0
	global_store_byte v[8:9], v17, off
.LBB87_59:
	s_and_b64 vcc, exec, s[6:7]
	s_cbranch_vccz .LBB87_61
; %bb.60:
	s_and_b64 s[6:7], s[42:43], exec
	s_cselect_b32 s8, s84, s88
	s_and_b64 s[6:7], s[40:41], exec
	s_cselect_b32 s6, s86, s8
	s_or_b32 s6, s6, s83
	v_mov_b32_e32 v17, s6
	global_store_byte v[8:9], v17, off
.LBB87_61:
	s_mov_b64 s[6:7], 0
.LBB87_62:
	s_andn2_b64 vcc, exec, s[6:7]
	s_cbranch_vccnz .LBB87_64
; %bb.63:
	s_and_b64 s[6:7], s[38:39], exec
	s_cselect_b32 s8, s92, s90
	s_and_b64 s[6:7], s[36:37], exec
	s_cselect_b32 s6, s85, s8
	s_or_b32 s6, s6, s83
	v_mov_b32_e32 v17, s6
	global_store_byte v[8:9], v17, off
.LBB87_64:
	s_mov_b64 s[8:9], 0
	s_mov_b64 s[6:7], -1
.LBB87_65:
	s_andn2_b64 vcc, exec, s[8:9]
	s_cbranch_vccnz .LBB87_73
; %bb.66:
	s_cmp_gt_i32 s11, 14
	s_mov_b64 s[8:9], -1
	s_cbranch_scc0 .LBB87_70
; %bb.67:
	s_cmp_eq_u32 s11, 15
	s_mov_b64 s[4:5], -1
	s_cbranch_scc0 .LBB87_69
; %bb.68:
	v_mov_b32_e32 v17, s14
	global_store_short v[8:9], v17, off
	s_mov_b64 s[6:7], -1
	s_mov_b64 s[4:5], 0
.LBB87_69:
	s_mov_b64 s[8:9], 0
.LBB87_70:
	s_and_b64 vcc, exec, s[8:9]
	s_cbranch_vccz .LBB87_73
; %bb.71:
	s_cmp_eq_u32 s11, 11
	s_mov_b64 s[4:5], -1
	s_cbranch_scc0 .LBB87_73
; %bb.72:
	s_mov_b64 s[6:7], -1
	s_mov_b64 s[4:5], 0
	global_store_byte v[8:9], v14, off
.LBB87_73:
	s_branch .LBB87_24
.LBB87_74:
	s_and_b32 s8, 0xffff, s10
	s_cmp_lt_i32 s8, 5
	s_mov_b64 s[6:7], -1
	s_cbranch_scc1 .LBB87_95
; %bb.75:
	s_cmp_lt_i32 s8, 8
	s_cbranch_scc1 .LBB87_85
; %bb.76:
	s_cmp_lt_i32 s8, 9
	s_cbranch_scc1 .LBB87_82
; %bb.77:
	s_cmp_gt_i32 s8, 9
	s_cbranch_scc0 .LBB87_79
; %bb.78:
	global_store_dwordx4 v[8:9], v[0:3], off
	s_mov_b64 s[6:7], 0
.LBB87_79:
	s_andn2_b64 vcc, exec, s[6:7]
	s_cbranch_vccnz .LBB87_81
; %bb.80:
	v_mov_b32_e32 v17, s81
	v_mov_b32_e32 v18, s82
	global_store_dwordx2 v[8:9], v[17:18], off
.LBB87_81:
	s_mov_b64 s[6:7], 0
.LBB87_82:
	s_andn2_b64 vcc, exec, s[6:7]
	s_cbranch_vccnz .LBB87_84
; %bb.83:
	global_store_dword v[8:9], v13, off
.LBB87_84:
	s_mov_b64 s[6:7], 0
.LBB87_85:
	s_andn2_b64 vcc, exec, s[6:7]
	s_cbranch_vccnz .LBB87_94
; %bb.86:
	s_cmp_lt_i32 s8, 6
	s_mov_b64 s[6:7], -1
	s_cbranch_scc1 .LBB87_92
; %bb.87:
	s_cmp_gt_i32 s8, 6
	s_cbranch_scc0 .LBB87_89
; %bb.88:
	global_store_dwordx2 v[8:9], v[0:1], off
	s_mov_b64 s[6:7], 0
.LBB87_89:
	s_andn2_b64 vcc, exec, s[6:7]
	s_cbranch_vccnz .LBB87_91
; %bb.90:
	v_mov_b32_e32 v17, s81
	global_store_dword v[8:9], v17, off
.LBB87_91:
	s_mov_b64 s[6:7], 0
.LBB87_92:
	s_andn2_b64 vcc, exec, s[6:7]
	s_cbranch_vccnz .LBB87_94
; %bb.93:
	global_store_short v[8:9], v11, off
.LBB87_94:
	s_mov_b64 s[6:7], 0
.LBB87_95:
	s_andn2_b64 vcc, exec, s[6:7]
	s_cbranch_vccnz .LBB87_111
; %bb.96:
	s_cmp_lt_i32 s8, 2
	s_mov_b64 s[6:7], -1
	s_cbranch_scc1 .LBB87_106
; %bb.97:
	s_cmp_lt_i32 s8, 3
	s_cbranch_scc1 .LBB87_103
; %bb.98:
	s_cmp_gt_i32 s8, 3
	s_cbranch_scc0 .LBB87_100
; %bb.99:
	global_store_dwordx2 v[8:9], v[4:5], off
	s_mov_b64 s[6:7], 0
.LBB87_100:
	s_andn2_b64 vcc, exec, s[6:7]
	s_cbranch_vccnz .LBB87_102
; %bb.101:
	global_store_dword v[8:9], v10, off
.LBB87_102:
	s_mov_b64 s[6:7], 0
.LBB87_103:
	s_andn2_b64 vcc, exec, s[6:7]
	s_cbranch_vccnz .LBB87_105
; %bb.104:
	global_store_short v[8:9], v10, off
.LBB87_105:
	s_mov_b64 s[6:7], 0
.LBB87_106:
	s_andn2_b64 vcc, exec, s[6:7]
	s_cbranch_vccnz .LBB87_111
; %bb.107:
	s_cmp_gt_i32 s8, 0
	s_mov_b64 s[6:7], -1
	s_cbranch_scc0 .LBB87_109
; %bb.108:
	global_store_byte v[8:9], v10, off
	s_mov_b64 s[6:7], 0
.LBB87_109:
	s_andn2_b64 vcc, exec, s[6:7]
	s_cbranch_vccnz .LBB87_111
; %bb.110:
	global_store_byte v[8:9], v4, off
.LBB87_111:
	s_branch .LBB87_25
.LBB87_112:
	s_mov_b64 s[6:7], 0
                                        ; implicit-def: $vgpr12
.LBB87_113:
	s_and_b64 s[66:67], s[4:5], exec
	s_orn2_b64 s[6:7], s[6:7], exec
.LBB87_114:
	s_or_b64 exec, exec, s[68:69]
	s_mov_b64 s[4:5], 0
                                        ; implicit-def: $sgpr20
                                        ; implicit-def: $vgpr8_vgpr9
	s_and_saveexec_b64 s[68:69], s[6:7]
	s_cbranch_execz .LBB87_121
; %bb.115:
	v_cmp_gt_i32_e32 vcc, s94, v12
	s_mov_b64 s[4:5], -1
	s_mov_b64 s[70:71], s[66:67]
	s_and_saveexec_b64 s[72:73], vcc
	s_cbranch_execz .LBB87_232
; %bb.116:
	s_andn2_b64 vcc, exec, s[34:35]
	s_cbranch_vccnz .LBB87_124
; %bb.117:
	s_andn2_b64 vcc, exec, s[64:65]
	s_cbranch_vccnz .LBB87_125
; %bb.118:
	s_add_i32 s60, s95, 1
	s_cmp_eq_u32 s80, 2
	s_cbranch_scc1 .LBB87_126
; %bb.119:
	s_and_b32 s76, s60, 28
	s_mov_b32 s61, 0
	v_mov_b32_e32 v8, 0
	s_mov_b64 s[70:71], s[28:29]
	s_mov_b64 s[74:75], s[62:63]
	v_mov_b32_e32 v9, v12
.LBB87_120:                             ; =>This Inner Loop Header: Depth=1
	s_load_dwordx8 s[4:11], s[70:71], 0x4
	s_load_dwordx4 s[20:23], s[70:71], 0x24
	s_load_dwordx4 s[24:27], s[74:75], 0x0
	s_add_u32 s70, s70, 48
	s_addc_u32 s71, s71, 0
	s_waitcnt lgkmcnt(0)
	v_mul_hi_u32 v17, s5, v9
	s_add_i32 s61, s61, 4
	s_add_u32 s74, s74, 16
	s_addc_u32 s75, s75, 0
	v_add_u32_e32 v17, v9, v17
	v_lshrrev_b32_e32 v17, s6, v17
	v_mul_lo_u32 v18, v17, s4
	v_mul_hi_u32 v19, s8, v17
	s_cmp_eq_u32 s76, s61
	v_sub_u32_e32 v9, v9, v18
	v_add_u32_e32 v18, v17, v19
	v_lshrrev_b32_e32 v18, s9, v18
	v_mul_lo_u32 v19, v9, s24
	v_mul_hi_u32 v9, s11, v18
	v_mul_lo_u32 v21, v18, s7
	v_add_u32_e32 v9, v18, v9
	v_lshrrev_b32_e32 v20, s20, v9
	v_mul_hi_u32 v9, s22, v20
	v_sub_u32_e32 v17, v17, v21
	v_mul_lo_u32 v21, v20, s10
	v_mul_lo_u32 v17, v17, s25
	v_add_u32_e32 v9, v20, v9
	v_lshrrev_b32_e32 v9, s23, v9
	v_mul_lo_u32 v22, v9, s21
	v_sub_u32_e32 v18, v18, v21
	v_mul_lo_u32 v18, v18, s26
	v_add3_u32 v8, v19, v8, v17
	v_sub_u32_e32 v20, v20, v22
	v_mul_lo_u32 v20, v20, s27
	v_add3_u32 v8, v18, v8, v20
	s_cbranch_scc0 .LBB87_120
	s_branch .LBB87_127
.LBB87_121:
	s_or_b64 exec, exec, s[68:69]
	s_mov_b64 s[0:1], 0
	s_and_saveexec_b64 s[6:7], s[66:67]
	s_cbranch_execnz .LBB87_423
.LBB87_122:
	s_or_b64 exec, exec, s[6:7]
	s_and_saveexec_b64 s[6:7], s[72:73]
	s_xor_b64 s[6:7], exec, s[6:7]
	s_cbranch_execz .LBB87_424
.LBB87_123:
	global_store_byte v[8:9], v14, off
	s_or_b64 exec, exec, s[6:7]
	s_and_saveexec_b64 s[6:7], s[4:5]
	s_xor_b64 s[4:5], exec, s[6:7]
	s_cbranch_execz .LBB87_462
	s_branch .LBB87_425
.LBB87_124:
                                        ; implicit-def: $vgpr8
	s_andn2_b64 vcc, exec, s[4:5]
	s_cbranch_vccz .LBB87_131
	s_branch .LBB87_133
.LBB87_125:
	v_mov_b32_e32 v8, 0
	s_branch .LBB87_130
.LBB87_126:
	v_mov_b32_e32 v8, 0
	s_mov_b32 s76, 0
	v_mov_b32_e32 v9, v12
.LBB87_127:
	s_and_b32 s8, s60, 3
	s_cmp_eq_u32 s8, 0
	s_cbranch_scc1 .LBB87_130
; %bb.128:
	s_lshl_b32 s4, s76, 2
	s_add_u32 s4, s28, s4
	s_addc_u32 s5, s29, 0
	s_add_u32 s4, s4, 0xc4
	s_addc_u32 s5, s5, 0
	s_mul_i32 s6, s76, 12
	s_add_u32 s6, s28, s6
	s_addc_u32 s7, s29, 0
.LBB87_129:                             ; =>This Inner Loop Header: Depth=1
	s_load_dwordx2 s[10:11], s[6:7], 0x4
	s_load_dword s9, s[6:7], 0xc
	s_add_u32 s6, s6, 12
	s_addc_u32 s7, s7, 0
	s_waitcnt lgkmcnt(0)
	v_mul_hi_u32 v17, s11, v9
	s_load_dword s11, s[4:5], 0x0
	s_add_u32 s4, s4, 4
	s_addc_u32 s5, s5, 0
	v_add_u32_e32 v17, v9, v17
	v_lshrrev_b32_e32 v17, s9, v17
	v_mul_lo_u32 v18, v17, s10
	s_add_i32 s8, s8, -1
	s_cmp_lg_u32 s8, 0
	v_sub_u32_e32 v9, v9, v18
	s_waitcnt lgkmcnt(0)
	v_mad_u64_u32 v[8:9], s[10:11], v9, s11, v[8:9]
	v_mov_b32_e32 v9, v17
	s_cbranch_scc1 .LBB87_129
.LBB87_130:
	s_cbranch_execnz .LBB87_133
.LBB87_131:
	s_waitcnt lgkmcnt(0)
	v_mul_hi_u32 v8, s17, v12
	s_andn2_b64 vcc, exec, s[58:59]
	v_add_u32_e32 v8, v12, v8
	v_lshrrev_b32_e32 v9, s18, v8
	v_mul_lo_u32 v8, v9, s16
	v_sub_u32_e32 v8, v12, v8
	v_mul_lo_u32 v8, v8, s56
	s_cbranch_vccnz .LBB87_133
; %bb.132:
	v_mul_hi_u32 v17, s78, v9
	v_add_u32_e32 v17, v9, v17
	v_lshrrev_b32_e32 v17, s79, v17
	v_mul_lo_u32 v17, v17, s19
	v_sub_u32_e32 v9, v9, v17
	v_mad_u64_u32 v[8:9], s[4:5], v9, s57, v[8:9]
.LBB87_133:
	v_mov_b32_e32 v9, s13
	s_and_b32 s10, s15, 0xff
	v_add_co_u32_e32 v8, vcc, s12, v8
	s_cmp_lt_i32 s10, 11
	v_addc_co_u32_e32 v9, vcc, 0, v9, vcc
	s_cbranch_scc1 .LBB87_140
; %bb.134:
	s_and_b32 s11, 0xffff, s10
	s_cmp_gt_i32 s11, 25
	s_cbranch_scc0 .LBB87_143
; %bb.135:
	s_cmp_gt_i32 s11, 28
	s_cbranch_scc0 .LBB87_144
; %bb.136:
	;; [unrolled: 3-line block ×4, first 2 shown]
	s_mov_b64 s[8:9], 0
	s_mov_b64 s[4:5], -1
	s_cmp_eq_u32 s11, 46
	s_mov_b64 s[6:7], 0
	s_cbranch_scc0 .LBB87_147
; %bb.139:
	v_mov_b32_e32 v17, s14
	global_store_dword v[8:9], v17, off
	s_mov_b64 s[6:7], -1
	s_mov_b64 s[4:5], 0
	s_branch .LBB87_147
.LBB87_140:
	s_mov_b64 s[6:7], 0
	s_mov_b64 s[4:5], s[66:67]
	s_cbranch_execnz .LBB87_192
.LBB87_141:
	s_andn2_b64 vcc, exec, s[6:7]
	s_cbranch_vccnz .LBB87_230
.LBB87_142:
	v_add_u32_e32 v12, 0x80, v12
	s_mov_b64 s[6:7], -1
	s_branch .LBB87_231
.LBB87_143:
	s_mov_b64 s[8:9], -1
	s_mov_b64 s[6:7], 0
	s_mov_b64 s[4:5], s[66:67]
	s_branch .LBB87_169
.LBB87_144:
	s_mov_b64 s[8:9], -1
	s_mov_b64 s[6:7], 0
	s_mov_b64 s[4:5], s[66:67]
	s_branch .LBB87_155
.LBB87_145:
	s_mov_b64 s[8:9], -1
	s_mov_b64 s[6:7], 0
	s_mov_b64 s[4:5], s[66:67]
	s_branch .LBB87_151
.LBB87_146:
	s_mov_b64 s[8:9], -1
	s_mov_b64 s[6:7], 0
	s_mov_b64 s[4:5], s[66:67]
.LBB87_147:
	s_and_b64 vcc, exec, s[8:9]
	s_cbranch_vccz .LBB87_150
; %bb.148:
	s_cmp_eq_u32 s11, 44
	s_mov_b64 s[4:5], -1
	s_cbranch_scc0 .LBB87_150
; %bb.149:
	v_mov_b32_e32 v17, 0xffff
	v_cndmask_b32_e64 v17, v16, v17, s[0:1]
	s_mov_b64 s[6:7], -1
	s_mov_b64 s[4:5], 0
	global_store_byte v[8:9], v17, off
.LBB87_150:
	s_mov_b64 s[8:9], 0
.LBB87_151:
	s_and_b64 vcc, exec, s[8:9]
	s_cbranch_vccz .LBB87_154
; %bb.152:
	s_cmp_eq_u32 s11, 29
	s_mov_b64 s[4:5], -1
	s_cbranch_scc0 .LBB87_154
; %bb.153:
	global_store_dwordx2 v[8:9], v[6:7], off
	s_mov_b64 s[6:7], -1
	s_mov_b64 s[4:5], 0
.LBB87_154:
	s_mov_b64 s[8:9], 0
.LBB87_155:
	s_and_b64 vcc, exec, s[8:9]
	s_cbranch_vccz .LBB87_168
; %bb.156:
	s_cmp_lt_i32 s11, 27
	s_mov_b64 s[6:7], -1
	s_cbranch_scc1 .LBB87_162
; %bb.157:
	s_cmp_gt_i32 s11, 27
	s_cbranch_scc0 .LBB87_159
; %bb.158:
	s_mov_b64 s[6:7], 0
	global_store_dword v[8:9], v15, off
.LBB87_159:
	s_andn2_b64 vcc, exec, s[6:7]
	s_cbranch_vccnz .LBB87_161
; %bb.160:
	global_store_short v[8:9], v15, off
.LBB87_161:
	s_mov_b64 s[6:7], 0
.LBB87_162:
	s_andn2_b64 vcc, exec, s[6:7]
	s_cbranch_vccnz .LBB87_167
; %bb.163:
	s_andn2_b64 vcc, exec, s[52:53]
	s_movk_i32 s6, 0x80
	s_cbranch_vccnz .LBB87_166
; %bb.164:
	s_or_b64 s[6:7], s[50:51], s[54:55]
	s_andn2_b64 vcc, exec, s[6:7]
	s_mov_b32 s6, 0
	s_cbranch_vccnz .LBB87_166
; %bb.165:
	s_and_b64 s[6:7], s[50:51], exec
	s_cselect_b32 s6, s87, s93
	s_or_b32 s6, s6, s83
.LBB87_166:
	v_mov_b32_e32 v17, s6
	global_store_byte v[8:9], v17, off
.LBB87_167:
	s_mov_b64 s[6:7], -1
.LBB87_168:
	s_mov_b64 s[8:9], 0
.LBB87_169:
	s_and_b64 vcc, exec, s[8:9]
	s_cbranch_vccz .LBB87_191
; %bb.170:
	s_cmp_gt_i32 s11, 22
	s_mov_b64 s[8:9], -1
	s_cbranch_scc0 .LBB87_183
; %bb.171:
	s_cmp_lt_i32 s11, 24
	s_mov_b64 s[6:7], -1
	s_cbranch_scc1 .LBB87_180
; %bb.172:
	s_cmp_gt_i32 s11, 24
	s_cbranch_scc0 .LBB87_177
; %bb.173:
	s_andn2_b64 vcc, exec, s[46:47]
	s_movk_i32 s6, 0x80
	s_cbranch_vccnz .LBB87_176
; %bb.174:
	s_or_b64 s[6:7], s[44:45], s[48:49]
	s_andn2_b64 vcc, exec, s[6:7]
	s_mov_b32 s6, 0
	s_cbranch_vccnz .LBB87_176
; %bb.175:
	s_and_b64 s[6:7], s[44:45], exec
	s_cselect_b32 s6, s89, s91
	s_or_b32 s6, s6, s83
.LBB87_176:
	v_mov_b32_e32 v17, s6
	s_mov_b64 s[6:7], 0
	global_store_byte v[8:9], v17, off
.LBB87_177:
	s_and_b64 vcc, exec, s[6:7]
	s_cbranch_vccz .LBB87_179
; %bb.178:
	s_and_b64 s[6:7], s[42:43], exec
	s_cselect_b32 s8, s84, s88
	s_and_b64 s[6:7], s[40:41], exec
	s_cselect_b32 s6, s86, s8
	s_or_b32 s6, s6, s83
	v_mov_b32_e32 v17, s6
	global_store_byte v[8:9], v17, off
.LBB87_179:
	s_mov_b64 s[6:7], 0
.LBB87_180:
	s_andn2_b64 vcc, exec, s[6:7]
	s_cbranch_vccnz .LBB87_182
; %bb.181:
	s_and_b64 s[6:7], s[38:39], exec
	s_cselect_b32 s8, s92, s90
	s_and_b64 s[6:7], s[36:37], exec
	s_cselect_b32 s6, s85, s8
	s_or_b32 s6, s6, s83
	v_mov_b32_e32 v17, s6
	global_store_byte v[8:9], v17, off
.LBB87_182:
	s_mov_b64 s[8:9], 0
	s_mov_b64 s[6:7], -1
.LBB87_183:
	s_andn2_b64 vcc, exec, s[8:9]
	s_cbranch_vccnz .LBB87_191
; %bb.184:
	s_cmp_gt_i32 s11, 14
	s_mov_b64 s[8:9], -1
	s_cbranch_scc0 .LBB87_188
; %bb.185:
	s_cmp_eq_u32 s11, 15
	s_mov_b64 s[4:5], -1
	s_cbranch_scc0 .LBB87_187
; %bb.186:
	v_mov_b32_e32 v17, s14
	global_store_short v[8:9], v17, off
	s_mov_b64 s[6:7], -1
	s_mov_b64 s[4:5], 0
.LBB87_187:
	s_mov_b64 s[8:9], 0
.LBB87_188:
	s_and_b64 vcc, exec, s[8:9]
	s_cbranch_vccz .LBB87_191
; %bb.189:
	s_cmp_eq_u32 s11, 11
	s_mov_b64 s[4:5], -1
	s_cbranch_scc0 .LBB87_191
; %bb.190:
	s_mov_b64 s[6:7], -1
	s_mov_b64 s[4:5], 0
	global_store_byte v[8:9], v14, off
.LBB87_191:
	s_branch .LBB87_141
.LBB87_192:
	s_and_b32 s8, 0xffff, s10
	s_cmp_lt_i32 s8, 5
	s_mov_b64 s[6:7], -1
	s_cbranch_scc1 .LBB87_213
; %bb.193:
	s_cmp_lt_i32 s8, 8
	s_cbranch_scc1 .LBB87_203
; %bb.194:
	s_cmp_lt_i32 s8, 9
	s_cbranch_scc1 .LBB87_200
; %bb.195:
	s_cmp_gt_i32 s8, 9
	s_cbranch_scc0 .LBB87_197
; %bb.196:
	s_mov_b64 s[6:7], 0
	global_store_dwordx4 v[8:9], v[0:3], off
.LBB87_197:
	s_andn2_b64 vcc, exec, s[6:7]
	s_cbranch_vccnz .LBB87_199
; %bb.198:
	v_mov_b32_e32 v17, s81
	v_mov_b32_e32 v18, s82
	global_store_dwordx2 v[8:9], v[17:18], off
.LBB87_199:
	s_mov_b64 s[6:7], 0
.LBB87_200:
	s_andn2_b64 vcc, exec, s[6:7]
	s_cbranch_vccnz .LBB87_202
; %bb.201:
	global_store_dword v[8:9], v13, off
.LBB87_202:
	s_mov_b64 s[6:7], 0
.LBB87_203:
	s_andn2_b64 vcc, exec, s[6:7]
	s_cbranch_vccnz .LBB87_212
; %bb.204:
	s_cmp_lt_i32 s8, 6
	s_mov_b64 s[6:7], -1
	s_cbranch_scc1 .LBB87_210
; %bb.205:
	s_cmp_gt_i32 s8, 6
	s_cbranch_scc0 .LBB87_207
; %bb.206:
	s_mov_b64 s[6:7], 0
	global_store_dwordx2 v[8:9], v[0:1], off
.LBB87_207:
	s_andn2_b64 vcc, exec, s[6:7]
	s_cbranch_vccnz .LBB87_209
; %bb.208:
	v_mov_b32_e32 v17, s81
	global_store_dword v[8:9], v17, off
.LBB87_209:
	s_mov_b64 s[6:7], 0
.LBB87_210:
	s_andn2_b64 vcc, exec, s[6:7]
	s_cbranch_vccnz .LBB87_212
; %bb.211:
	global_store_short v[8:9], v11, off
.LBB87_212:
	s_mov_b64 s[6:7], 0
.LBB87_213:
	s_andn2_b64 vcc, exec, s[6:7]
	s_cbranch_vccnz .LBB87_229
; %bb.214:
	s_cmp_lt_i32 s8, 2
	s_mov_b64 s[6:7], -1
	s_cbranch_scc1 .LBB87_224
; %bb.215:
	s_cmp_lt_i32 s8, 3
	s_cbranch_scc1 .LBB87_221
; %bb.216:
	s_cmp_gt_i32 s8, 3
	s_cbranch_scc0 .LBB87_218
; %bb.217:
	s_mov_b64 s[6:7], 0
	global_store_dwordx2 v[8:9], v[4:5], off
.LBB87_218:
	s_andn2_b64 vcc, exec, s[6:7]
	s_cbranch_vccnz .LBB87_220
; %bb.219:
	global_store_dword v[8:9], v10, off
.LBB87_220:
	s_mov_b64 s[6:7], 0
.LBB87_221:
	s_andn2_b64 vcc, exec, s[6:7]
	s_cbranch_vccnz .LBB87_223
; %bb.222:
	global_store_short v[8:9], v10, off
.LBB87_223:
	s_mov_b64 s[6:7], 0
.LBB87_224:
	s_andn2_b64 vcc, exec, s[6:7]
	s_cbranch_vccnz .LBB87_229
; %bb.225:
	s_cmp_gt_i32 s8, 0
	s_mov_b64 s[6:7], -1
	s_cbranch_scc0 .LBB87_227
; %bb.226:
	s_mov_b64 s[6:7], 0
	global_store_byte v[8:9], v10, off
.LBB87_227:
	s_andn2_b64 vcc, exec, s[6:7]
	s_cbranch_vccnz .LBB87_229
; %bb.228:
	global_store_byte v[8:9], v4, off
.LBB87_229:
	s_branch .LBB87_142
.LBB87_230:
	s_mov_b64 s[6:7], 0
                                        ; implicit-def: $vgpr12
.LBB87_231:
	s_andn2_b64 s[8:9], s[66:67], exec
	s_and_b64 s[4:5], s[4:5], exec
	s_or_b64 s[70:71], s[8:9], s[4:5]
	s_orn2_b64 s[4:5], s[6:7], exec
.LBB87_232:
	s_or_b64 exec, exec, s[72:73]
	s_mov_b64 s[6:7], 0
	s_mov_b64 s[8:9], 0
                                        ; implicit-def: $sgpr20
                                        ; implicit-def: $vgpr8_vgpr9
	s_and_saveexec_b64 s[72:73], s[4:5]
	s_cbranch_execz .LBB87_422
; %bb.233:
	v_cmp_gt_i32_e32 vcc, s94, v12
	s_mov_b64 s[6:7], -1
	s_mov_b64 s[76:77], s[70:71]
	s_and_saveexec_b64 s[74:75], vcc
	s_cbranch_execz .LBB87_350
; %bb.234:
	s_andn2_b64 vcc, exec, s[34:35]
	s_cbranch_vccnz .LBB87_240
; %bb.235:
	s_andn2_b64 vcc, exec, s[64:65]
	s_cbranch_vccnz .LBB87_241
; %bb.236:
	s_add_i32 s61, s95, 1
	s_cmp_eq_u32 s80, 2
	s_cbranch_scc1 .LBB87_242
; %bb.237:
	s_waitcnt lgkmcnt(0)
	s_mov_b64 s[16:17], s[52:53]
	s_mov_b64 s[52:53], s[50:51]
	;; [unrolled: 1-line block ×3, first 2 shown]
	s_mov_b32 s1, s87
	s_mov_b32 s0, s86
	;; [unrolled: 1-line block ×4, first 2 shown]
	s_mov_b64 s[84:85], s[38:39]
	s_mov_b64 s[38:39], s[54:55]
	;; [unrolled: 1-line block ×4, first 2 shown]
	s_mov_b32 s47, s89
	s_mov_b32 s46, s88
	s_mov_b64 s[88:89], s[42:43]
	s_mov_b64 s[42:43], s[40:41]
	;; [unrolled: 1-line block ×6, first 2 shown]
	s_and_b32 s60, s61, 28
	s_mov_b32 vcc_lo, 0
	v_mov_b32_e32 v8, 0
	s_mov_b64 s[76:77], s[28:29]
	s_mov_b64 s[78:79], s[62:63]
	v_mov_b32_e32 v9, v12
.LBB87_238:                             ; =>This Inner Loop Header: Depth=1
	s_load_dwordx8 s[4:11], s[76:77], 0x4
	s_load_dwordx4 s[20:23], s[76:77], 0x24
	s_load_dwordx4 s[24:27], s[78:79], 0x0
	s_add_u32 s76, s76, 48
	s_addc_u32 s77, s77, 0
	s_waitcnt lgkmcnt(0)
	v_mul_hi_u32 v17, s5, v9
	s_add_i32 vcc_lo, vcc_lo, 4
	s_add_u32 s78, s78, 16
	s_addc_u32 s79, s79, 0
	v_add_u32_e32 v17, v9, v17
	v_lshrrev_b32_e32 v17, s6, v17
	v_mul_lo_u32 v18, v17, s4
	v_mul_hi_u32 v19, s8, v17
	s_cmp_eq_u32 s60, vcc_lo
	v_sub_u32_e32 v9, v9, v18
	v_add_u32_e32 v18, v17, v19
	v_lshrrev_b32_e32 v18, s9, v18
	v_mul_lo_u32 v19, v9, s24
	v_mul_hi_u32 v9, s11, v18
	v_mul_lo_u32 v21, v18, s7
	v_add_u32_e32 v9, v18, v9
	v_lshrrev_b32_e32 v20, s20, v9
	v_mul_hi_u32 v9, s22, v20
	v_sub_u32_e32 v17, v17, v21
	v_mul_lo_u32 v21, v20, s10
	v_mul_lo_u32 v17, v17, s25
	v_add_u32_e32 v9, v20, v9
	v_lshrrev_b32_e32 v9, s23, v9
	v_mul_lo_u32 v22, v9, s21
	v_sub_u32_e32 v18, v18, v21
	v_mul_lo_u32 v18, v18, s26
	v_add3_u32 v8, v19, v8, v17
	v_sub_u32_e32 v20, v20, v22
	v_mul_lo_u32 v20, v20, s27
	v_add3_u32 v8, v18, v8, v20
	s_cbranch_scc0 .LBB87_238
; %bb.239:
	s_mov_b64 s[78:79], s[56:57]
	s_mov_b64 s[56:57], s[48:49]
	;; [unrolled: 1-line block ×6, first 2 shown]
	s_mov_b32 s88, s46
	s_mov_b32 s89, s47
	s_mov_b64 s[46:47], s[36:37]
	s_mov_b64 s[36:37], s[54:55]
	;; [unrolled: 1-line block ×4, first 2 shown]
	s_mov_b32 s84, s86
	s_mov_b32 s85, s87
	;; [unrolled: 1-line block ×4, first 2 shown]
	s_mov_b64 s[0:1], s[50:51]
	s_mov_b64 s[50:51], s[52:53]
	;; [unrolled: 1-line block ×3, first 2 shown]
	s_load_dwordx4 s[16:19], s[28:29], 0x4
	s_branch .LBB87_243
.LBB87_240:
	s_mov_b64 s[4:5], -1
                                        ; implicit-def: $vgpr8
	s_branch .LBB87_247
.LBB87_241:
	v_mov_b32_e32 v8, 0
	s_branch .LBB87_246
.LBB87_242:
	v_mov_b32_e32 v8, 0
	s_mov_b32 s60, 0
	v_mov_b32_e32 v9, v12
.LBB87_243:
	s_and_b32 s8, s61, 3
	s_cmp_eq_u32 s8, 0
	s_cbranch_scc1 .LBB87_246
; %bb.244:
	s_lshl_b32 s4, s60, 2
	s_add_u32 s4, s28, s4
	s_addc_u32 s5, s29, 0
	s_add_u32 s4, s4, 0xc4
	s_addc_u32 s5, s5, 0
	s_mul_i32 s6, s60, 12
	s_add_u32 s6, s28, s6
	s_addc_u32 s7, s29, 0
.LBB87_245:                             ; =>This Inner Loop Header: Depth=1
	s_load_dwordx2 s[10:11], s[6:7], 0x4
	s_load_dword s9, s[6:7], 0xc
	s_add_u32 s6, s6, 12
	s_addc_u32 s7, s7, 0
	s_waitcnt lgkmcnt(0)
	v_mul_hi_u32 v17, s11, v9
	s_load_dword s11, s[4:5], 0x0
	s_add_u32 s4, s4, 4
	s_addc_u32 s5, s5, 0
	v_add_u32_e32 v17, v9, v17
	v_lshrrev_b32_e32 v17, s9, v17
	v_mul_lo_u32 v18, v17, s10
	s_add_i32 s8, s8, -1
	s_cmp_lg_u32 s8, 0
	v_sub_u32_e32 v9, v9, v18
	s_waitcnt lgkmcnt(0)
	v_mad_u64_u32 v[8:9], s[10:11], v9, s11, v[8:9]
	v_mov_b32_e32 v9, v17
	s_cbranch_scc1 .LBB87_245
.LBB87_246:
	s_mov_b64 s[4:5], 0
.LBB87_247:
	s_andn2_b64 vcc, exec, s[4:5]
	s_cbranch_vccnz .LBB87_250
; %bb.248:
	s_waitcnt lgkmcnt(0)
	v_mul_hi_u32 v8, s17, v12
	s_andn2_b64 vcc, exec, s[58:59]
	v_add_u32_e32 v8, v12, v8
	v_lshrrev_b32_e32 v9, s18, v8
	v_mul_lo_u32 v8, v9, s16
	v_sub_u32_e32 v8, v12, v8
	v_mul_lo_u32 v8, v8, s56
	s_cbranch_vccnz .LBB87_250
; %bb.249:
	v_mul_hi_u32 v17, s78, v9
	v_add_u32_e32 v17, v9, v17
	v_lshrrev_b32_e32 v17, s79, v17
	v_mul_lo_u32 v17, v17, s19
	v_sub_u32_e32 v9, v9, v17
	v_mad_u64_u32 v[8:9], s[4:5], v9, s57, v[8:9]
.LBB87_250:
	v_mov_b32_e32 v9, s13
	s_and_b32 s10, s15, 0xff
	v_add_co_u32_e32 v8, vcc, s12, v8
	s_cmp_lt_i32 s10, 11
	v_addc_co_u32_e32 v9, vcc, 0, v9, vcc
	s_cbranch_scc1 .LBB87_257
; %bb.251:
	s_and_b32 s11, 0xffff, s10
	s_cmp_gt_i32 s11, 25
	s_cbranch_scc0 .LBB87_258
; %bb.252:
	s_cmp_gt_i32 s11, 28
	s_cbranch_scc0 .LBB87_259
; %bb.253:
	;; [unrolled: 3-line block ×4, first 2 shown]
	s_mov_b64 s[8:9], 0
	s_mov_b64 s[4:5], -1
	s_cmp_eq_u32 s11, 46
	s_mov_b64 s[6:7], 0
	s_cbranch_scc0 .LBB87_262
; %bb.256:
	v_mov_b32_e32 v17, s14
	global_store_dword v[8:9], v17, off
	s_mov_b64 s[6:7], -1
	s_mov_b64 s[4:5], 0
	s_branch .LBB87_262
.LBB87_257:
	s_mov_b64 s[8:9], -1
	s_mov_b64 s[6:7], 0
	s_mov_b64 s[4:5], s[70:71]
	s_branch .LBB87_307
.LBB87_258:
	s_mov_b64 s[8:9], -1
	s_mov_b64 s[6:7], 0
	s_mov_b64 s[4:5], s[70:71]
	s_branch .LBB87_284
.LBB87_259:
	s_mov_b64 s[8:9], -1
	s_mov_b64 s[6:7], 0
	s_mov_b64 s[4:5], s[70:71]
	s_branch .LBB87_270
.LBB87_260:
	s_mov_b64 s[8:9], -1
	s_mov_b64 s[6:7], 0
	s_mov_b64 s[4:5], s[70:71]
	s_branch .LBB87_266
.LBB87_261:
	s_mov_b64 s[8:9], -1
	s_mov_b64 s[6:7], 0
	s_mov_b64 s[4:5], s[70:71]
.LBB87_262:
	s_and_b64 vcc, exec, s[8:9]
	s_cbranch_vccz .LBB87_265
; %bb.263:
	s_cmp_eq_u32 s11, 44
	s_mov_b64 s[4:5], -1
	s_cbranch_scc0 .LBB87_265
; %bb.264:
	v_mov_b32_e32 v17, 0xffff
	v_cndmask_b32_e64 v17, v16, v17, s[0:1]
	s_mov_b64 s[6:7], -1
	s_mov_b64 s[4:5], 0
	global_store_byte v[8:9], v17, off
.LBB87_265:
	s_mov_b64 s[8:9], 0
.LBB87_266:
	s_and_b64 vcc, exec, s[8:9]
	s_cbranch_vccz .LBB87_269
; %bb.267:
	s_cmp_eq_u32 s11, 29
	s_mov_b64 s[4:5], -1
	s_cbranch_scc0 .LBB87_269
; %bb.268:
	global_store_dwordx2 v[8:9], v[6:7], off
	s_mov_b64 s[6:7], -1
	s_mov_b64 s[4:5], 0
.LBB87_269:
	s_mov_b64 s[8:9], 0
.LBB87_270:
	s_and_b64 vcc, exec, s[8:9]
	s_cbranch_vccz .LBB87_283
; %bb.271:
	s_cmp_lt_i32 s11, 27
	s_mov_b64 s[6:7], -1
	s_cbranch_scc1 .LBB87_277
; %bb.272:
	s_cmp_gt_i32 s11, 27
	s_cbranch_scc0 .LBB87_274
; %bb.273:
	s_mov_b64 s[6:7], 0
	global_store_dword v[8:9], v15, off
.LBB87_274:
	s_andn2_b64 vcc, exec, s[6:7]
	s_cbranch_vccnz .LBB87_276
; %bb.275:
	global_store_short v[8:9], v15, off
.LBB87_276:
	s_mov_b64 s[6:7], 0
.LBB87_277:
	s_andn2_b64 vcc, exec, s[6:7]
	s_cbranch_vccnz .LBB87_282
; %bb.278:
	s_andn2_b64 vcc, exec, s[52:53]
	s_movk_i32 s6, 0x80
	s_cbranch_vccnz .LBB87_281
; %bb.279:
	s_or_b64 s[6:7], s[50:51], s[54:55]
	s_andn2_b64 vcc, exec, s[6:7]
	s_mov_b32 s6, 0
	s_cbranch_vccnz .LBB87_281
; %bb.280:
	s_and_b64 s[6:7], s[50:51], exec
	s_cselect_b32 s6, s87, s93
	s_or_b32 s6, s6, s83
.LBB87_281:
	v_mov_b32_e32 v17, s6
	global_store_byte v[8:9], v17, off
.LBB87_282:
	s_mov_b64 s[6:7], -1
.LBB87_283:
	s_mov_b64 s[8:9], 0
.LBB87_284:
	s_and_b64 vcc, exec, s[8:9]
	s_cbranch_vccz .LBB87_306
; %bb.285:
	s_cmp_gt_i32 s11, 22
	s_mov_b64 s[8:9], -1
	s_cbranch_scc0 .LBB87_298
; %bb.286:
	s_cmp_lt_i32 s11, 24
	s_mov_b64 s[6:7], -1
	s_cbranch_scc1 .LBB87_295
; %bb.287:
	s_cmp_gt_i32 s11, 24
	s_cbranch_scc0 .LBB87_292
; %bb.288:
	s_andn2_b64 vcc, exec, s[46:47]
	s_movk_i32 s6, 0x80
	s_cbranch_vccnz .LBB87_291
; %bb.289:
	s_or_b64 s[6:7], s[44:45], s[48:49]
	s_andn2_b64 vcc, exec, s[6:7]
	s_mov_b32 s6, 0
	s_cbranch_vccnz .LBB87_291
; %bb.290:
	s_and_b64 s[6:7], s[44:45], exec
	s_cselect_b32 s6, s89, s91
	s_or_b32 s6, s6, s83
.LBB87_291:
	v_mov_b32_e32 v17, s6
	s_mov_b64 s[6:7], 0
	global_store_byte v[8:9], v17, off
.LBB87_292:
	s_and_b64 vcc, exec, s[6:7]
	s_cbranch_vccz .LBB87_294
; %bb.293:
	s_and_b64 s[6:7], s[42:43], exec
	s_cselect_b32 s8, s84, s88
	s_and_b64 s[6:7], s[40:41], exec
	s_cselect_b32 s6, s86, s8
	s_or_b32 s6, s6, s83
	v_mov_b32_e32 v17, s6
	global_store_byte v[8:9], v17, off
.LBB87_294:
	s_mov_b64 s[6:7], 0
.LBB87_295:
	s_andn2_b64 vcc, exec, s[6:7]
	s_cbranch_vccnz .LBB87_297
; %bb.296:
	s_and_b64 s[6:7], s[38:39], exec
	s_cselect_b32 s8, s92, s90
	s_and_b64 s[6:7], s[36:37], exec
	s_cselect_b32 s6, s85, s8
	s_or_b32 s6, s6, s83
	v_mov_b32_e32 v17, s6
	global_store_byte v[8:9], v17, off
.LBB87_297:
	s_mov_b64 s[8:9], 0
	s_mov_b64 s[6:7], -1
.LBB87_298:
	s_andn2_b64 vcc, exec, s[8:9]
	s_cbranch_vccnz .LBB87_306
; %bb.299:
	s_cmp_gt_i32 s11, 14
	s_mov_b64 s[8:9], -1
	s_cbranch_scc0 .LBB87_303
; %bb.300:
	s_cmp_eq_u32 s11, 15
	s_mov_b64 s[4:5], -1
	s_cbranch_scc0 .LBB87_302
; %bb.301:
	v_mov_b32_e32 v17, s14
	global_store_short v[8:9], v17, off
	s_mov_b64 s[6:7], -1
	s_mov_b64 s[4:5], 0
.LBB87_302:
	s_mov_b64 s[8:9], 0
.LBB87_303:
	s_and_b64 vcc, exec, s[8:9]
	s_cbranch_vccz .LBB87_306
; %bb.304:
	s_cmp_eq_u32 s11, 11
	s_mov_b64 s[4:5], -1
	s_cbranch_scc0 .LBB87_306
; %bb.305:
	s_mov_b64 s[6:7], -1
	s_mov_b64 s[4:5], 0
	global_store_byte v[8:9], v14, off
.LBB87_306:
	s_mov_b64 s[8:9], 0
.LBB87_307:
	s_and_b64 vcc, exec, s[8:9]
	s_cbranch_vccz .LBB87_346
; %bb.308:
	s_and_b32 s8, 0xffff, s10
	s_cmp_lt_i32 s8, 5
	s_mov_b64 s[6:7], -1
	s_cbranch_scc1 .LBB87_329
; %bb.309:
	s_cmp_lt_i32 s8, 8
	s_cbranch_scc1 .LBB87_319
; %bb.310:
	s_cmp_lt_i32 s8, 9
	s_cbranch_scc1 .LBB87_316
; %bb.311:
	s_cmp_gt_i32 s8, 9
	s_cbranch_scc0 .LBB87_313
; %bb.312:
	s_mov_b64 s[6:7], 0
	global_store_dwordx4 v[8:9], v[0:3], off
.LBB87_313:
	s_andn2_b64 vcc, exec, s[6:7]
	s_cbranch_vccnz .LBB87_315
; %bb.314:
	v_mov_b32_e32 v17, s81
	v_mov_b32_e32 v18, s82
	global_store_dwordx2 v[8:9], v[17:18], off
.LBB87_315:
	s_mov_b64 s[6:7], 0
.LBB87_316:
	s_andn2_b64 vcc, exec, s[6:7]
	s_cbranch_vccnz .LBB87_318
; %bb.317:
	global_store_dword v[8:9], v13, off
.LBB87_318:
	s_mov_b64 s[6:7], 0
.LBB87_319:
	s_andn2_b64 vcc, exec, s[6:7]
	s_cbranch_vccnz .LBB87_328
; %bb.320:
	s_cmp_lt_i32 s8, 6
	s_mov_b64 s[6:7], -1
	s_cbranch_scc1 .LBB87_326
; %bb.321:
	s_cmp_gt_i32 s8, 6
	s_cbranch_scc0 .LBB87_323
; %bb.322:
	s_mov_b64 s[6:7], 0
	global_store_dwordx2 v[8:9], v[0:1], off
.LBB87_323:
	s_andn2_b64 vcc, exec, s[6:7]
	s_cbranch_vccnz .LBB87_325
; %bb.324:
	v_mov_b32_e32 v17, s81
	global_store_dword v[8:9], v17, off
.LBB87_325:
	s_mov_b64 s[6:7], 0
.LBB87_326:
	s_andn2_b64 vcc, exec, s[6:7]
	s_cbranch_vccnz .LBB87_328
; %bb.327:
	global_store_short v[8:9], v11, off
.LBB87_328:
	s_mov_b64 s[6:7], 0
.LBB87_329:
	s_andn2_b64 vcc, exec, s[6:7]
	s_cbranch_vccnz .LBB87_345
; %bb.330:
	s_cmp_lt_i32 s8, 2
	s_mov_b64 s[6:7], -1
	s_cbranch_scc1 .LBB87_340
; %bb.331:
	s_cmp_lt_i32 s8, 3
	s_cbranch_scc1 .LBB87_337
; %bb.332:
	s_cmp_gt_i32 s8, 3
	s_cbranch_scc0 .LBB87_334
; %bb.333:
	s_mov_b64 s[6:7], 0
	global_store_dwordx2 v[8:9], v[4:5], off
.LBB87_334:
	s_andn2_b64 vcc, exec, s[6:7]
	s_cbranch_vccnz .LBB87_336
; %bb.335:
	global_store_dword v[8:9], v10, off
.LBB87_336:
	s_mov_b64 s[6:7], 0
.LBB87_337:
	s_andn2_b64 vcc, exec, s[6:7]
	s_cbranch_vccnz .LBB87_339
; %bb.338:
	global_store_short v[8:9], v10, off
.LBB87_339:
	s_mov_b64 s[6:7], 0
.LBB87_340:
	s_andn2_b64 vcc, exec, s[6:7]
	s_cbranch_vccnz .LBB87_345
; %bb.341:
	s_cmp_gt_i32 s8, 0
	s_mov_b64 s[6:7], -1
	s_cbranch_scc0 .LBB87_343
; %bb.342:
	s_mov_b64 s[6:7], 0
	global_store_byte v[8:9], v10, off
.LBB87_343:
	s_andn2_b64 vcc, exec, s[6:7]
	s_cbranch_vccnz .LBB87_345
; %bb.344:
	global_store_byte v[8:9], v4, off
.LBB87_345:
	s_mov_b64 s[6:7], -1
.LBB87_346:
	s_andn2_b64 vcc, exec, s[6:7]
	s_cbranch_vccnz .LBB87_348
; %bb.347:
	v_add_u32_e32 v12, 0x80, v12
	s_mov_b64 s[6:7], -1
	s_branch .LBB87_349
.LBB87_348:
	s_mov_b64 s[6:7], 0
                                        ; implicit-def: $vgpr12
.LBB87_349:
	s_andn2_b64 s[8:9], s[70:71], exec
	s_and_b64 s[4:5], s[4:5], exec
	s_or_b64 s[76:77], s[8:9], s[4:5]
	s_orn2_b64 s[6:7], s[6:7], exec
.LBB87_350:
	s_or_b64 exec, exec, s[74:75]
	s_mov_b64 s[4:5], 0
	s_mov_b64 s[10:11], 0
                                        ; implicit-def: $sgpr20
                                        ; implicit-def: $vgpr8_vgpr9
	s_and_saveexec_b64 s[74:75], s[6:7]
	s_cbranch_execz .LBB87_421
; %bb.351:
	v_cmp_gt_i32_e32 vcc, s94, v12
	s_mov_b64 s[6:7], 0
	s_mov_b64 s[8:9], s[76:77]
                                        ; implicit-def: $sgpr20
                                        ; implicit-def: $vgpr8_vgpr9
	s_waitcnt lgkmcnt(0)
	s_and_saveexec_b64 s[78:79], vcc
	s_cbranch_execz .LBB87_420
; %bb.352:
	s_andn2_b64 vcc, exec, s[34:35]
	s_cbranch_vccnz .LBB87_357
; %bb.353:
	s_andn2_b64 vcc, exec, s[64:65]
	s_cbranch_vccnz .LBB87_358
; %bb.354:
	s_add_i32 s95, s95, 1
	s_cmp_eq_u32 s80, 2
	s_cbranch_scc1 .LBB87_359
; %bb.355:
	s_and_b32 s60, s95, 28
	s_mov_b32 s61, 0
	v_mov_b32_e32 v8, 0
	s_mov_b64 s[64:65], s[28:29]
	v_mov_b32_e32 v9, v12
.LBB87_356:                             ; =>This Inner Loop Header: Depth=1
	s_load_dwordx8 s[4:11], s[64:65], 0x4
	s_load_dwordx4 s[20:23], s[64:65], 0x24
	s_load_dwordx4 s[24:27], s[62:63], 0x0
	s_add_u32 s64, s64, 48
	s_addc_u32 s65, s65, 0
	s_waitcnt lgkmcnt(0)
	v_mul_hi_u32 v17, s5, v9
	s_add_i32 s61, s61, 4
	s_add_u32 s62, s62, 16
	s_addc_u32 s63, s63, 0
	v_add_u32_e32 v17, v9, v17
	v_lshrrev_b32_e32 v17, s6, v17
	v_mul_lo_u32 v18, v17, s4
	v_mul_hi_u32 v19, s8, v17
	s_cmp_eq_u32 s60, s61
	v_sub_u32_e32 v9, v9, v18
	v_add_u32_e32 v18, v17, v19
	v_lshrrev_b32_e32 v18, s9, v18
	v_mul_lo_u32 v19, v9, s24
	v_mul_hi_u32 v9, s11, v18
	v_mul_lo_u32 v21, v18, s7
	v_add_u32_e32 v9, v18, v9
	v_lshrrev_b32_e32 v20, s20, v9
	v_mul_hi_u32 v9, s22, v20
	v_sub_u32_e32 v17, v17, v21
	v_mul_lo_u32 v21, v20, s10
	v_mul_lo_u32 v17, v17, s25
	v_add_u32_e32 v9, v20, v9
	v_lshrrev_b32_e32 v9, s23, v9
	v_mul_lo_u32 v22, v9, s21
	v_sub_u32_e32 v18, v18, v21
	v_mul_lo_u32 v18, v18, s26
	v_add3_u32 v8, v19, v8, v17
	v_sub_u32_e32 v20, v20, v22
	v_mul_lo_u32 v20, v20, s27
	v_add3_u32 v8, v18, v8, v20
	s_cbranch_scc0 .LBB87_356
	s_branch .LBB87_360
.LBB87_357:
	s_mov_b64 s[4:5], -1
                                        ; implicit-def: $vgpr8
	s_branch .LBB87_364
.LBB87_358:
	v_mov_b32_e32 v8, 0
	s_branch .LBB87_363
.LBB87_359:
	v_mov_b32_e32 v8, 0
	s_mov_b32 s60, 0
	v_mov_b32_e32 v9, v12
.LBB87_360:
	s_and_b32 s8, s95, 3
	s_cmp_eq_u32 s8, 0
	s_cbranch_scc1 .LBB87_363
; %bb.361:
	s_lshl_b32 s4, s60, 2
	s_add_u32 s4, s28, s4
	s_addc_u32 s5, s29, 0
	s_add_u32 s4, s4, 0xc4
	s_addc_u32 s5, s5, 0
	s_mul_i32 s6, s60, 12
	s_add_u32 s6, s28, s6
	s_addc_u32 s7, s29, 0
.LBB87_362:                             ; =>This Inner Loop Header: Depth=1
	s_load_dwordx2 s[10:11], s[6:7], 0x4
	s_load_dword s9, s[6:7], 0xc
	s_add_u32 s6, s6, 12
	s_addc_u32 s7, s7, 0
	s_waitcnt lgkmcnt(0)
	v_mul_hi_u32 v17, s11, v9
	s_load_dword s11, s[4:5], 0x0
	s_add_u32 s4, s4, 4
	s_addc_u32 s5, s5, 0
	v_add_u32_e32 v17, v9, v17
	v_lshrrev_b32_e32 v17, s9, v17
	v_mul_lo_u32 v18, v17, s10
	s_add_i32 s8, s8, -1
	s_cmp_lg_u32 s8, 0
	v_sub_u32_e32 v9, v9, v18
	s_waitcnt lgkmcnt(0)
	v_mad_u64_u32 v[8:9], s[10:11], v9, s11, v[8:9]
	v_mov_b32_e32 v9, v17
	s_cbranch_scc1 .LBB87_362
.LBB87_363:
	s_mov_b64 s[4:5], 0
.LBB87_364:
	s_andn2_b64 vcc, exec, s[4:5]
	s_cbranch_vccnz .LBB87_367
; %bb.365:
	v_mul_hi_u32 v8, s17, v12
	s_mov_b64 s[4:5], s[56:57]
	s_andn2_b64 vcc, exec, s[58:59]
	v_add_u32_e32 v8, v12, v8
	v_lshrrev_b32_e32 v9, s18, v8
	v_mul_lo_u32 v8, v9, s16
	v_sub_u32_e32 v8, v12, v8
	v_mul_lo_u32 v8, v8, s4
	s_cbranch_vccnz .LBB87_367
; %bb.366:
	s_load_dwordx2 s[56:57], s[28:29], 0x14
	s_waitcnt lgkmcnt(0)
	v_mul_hi_u32 v12, s56, v9
	v_add_u32_e32 v12, v9, v12
	v_lshrrev_b32_e32 v12, s57, v12
	v_mul_lo_u32 v12, v12, s19
	v_sub_u32_e32 v9, v9, v12
	v_mad_u64_u32 v[8:9], s[4:5], v9, s5, v[8:9]
.LBB87_367:
	v_mov_b32_e32 v9, s13
	s_and_b32 s20, s15, 0xff
	v_add_co_u32_e32 v8, vcc, s12, v8
	s_cmp_lt_i32 s20, 11
	v_addc_co_u32_e32 v9, vcc, 0, v9, vcc
	s_cbranch_scc1 .LBB87_417
; %bb.368:
	s_and_b32 s10, 0xffff, s20
	s_mov_b64 s[6:7], -1
	s_cmp_gt_i32 s10, 25
	s_mov_b64 s[4:5], s[76:77]
	s_cbranch_scc0 .LBB87_396
; %bb.369:
	s_cmp_gt_i32 s10, 28
	s_mov_b64 s[4:5], s[76:77]
	s_cbranch_scc0 .LBB87_383
; %bb.370:
	;; [unrolled: 4-line block ×4, first 2 shown]
	s_cmp_eq_u32 s10, 46
	s_mov_b64 s[4:5], -1
	s_cbranch_scc0 .LBB87_374
; %bb.373:
	v_mov_b32_e32 v12, s14
	global_store_dword v[8:9], v12, off
	s_mov_b64 s[4:5], 0
.LBB87_374:
	s_mov_b64 s[6:7], 0
.LBB87_375:
	s_and_b64 vcc, exec, s[6:7]
	s_cbranch_vccz .LBB87_378
; %bb.376:
	s_cmp_eq_u32 s10, 44
	s_mov_b64 s[4:5], -1
	s_cbranch_scc0 .LBB87_378
; %bb.377:
	v_mov_b32_e32 v12, 0xffff
	v_cndmask_b32_e64 v12, v16, v12, s[0:1]
	global_store_byte v[8:9], v12, off
	s_mov_b64 s[4:5], 0
.LBB87_378:
	s_mov_b64 s[6:7], 0
.LBB87_379:
	s_and_b64 vcc, exec, s[6:7]
	s_cbranch_vccz .LBB87_382
; %bb.380:
	s_cmp_eq_u32 s10, 29
	s_mov_b64 s[4:5], -1
	s_cbranch_scc0 .LBB87_382
; %bb.381:
	global_store_dwordx2 v[8:9], v[6:7], off
	s_mov_b64 s[4:5], 0
.LBB87_382:
	s_mov_b64 s[6:7], 0
.LBB87_383:
	s_and_b64 vcc, exec, s[6:7]
	s_cbranch_vccz .LBB87_395
; %bb.384:
	s_cmp_lt_i32 s10, 27
	s_mov_b64 s[0:1], -1
	s_cbranch_scc1 .LBB87_390
; %bb.385:
	s_cmp_gt_i32 s10, 27
	s_cbranch_scc0 .LBB87_387
; %bb.386:
	s_mov_b64 s[0:1], 0
	global_store_dword v[8:9], v15, off
.LBB87_387:
	s_andn2_b64 vcc, exec, s[0:1]
	s_cbranch_vccnz .LBB87_389
; %bb.388:
	global_store_short v[8:9], v15, off
.LBB87_389:
	s_mov_b64 s[0:1], 0
.LBB87_390:
	s_andn2_b64 vcc, exec, s[0:1]
	s_cbranch_vccnz .LBB87_395
; %bb.391:
	s_andn2_b64 vcc, exec, s[52:53]
	s_movk_i32 s0, 0x80
	s_cbranch_vccnz .LBB87_394
; %bb.392:
	s_or_b64 s[0:1], s[50:51], s[54:55]
	s_andn2_b64 vcc, exec, s[0:1]
	s_mov_b32 s0, 0
	s_cbranch_vccnz .LBB87_394
; %bb.393:
	s_and_b64 s[0:1], s[50:51], exec
	s_cselect_b32 s0, s87, s93
	s_or_b32 s0, s0, s83
.LBB87_394:
	v_mov_b32_e32 v6, s0
	global_store_byte v[8:9], v6, off
.LBB87_395:
	s_mov_b64 s[6:7], 0
.LBB87_396:
	s_mov_b64 s[0:1], 0
	s_and_b64 vcc, exec, s[6:7]
	s_cbranch_vccz .LBB87_418
; %bb.397:
	s_cmp_gt_i32 s10, 22
	s_mov_b64 s[6:7], -1
	s_cbranch_scc0 .LBB87_410
; %bb.398:
	s_cmp_lt_i32 s10, 24
	s_cbranch_scc1 .LBB87_407
; %bb.399:
	s_cmp_gt_i32 s10, 24
	s_cbranch_scc0 .LBB87_404
; %bb.400:
	s_andn2_b64 vcc, exec, s[46:47]
	s_movk_i32 s6, 0x80
	s_cbranch_vccnz .LBB87_403
; %bb.401:
	s_or_b64 s[6:7], s[44:45], s[48:49]
	s_andn2_b64 vcc, exec, s[6:7]
	s_mov_b32 s6, 0
	s_cbranch_vccnz .LBB87_403
; %bb.402:
	s_and_b64 s[6:7], s[44:45], exec
	s_cselect_b32 s6, s89, s91
	s_or_b32 s6, s6, s83
.LBB87_403:
	v_mov_b32_e32 v6, s6
	s_mov_b64 s[6:7], 0
	global_store_byte v[8:9], v6, off
.LBB87_404:
	s_and_b64 vcc, exec, s[6:7]
	s_cbranch_vccz .LBB87_406
; %bb.405:
	s_and_b64 s[6:7], s[42:43], exec
	s_cselect_b32 s8, s84, s88
	s_and_b64 s[6:7], s[40:41], exec
	s_cselect_b32 s6, s86, s8
	s_or_b32 s6, s6, s83
	v_mov_b32_e32 v6, s6
	global_store_byte v[8:9], v6, off
.LBB87_406:
	s_mov_b64 s[6:7], 0
.LBB87_407:
	s_andn2_b64 vcc, exec, s[6:7]
	s_cbranch_vccnz .LBB87_409
; %bb.408:
	s_and_b64 s[6:7], s[38:39], exec
	s_cselect_b32 s8, s92, s90
	s_and_b64 s[6:7], s[36:37], exec
	s_cselect_b32 s6, s85, s8
	s_or_b32 s6, s6, s83
	v_mov_b32_e32 v6, s6
	global_store_byte v[8:9], v6, off
.LBB87_409:
	s_mov_b64 s[6:7], 0
.LBB87_410:
	s_andn2_b64 vcc, exec, s[6:7]
	s_mov_b64 s[6:7], 0
	s_cbranch_vccnz .LBB87_419
; %bb.411:
	s_cmp_gt_i32 s10, 14
	s_mov_b64 s[8:9], -1
	s_cbranch_scc0 .LBB87_415
; %bb.412:
	s_cmp_eq_u32 s10, 15
	s_mov_b64 s[4:5], -1
	s_cbranch_scc0 .LBB87_414
; %bb.413:
	v_mov_b32_e32 v6, s14
	global_store_short v[8:9], v6, off
	s_mov_b64 s[4:5], 0
.LBB87_414:
	s_mov_b64 s[8:9], 0
.LBB87_415:
	s_and_b64 vcc, exec, s[8:9]
	s_cbranch_vccz .LBB87_419
; %bb.416:
	s_cmp_lg_u32 s10, 11
	s_cselect_b64 s[8:9], -1, 0
	s_andn2_b64 s[4:5], s[4:5], exec
	s_and_b64 s[8:9], s[8:9], exec
	s_mov_b64 s[6:7], -1
	s_or_b64 s[4:5], s[4:5], s[8:9]
	s_branch .LBB87_419
.LBB87_417:
	s_mov_b64 s[6:7], 0
	s_mov_b64 s[0:1], -1
	s_mov_b64 s[4:5], s[76:77]
	s_branch .LBB87_419
.LBB87_418:
	s_mov_b64 s[6:7], 0
.LBB87_419:
	s_and_b64 s[10:11], s[0:1], exec
	s_andn2_b64 s[0:1], s[76:77], exec
	s_and_b64 s[4:5], s[4:5], exec
	s_and_b64 s[6:7], s[6:7], exec
	s_or_b64 s[8:9], s[0:1], s[4:5]
.LBB87_420:
	s_or_b64 exec, exec, s[78:79]
	s_and_b64 s[4:5], s[6:7], exec
	s_andn2_b64 s[0:1], s[76:77], exec
	s_and_b64 s[6:7], s[8:9], exec
	s_and_b64 s[10:11], s[10:11], exec
	s_or_b64 s[76:77], s[0:1], s[6:7]
.LBB87_421:
	s_or_b64 exec, exec, s[74:75]
	s_and_b64 s[6:7], s[4:5], exec
	s_andn2_b64 s[0:1], s[70:71], exec
	s_and_b64 s[4:5], s[76:77], exec
	s_and_b64 s[8:9], s[10:11], exec
	s_or_b64 s[70:71], s[0:1], s[4:5]
.LBB87_422:
	s_or_b64 exec, exec, s[72:73]
	s_and_b64 s[72:73], s[6:7], exec
	s_andn2_b64 s[0:1], s[66:67], exec
	s_and_b64 s[6:7], s[70:71], exec
	s_and_b64 s[4:5], s[8:9], exec
	s_or_b64 s[66:67], s[0:1], s[6:7]
	s_or_b64 exec, exec, s[68:69]
	s_mov_b64 s[0:1], 0
	s_and_saveexec_b64 s[6:7], s[66:67]
	s_cbranch_execz .LBB87_122
.LBB87_423:
	s_mov_b64 s[0:1], exec
	s_andn2_b64 s[72:73], s[72:73], exec
	s_trap 2
	s_or_b64 exec, exec, s[6:7]
	s_and_saveexec_b64 s[6:7], s[72:73]
	s_xor_b64 s[6:7], exec, s[6:7]
	s_cbranch_execnz .LBB87_123
.LBB87_424:
	s_or_b64 exec, exec, s[6:7]
	s_and_saveexec_b64 s[6:7], s[4:5]
	s_xor_b64 s[4:5], exec, s[6:7]
	s_cbranch_execz .LBB87_462
.LBB87_425:
	s_sext_i32_i16 s8, s20
	s_cmp_lt_i32 s8, 5
	s_mov_b64 s[6:7], -1
	s_cbranch_scc1 .LBB87_446
; %bb.426:
	s_cmp_lt_i32 s8, 8
	s_cbranch_scc1 .LBB87_436
; %bb.427:
	s_cmp_lt_i32 s8, 9
	s_cbranch_scc1 .LBB87_433
; %bb.428:
	s_cmp_gt_i32 s8, 9
	s_cbranch_scc0 .LBB87_430
; %bb.429:
	s_mov_b64 s[6:7], 0
	global_store_dwordx4 v[8:9], v[0:3], off
.LBB87_430:
	s_andn2_b64 vcc, exec, s[6:7]
	s_cbranch_vccnz .LBB87_432
; %bb.431:
	v_mov_b32_e32 v2, s81
	v_mov_b32_e32 v3, s82
	global_store_dwordx2 v[8:9], v[2:3], off
.LBB87_432:
	s_mov_b64 s[6:7], 0
.LBB87_433:
	s_andn2_b64 vcc, exec, s[6:7]
	s_cbranch_vccnz .LBB87_435
; %bb.434:
	global_store_dword v[8:9], v13, off
.LBB87_435:
	s_mov_b64 s[6:7], 0
.LBB87_436:
	s_andn2_b64 vcc, exec, s[6:7]
	s_cbranch_vccnz .LBB87_445
; %bb.437:
	s_sext_i32_i16 s8, s20
	s_cmp_lt_i32 s8, 6
	s_mov_b64 s[6:7], -1
	s_cbranch_scc1 .LBB87_443
; %bb.438:
	s_cmp_gt_i32 s8, 6
	s_cbranch_scc0 .LBB87_440
; %bb.439:
	s_mov_b64 s[6:7], 0
	global_store_dwordx2 v[8:9], v[0:1], off
.LBB87_440:
	s_andn2_b64 vcc, exec, s[6:7]
	s_cbranch_vccnz .LBB87_442
; %bb.441:
	v_mov_b32_e32 v0, s81
	global_store_dword v[8:9], v0, off
.LBB87_442:
	s_mov_b64 s[6:7], 0
.LBB87_443:
	s_andn2_b64 vcc, exec, s[6:7]
	s_cbranch_vccnz .LBB87_445
; %bb.444:
	global_store_short v[8:9], v11, off
.LBB87_445:
	s_mov_b64 s[6:7], 0
.LBB87_446:
	s_andn2_b64 vcc, exec, s[6:7]
	s_cbranch_vccnz .LBB87_462
; %bb.447:
	s_sext_i32_i16 s8, s20
	s_cmp_lt_i32 s8, 2
	s_mov_b64 s[6:7], -1
	s_cbranch_scc1 .LBB87_457
; %bb.448:
	s_cmp_lt_i32 s8, 3
	s_cbranch_scc1 .LBB87_454
; %bb.449:
	s_cmp_gt_i32 s8, 3
	s_cbranch_scc0 .LBB87_451
; %bb.450:
	s_mov_b64 s[6:7], 0
	global_store_dwordx2 v[8:9], v[4:5], off
.LBB87_451:
	s_andn2_b64 vcc, exec, s[6:7]
	s_cbranch_vccnz .LBB87_453
; %bb.452:
	global_store_dword v[8:9], v10, off
.LBB87_453:
	s_mov_b64 s[6:7], 0
.LBB87_454:
	s_andn2_b64 vcc, exec, s[6:7]
	s_cbranch_vccnz .LBB87_456
; %bb.455:
	global_store_short v[8:9], v10, off
.LBB87_456:
	s_mov_b64 s[6:7], 0
.LBB87_457:
	s_andn2_b64 vcc, exec, s[6:7]
	s_cbranch_vccnz .LBB87_462
; %bb.458:
	s_sext_i32_i16 s6, s20
	s_cmp_gt_i32 s6, 0
	s_mov_b64 s[6:7], -1
	s_cbranch_scc0 .LBB87_460
; %bb.459:
	s_mov_b64 s[6:7], 0
	global_store_byte v[8:9], v10, off
.LBB87_460:
	s_andn2_b64 vcc, exec, s[6:7]
	s_cbranch_vccnz .LBB87_462
; %bb.461:
	global_store_byte v[8:9], v4, off
.LBB87_462:
	s_or_b64 exec, exec, s[4:5]
	s_and_b64 s[20:21], s[0:1], exec
                                        ; implicit-def: $vgpr8
                                        ; implicit-def: $vgpr12
.LBB87_463:
	s_or_saveexec_b64 s[22:23], s[2:3]
	s_mov_b64 s[0:1], 0
                                        ; implicit-def: $sgpr3
                                        ; implicit-def: $vgpr0_vgpr1
                                        ; implicit-def: $sgpr2
	s_xor_b64 exec, exec, s[22:23]
	s_cbranch_execz .LBB87_946
; %bb.464:
	v_cndmask_b32_e64 v0, 0, 1, s[34:35]
	v_cmp_ne_u32_e64 s[0:1], 1, v0
	s_andn2_b64 vcc, exec, s[34:35]
	s_cbranch_vccnz .LBB87_470
; %bb.465:
	s_cmp_lg_u32 s33, 0
	s_mov_b32 s26, 0
	s_cbranch_scc0 .LBB87_471
; %bb.466:
	s_min_u32 s27, s80, 15
	s_add_i32 s27, s27, 1
	s_cmp_eq_u32 s80, 2
	s_cbranch_scc1 .LBB87_472
; %bb.467:
	s_and_b32 s26, s27, 28
	s_add_u32 s2, s28, 0xc4
	s_addc_u32 s3, s29, 0
	s_mov_b32 s30, 0
	v_mov_b32_e32 v6, 0
	s_mov_b64 s[24:25], s[28:29]
	v_mov_b32_e32 v0, v12
.LBB87_468:                             ; =>This Inner Loop Header: Depth=1
	s_load_dwordx8 s[4:11], s[24:25], 0x4
	s_load_dwordx4 s[12:15], s[24:25], 0x24
	s_waitcnt lgkmcnt(0)
	s_load_dwordx4 s[16:19], s[2:3], 0x0
	s_add_u32 s24, s24, 48
	s_addc_u32 s25, s25, 0
	v_mul_hi_u32 v1, s5, v0
	s_add_i32 s30, s30, 4
	s_add_u32 s2, s2, 16
	s_addc_u32 s3, s3, 0
	v_add_u32_e32 v1, v0, v1
	v_lshrrev_b32_e32 v1, s6, v1
	v_mul_lo_u32 v2, v1, s4
	v_mul_hi_u32 v3, s8, v1
	s_cmp_lg_u32 s26, s30
	v_sub_u32_e32 v0, v0, v2
	v_add_u32_e32 v2, v1, v3
	v_lshrrev_b32_e32 v2, s9, v2
	s_waitcnt lgkmcnt(0)
	v_mul_lo_u32 v3, v0, s16
	v_mul_hi_u32 v0, s11, v2
	v_mul_lo_u32 v5, v2, s7
	v_add_u32_e32 v0, v2, v0
	v_lshrrev_b32_e32 v4, s12, v0
	v_mul_hi_u32 v0, s14, v4
	v_sub_u32_e32 v1, v1, v5
	v_mul_lo_u32 v5, v4, s10
	v_mul_lo_u32 v1, v1, s17
	v_add_u32_e32 v0, v4, v0
	v_lshrrev_b32_e32 v0, s15, v0
	v_mul_lo_u32 v7, v0, s13
	v_sub_u32_e32 v2, v2, v5
	v_mul_lo_u32 v2, v2, s18
	v_add3_u32 v1, v3, v6, v1
	v_sub_u32_e32 v4, v4, v7
	v_mul_lo_u32 v4, v4, s19
	v_add3_u32 v6, v2, v1, v4
	s_cbranch_scc1 .LBB87_468
; %bb.469:
	s_and_b32 s6, s27, 3
	s_cmp_eq_u32 s6, 0
	s_cbranch_scc0 .LBB87_473
	s_branch .LBB87_475
.LBB87_470:
                                        ; implicit-def: $vgpr6
	s_branch .LBB87_476
.LBB87_471:
	v_mov_b32_e32 v6, 0
	s_branch .LBB87_475
.LBB87_472:
	v_mov_b32_e32 v6, 0
	v_mov_b32_e32 v0, v12
	s_and_b32 s6, s27, 3
	s_cmp_eq_u32 s6, 0
	s_cbranch_scc1 .LBB87_475
.LBB87_473:
	s_lshl_b32 s2, s26, 2
	s_add_u32 s2, s28, s2
	s_addc_u32 s3, s29, 0
	s_add_u32 s2, s2, 0xc4
	s_addc_u32 s3, s3, 0
	s_mul_i32 s4, s26, 12
	s_add_u32 s4, s28, s4
	s_addc_u32 s5, s29, 0
.LBB87_474:                             ; =>This Inner Loop Header: Depth=1
	s_load_dwordx2 s[8:9], s[4:5], 0x4
	s_load_dword s7, s[4:5], 0xc
	s_add_u32 s4, s4, 12
	s_addc_u32 s5, s5, 0
	s_waitcnt lgkmcnt(0)
	v_mul_hi_u32 v1, s9, v0
	s_load_dword s9, s[2:3], 0x0
	s_add_u32 s2, s2, 4
	s_addc_u32 s3, s3, 0
	v_add_u32_e32 v1, v0, v1
	v_lshrrev_b32_e32 v1, s7, v1
	v_mul_lo_u32 v2, v1, s8
	s_add_i32 s6, s6, -1
	s_cmp_lg_u32 s6, 0
	v_sub_u32_e32 v0, v0, v2
	s_waitcnt lgkmcnt(0)
	v_mad_u64_u32 v[6:7], s[8:9], v0, s9, v[6:7]
	v_mov_b32_e32 v0, v1
	s_cbranch_scc1 .LBB87_474
.LBB87_475:
	s_cbranch_execnz .LBB87_478
.LBB87_476:
	s_load_dwordx4 s[4:7], s[28:29], 0x4
	s_load_dword s2, s[28:29], 0xc4
	s_cmp_lt_u32 s33, 2
	s_waitcnt lgkmcnt(0)
	v_mul_hi_u32 v0, s5, v12
	v_add_u32_e32 v0, v12, v0
	v_lshrrev_b32_e32 v0, s6, v0
	v_mul_lo_u32 v1, v0, s4
	v_sub_u32_e32 v1, v12, v1
	v_mul_lo_u32 v6, v1, s2
	s_cbranch_scc1 .LBB87_478
; %bb.477:
	s_load_dwordx4 s[4:7], s[28:29], 0x10
	s_load_dword s2, s[28:29], 0xc8
	s_waitcnt lgkmcnt(0)
	v_mul_hi_u32 v1, s5, v0
	v_add_u32_e32 v1, v0, v1
	v_lshrrev_b32_e32 v1, s6, v1
	v_mul_lo_u32 v1, v1, s4
	v_sub_u32_e32 v0, v0, v1
	v_mad_u64_u32 v[6:7], s[2:3], v0, s2, v[6:7]
.LBB87_478:
	s_and_b64 vcc, exec, s[0:1]
	v_add_u32_e32 v0, 0x80, v12
	s_cbranch_vccnz .LBB87_484
; %bb.479:
	s_cmp_lg_u32 s33, 0
	s_mov_b32 s26, 0
	s_cbranch_scc0 .LBB87_485
; %bb.480:
	s_min_u32 s27, s80, 15
	s_add_i32 s27, s27, 1
	s_cmp_eq_u32 s80, 2
	s_cbranch_scc1 .LBB87_486
; %bb.481:
	s_and_b32 s26, s27, 28
	s_add_u32 s2, s28, 0xc4
	s_addc_u32 s3, s29, 0
	s_mov_b32 s30, 0
	v_mov_b32_e32 v4, 0
	s_mov_b64 s[24:25], s[28:29]
	v_mov_b32_e32 v1, v0
.LBB87_482:                             ; =>This Inner Loop Header: Depth=1
	s_load_dwordx8 s[4:11], s[24:25], 0x4
	s_load_dwordx4 s[12:15], s[24:25], 0x24
	s_waitcnt lgkmcnt(0)
	s_load_dwordx4 s[16:19], s[2:3], 0x0
	s_add_u32 s24, s24, 48
	s_addc_u32 s25, s25, 0
	v_mul_hi_u32 v2, s5, v1
	s_add_i32 s30, s30, 4
	s_add_u32 s2, s2, 16
	s_addc_u32 s3, s3, 0
	v_add_u32_e32 v2, v1, v2
	v_lshrrev_b32_e32 v2, s6, v2
	v_mul_lo_u32 v3, v2, s4
	v_mul_hi_u32 v5, s8, v2
	s_cmp_lg_u32 s26, s30
	v_sub_u32_e32 v1, v1, v3
	v_add_u32_e32 v3, v2, v5
	v_lshrrev_b32_e32 v3, s9, v3
	s_waitcnt lgkmcnt(0)
	v_mul_lo_u32 v5, v1, s16
	v_mul_hi_u32 v1, s11, v3
	v_mul_lo_u32 v9, v3, s7
	v_add_u32_e32 v1, v3, v1
	v_lshrrev_b32_e32 v7, s12, v1
	v_mul_hi_u32 v1, s14, v7
	v_sub_u32_e32 v2, v2, v9
	v_mul_lo_u32 v9, v7, s10
	v_mul_lo_u32 v2, v2, s17
	v_add_u32_e32 v1, v7, v1
	v_lshrrev_b32_e32 v1, s15, v1
	v_mul_lo_u32 v10, v1, s13
	v_sub_u32_e32 v3, v3, v9
	v_mul_lo_u32 v3, v3, s18
	v_add3_u32 v2, v5, v4, v2
	v_sub_u32_e32 v7, v7, v10
	v_mul_lo_u32 v7, v7, s19
	v_add3_u32 v4, v3, v2, v7
	s_cbranch_scc1 .LBB87_482
; %bb.483:
	s_and_b32 s6, s27, 3
	s_cmp_eq_u32 s6, 0
	s_cbranch_scc0 .LBB87_487
	s_branch .LBB87_489
.LBB87_484:
                                        ; implicit-def: $vgpr4
	s_branch .LBB87_490
.LBB87_485:
	v_mov_b32_e32 v4, 0
	s_branch .LBB87_489
.LBB87_486:
	v_mov_b32_e32 v4, 0
	v_mov_b32_e32 v1, v0
	s_and_b32 s6, s27, 3
	s_cmp_eq_u32 s6, 0
	s_cbranch_scc1 .LBB87_489
.LBB87_487:
	s_lshl_b32 s2, s26, 2
	s_add_u32 s2, s28, s2
	s_addc_u32 s3, s29, 0
	s_add_u32 s2, s2, 0xc4
	s_addc_u32 s3, s3, 0
	s_mul_i32 s4, s26, 12
	s_add_u32 s4, s28, s4
	s_addc_u32 s5, s29, 0
.LBB87_488:                             ; =>This Inner Loop Header: Depth=1
	s_load_dwordx2 s[8:9], s[4:5], 0x4
	s_load_dword s7, s[4:5], 0xc
	s_add_u32 s4, s4, 12
	s_addc_u32 s5, s5, 0
	s_waitcnt lgkmcnt(0)
	v_mul_hi_u32 v2, s9, v1
	s_load_dword s9, s[2:3], 0x0
	s_add_u32 s2, s2, 4
	s_addc_u32 s3, s3, 0
	v_add_u32_e32 v2, v1, v2
	v_lshrrev_b32_e32 v2, s7, v2
	v_mul_lo_u32 v3, v2, s8
	s_add_i32 s6, s6, -1
	s_cmp_lg_u32 s6, 0
	v_sub_u32_e32 v1, v1, v3
	s_waitcnt lgkmcnt(0)
	v_mad_u64_u32 v[4:5], s[8:9], v1, s9, v[4:5]
	v_mov_b32_e32 v1, v2
	s_cbranch_scc1 .LBB87_488
.LBB87_489:
	s_cbranch_execnz .LBB87_492
.LBB87_490:
	s_load_dwordx4 s[4:7], s[28:29], 0x4
	s_load_dword s2, s[28:29], 0xc4
	s_cmp_lt_u32 s33, 2
	s_waitcnt lgkmcnt(0)
	v_mul_hi_u32 v1, s5, v0
	v_add_u32_e32 v1, v0, v1
	v_lshrrev_b32_e32 v1, s6, v1
	v_mul_lo_u32 v2, v1, s4
	v_sub_u32_e32 v0, v0, v2
	v_mul_lo_u32 v4, v0, s2
	s_cbranch_scc1 .LBB87_492
; %bb.491:
	s_load_dwordx4 s[4:7], s[28:29], 0x10
	s_load_dword s2, s[28:29], 0xc8
	s_waitcnt lgkmcnt(0)
	v_mul_hi_u32 v0, s5, v1
	v_add_u32_e32 v0, v1, v0
	v_lshrrev_b32_e32 v0, s6, v0
	v_mul_lo_u32 v0, v0, s4
	v_sub_u32_e32 v0, v1, v0
	v_mad_u64_u32 v[4:5], s[2:3], v0, s2, v[4:5]
.LBB87_492:
	s_and_b64 vcc, exec, s[0:1]
	v_add_u32_e32 v0, 0x100, v12
	s_cbranch_vccnz .LBB87_498
; %bb.493:
	s_cmp_lg_u32 s33, 0
	s_mov_b32 s26, 0
	s_cbranch_scc0 .LBB87_499
; %bb.494:
	s_min_u32 s27, s80, 15
	s_add_i32 s27, s27, 1
	s_cmp_eq_u32 s80, 2
	s_cbranch_scc1 .LBB87_500
; %bb.495:
	s_and_b32 s26, s27, 28
	s_add_u32 s2, s28, 0xc4
	s_addc_u32 s3, s29, 0
	s_mov_b32 s30, 0
	v_mov_b32_e32 v2, 0
	s_mov_b64 s[24:25], s[28:29]
	v_mov_b32_e32 v1, v0
.LBB87_496:                             ; =>This Inner Loop Header: Depth=1
	s_load_dwordx8 s[4:11], s[24:25], 0x4
	s_load_dwordx4 s[12:15], s[24:25], 0x24
	s_waitcnt lgkmcnt(0)
	s_load_dwordx4 s[16:19], s[2:3], 0x0
	s_add_u32 s24, s24, 48
	s_addc_u32 s25, s25, 0
	v_mul_hi_u32 v3, s5, v1
	s_add_i32 s30, s30, 4
	s_add_u32 s2, s2, 16
	s_addc_u32 s3, s3, 0
	v_add_u32_e32 v3, v1, v3
	v_lshrrev_b32_e32 v3, s6, v3
	v_mul_lo_u32 v5, v3, s4
	v_mul_hi_u32 v7, s8, v3
	s_cmp_lg_u32 s26, s30
	v_sub_u32_e32 v1, v1, v5
	v_add_u32_e32 v5, v3, v7
	v_lshrrev_b32_e32 v5, s9, v5
	s_waitcnt lgkmcnt(0)
	v_mul_lo_u32 v7, v1, s16
	v_mul_hi_u32 v1, s11, v5
	v_mul_lo_u32 v10, v5, s7
	v_add_u32_e32 v1, v5, v1
	v_lshrrev_b32_e32 v9, s12, v1
	v_mul_hi_u32 v1, s14, v9
	v_sub_u32_e32 v3, v3, v10
	v_mul_lo_u32 v10, v9, s10
	v_mul_lo_u32 v3, v3, s17
	v_add_u32_e32 v1, v9, v1
	v_lshrrev_b32_e32 v1, s15, v1
	v_mul_lo_u32 v11, v1, s13
	v_sub_u32_e32 v5, v5, v10
	v_mul_lo_u32 v5, v5, s18
	v_add3_u32 v2, v7, v2, v3
	v_sub_u32_e32 v9, v9, v11
	v_mul_lo_u32 v9, v9, s19
	v_add3_u32 v2, v5, v2, v9
	s_cbranch_scc1 .LBB87_496
; %bb.497:
	s_and_b32 s6, s27, 3
	s_cmp_eq_u32 s6, 0
	s_cbranch_scc0 .LBB87_501
	s_branch .LBB87_503
.LBB87_498:
                                        ; implicit-def: $vgpr2
	s_branch .LBB87_504
.LBB87_499:
	v_mov_b32_e32 v2, 0
	s_branch .LBB87_503
.LBB87_500:
	v_mov_b32_e32 v2, 0
	v_mov_b32_e32 v1, v0
	s_and_b32 s6, s27, 3
	s_cmp_eq_u32 s6, 0
	s_cbranch_scc1 .LBB87_503
.LBB87_501:
	s_lshl_b32 s2, s26, 2
	s_add_u32 s2, s28, s2
	s_addc_u32 s3, s29, 0
	s_add_u32 s2, s2, 0xc4
	s_addc_u32 s3, s3, 0
	s_mul_i32 s4, s26, 12
	s_add_u32 s4, s28, s4
	s_addc_u32 s5, s29, 0
.LBB87_502:                             ; =>This Inner Loop Header: Depth=1
	s_load_dwordx2 s[8:9], s[4:5], 0x4
	s_load_dword s7, s[4:5], 0xc
	s_add_u32 s4, s4, 12
	s_addc_u32 s5, s5, 0
	s_waitcnt lgkmcnt(0)
	v_mul_hi_u32 v3, s9, v1
	s_load_dword s9, s[2:3], 0x0
	s_add_u32 s2, s2, 4
	s_addc_u32 s3, s3, 0
	v_add_u32_e32 v3, v1, v3
	v_lshrrev_b32_e32 v5, s7, v3
	v_mul_lo_u32 v3, v5, s8
	s_add_i32 s6, s6, -1
	s_cmp_lg_u32 s6, 0
	v_sub_u32_e32 v1, v1, v3
	s_waitcnt lgkmcnt(0)
	v_mad_u64_u32 v[2:3], s[8:9], v1, s9, v[2:3]
	v_mov_b32_e32 v1, v5
	s_cbranch_scc1 .LBB87_502
.LBB87_503:
	s_cbranch_execnz .LBB87_506
.LBB87_504:
	s_load_dwordx4 s[4:7], s[28:29], 0x4
	s_load_dword s2, s[28:29], 0xc4
	s_cmp_lt_u32 s33, 2
	s_waitcnt lgkmcnt(0)
	v_mul_hi_u32 v1, s5, v0
	v_add_u32_e32 v1, v0, v1
	v_lshrrev_b32_e32 v1, s6, v1
	v_mul_lo_u32 v2, v1, s4
	v_sub_u32_e32 v0, v0, v2
	v_mul_lo_u32 v2, v0, s2
	s_cbranch_scc1 .LBB87_506
; %bb.505:
	s_load_dwordx4 s[4:7], s[28:29], 0x10
	s_load_dword s2, s[28:29], 0xc8
	s_waitcnt lgkmcnt(0)
	v_mul_hi_u32 v0, s5, v1
	v_add_u32_e32 v0, v1, v0
	v_lshrrev_b32_e32 v0, s6, v0
	v_mul_lo_u32 v0, v0, s4
	v_sub_u32_e32 v0, v1, v0
	v_mad_u64_u32 v[2:3], s[2:3], v0, s2, v[2:3]
.LBB87_506:
	s_and_b64 vcc, exec, s[0:1]
	s_cbranch_vccnz .LBB87_512
; %bb.507:
	s_cmp_lg_u32 s33, 0
	s_mov_b32 s24, 0
	s_cbranch_scc0 .LBB87_513
; %bb.508:
	s_min_u32 s25, s80, 15
	s_add_i32 s25, s25, 1
	s_cmp_eq_u32 s80, 2
	s_cbranch_scc1 .LBB87_514
; %bb.509:
	s_and_b32 s24, s25, 28
	s_waitcnt lgkmcnt(0)
	s_add_u32 s16, s28, 0xc4
	s_addc_u32 s17, s29, 0
	s_mov_b32 s26, 0
	v_mov_b32_e32 v0, 0
	s_mov_b64 s[18:19], s[28:29]
	v_mov_b32_e32 v1, v8
.LBB87_510:                             ; =>This Inner Loop Header: Depth=1
	s_load_dwordx8 s[0:7], s[18:19], 0x4
	s_load_dwordx4 s[8:11], s[18:19], 0x24
	s_load_dwordx4 s[12:15], s[16:17], 0x0
	s_add_u32 s18, s18, 48
	s_addc_u32 s19, s19, 0
	s_waitcnt lgkmcnt(0)
	v_mul_hi_u32 v3, s1, v1
	s_add_i32 s26, s26, 4
	s_add_u32 s16, s16, 16
	s_addc_u32 s17, s17, 0
	v_add_u32_e32 v3, v1, v3
	v_lshrrev_b32_e32 v3, s2, v3
	v_mul_lo_u32 v5, v3, s0
	v_mul_hi_u32 v7, s4, v3
	s_cmp_lg_u32 s24, s26
	v_sub_u32_e32 v1, v1, v5
	v_add_u32_e32 v5, v3, v7
	v_lshrrev_b32_e32 v5, s5, v5
	v_mul_lo_u32 v7, v1, s12
	v_mul_hi_u32 v1, s7, v5
	v_mul_lo_u32 v10, v5, s3
	v_add_u32_e32 v1, v5, v1
	v_lshrrev_b32_e32 v9, s8, v1
	v_mul_hi_u32 v1, s10, v9
	v_sub_u32_e32 v3, v3, v10
	v_mul_lo_u32 v10, v9, s6
	v_mul_lo_u32 v3, v3, s13
	v_add_u32_e32 v1, v9, v1
	v_lshrrev_b32_e32 v1, s11, v1
	v_mul_lo_u32 v11, v1, s9
	v_sub_u32_e32 v5, v5, v10
	v_mul_lo_u32 v5, v5, s14
	v_add3_u32 v0, v7, v0, v3
	v_sub_u32_e32 v9, v9, v11
	v_mul_lo_u32 v9, v9, s15
	v_add3_u32 v0, v5, v0, v9
	s_cbranch_scc1 .LBB87_510
; %bb.511:
	s_and_b32 s4, s25, 3
	s_cmp_eq_u32 s4, 0
	s_cbranch_scc0 .LBB87_515
	s_branch .LBB87_517
.LBB87_512:
                                        ; implicit-def: $vgpr0
	s_branch .LBB87_518
.LBB87_513:
	v_mov_b32_e32 v0, 0
	s_branch .LBB87_517
.LBB87_514:
	v_mov_b32_e32 v0, 0
	v_mov_b32_e32 v1, v8
	s_and_b32 s4, s25, 3
	s_cmp_eq_u32 s4, 0
	s_cbranch_scc1 .LBB87_517
.LBB87_515:
	s_lshl_b32 s0, s24, 2
	s_add_u32 s0, s28, s0
	s_addc_u32 s1, s29, 0
	s_add_u32 s0, s0, 0xc4
	s_addc_u32 s1, s1, 0
	s_mul_i32 s2, s24, 12
	s_add_u32 s2, s28, s2
	s_addc_u32 s3, s29, 0
.LBB87_516:                             ; =>This Inner Loop Header: Depth=1
	s_load_dwordx2 s[6:7], s[2:3], 0x4
	s_load_dword s5, s[2:3], 0xc
	s_add_u32 s2, s2, 12
	s_addc_u32 s3, s3, 0
	s_waitcnt lgkmcnt(0)
	v_mul_hi_u32 v3, s7, v1
	s_load_dword s7, s[0:1], 0x0
	s_add_u32 s0, s0, 4
	s_addc_u32 s1, s1, 0
	v_add_u32_e32 v3, v1, v3
	v_lshrrev_b32_e32 v3, s5, v3
	v_mul_lo_u32 v5, v3, s6
	s_add_i32 s4, s4, -1
	s_cmp_lg_u32 s4, 0
	v_sub_u32_e32 v1, v1, v5
	s_waitcnt lgkmcnt(0)
	v_mad_u64_u32 v[0:1], s[6:7], v1, s7, v[0:1]
	v_mov_b32_e32 v1, v3
	s_cbranch_scc1 .LBB87_516
.LBB87_517:
	s_cbranch_execnz .LBB87_520
.LBB87_518:
	s_load_dwordx4 s[0:3], s[28:29], 0x4
	s_waitcnt lgkmcnt(0)
	s_load_dword s3, s[28:29], 0xc4
	s_cmp_lt_u32 s33, 2
	v_mul_hi_u32 v0, s1, v8
	v_add_u32_e32 v0, v8, v0
	v_lshrrev_b32_e32 v1, s2, v0
	v_mul_lo_u32 v0, v1, s0
	v_sub_u32_e32 v0, v8, v0
	s_waitcnt lgkmcnt(0)
	v_mul_lo_u32 v0, v0, s3
	s_cbranch_scc1 .LBB87_520
; %bb.519:
	s_load_dwordx4 s[0:3], s[28:29], 0x10
	s_waitcnt lgkmcnt(0)
	s_load_dword s3, s[28:29], 0xc8
	v_mul_hi_u32 v3, s1, v1
	v_add_u32_e32 v3, v1, v3
	v_lshrrev_b32_e32 v3, s2, v3
	v_mul_lo_u32 v3, v3, s0
	v_sub_u32_e32 v1, v1, v3
	s_waitcnt lgkmcnt(0)
	v_mad_u64_u32 v[0:1], s[0:1], v1, s3, v[0:1]
.LBB87_520:
	s_load_dwordx4 s[0:3], s[28:29], 0x108
	s_waitcnt lgkmcnt(0)
	v_mov_b32_e32 v1, s1
	s_and_b32 s3, s3, 0xff
	v_add_co_u32_e32 v5, vcc, s0, v6
	s_cmp_lt_i32 s3, 11
	v_addc_co_u32_e32 v6, vcc, 0, v1, vcc
	s_cbranch_scc1 .LBB87_548
; %bb.521:
	s_and_b32 s12, 0xffff, s3
	s_mov_b64 s[10:11], -1
	s_mov_b64 s[6:7], 0
	s_cmp_gt_i32 s12, 25
	s_mov_b64 s[8:9], 0
	s_mov_b64 s[4:5], 0
	s_cbranch_scc0 .LBB87_558
; %bb.522:
	s_cmp_gt_i32 s12, 28
	s_cbranch_scc0 .LBB87_537
; %bb.523:
	s_cmp_gt_i32 s12, 43
	;; [unrolled: 3-line block ×3, first 2 shown]
	s_cbranch_scc0 .LBB87_527
; %bb.525:
	s_mov_b64 s[4:5], -1
	s_mov_b64 s[10:11], 0
	s_cmp_eq_u32 s12, 46
	s_cbranch_scc0 .LBB87_527
; %bb.526:
	v_mov_b32_e32 v1, s2
	global_store_dword v[5:6], v1, off
	s_mov_b64 s[4:5], 0
	s_mov_b64 s[8:9], -1
.LBB87_527:
	s_and_b64 vcc, exec, s[10:11]
	s_cbranch_vccz .LBB87_532
; %bb.528:
	s_cmp_eq_u32 s12, 44
	s_mov_b64 s[4:5], -1
	s_cbranch_scc0 .LBB87_532
; %bb.529:
	s_lshl_b32 s4, s2, 16
	s_bfe_u32 s5, s4, 0x80017
	s_cmpk_eq_i32 s5, 0xff
	v_mov_b32_e32 v1, 0xff
	s_cbranch_scc1 .LBB87_531
; %bb.530:
	s_bfe_u32 s10, s2, 0x90007
	s_bitcmp1_b32 s2, 6
	s_cselect_b64 s[8:9], -1, 0
	s_and_b32 s4, s4, 0x3f0000
	s_or_b32 s4, s5, s4
	s_cmp_lg_u32 s4, 0
	s_cselect_b64 s[4:5], -1, 0
	s_and_b64 s[4:5], s[8:9], s[4:5]
	v_cndmask_b32_e64 v1, 0, 1, s[4:5]
	v_add_u32_e32 v1, s10, v1
.LBB87_531:
	s_mov_b64 s[4:5], 0
	s_mov_b64 s[8:9], -1
	global_store_byte v[5:6], v1, off
.LBB87_532:
	s_mov_b64 s[10:11], 0
.LBB87_533:
	s_and_b64 vcc, exec, s[10:11]
	s_cbranch_vccz .LBB87_536
; %bb.534:
	s_cmp_eq_u32 s12, 29
	s_mov_b64 s[4:5], -1
	s_cbranch_scc0 .LBB87_536
; %bb.535:
	s_lshl_b32 s4, s2, 16
	v_trunc_f32_e32 v1, s4
	v_mul_f32_e32 v3, 0x2f800000, v1
	v_floor_f32_e32 v3, v3
	v_fmac_f32_e32 v1, 0xcf800000, v3
	v_cvt_u32_f32_e32 v8, v3
	v_cvt_u32_f32_e32 v7, v1
	s_mov_b64 s[4:5], 0
	s_mov_b64 s[8:9], -1
	global_store_dwordx2 v[5:6], v[7:8], off
.LBB87_536:
	s_mov_b64 s[10:11], 0
.LBB87_537:
	s_and_b64 vcc, exec, s[10:11]
	s_cbranch_vccz .LBB87_557
; %bb.538:
	s_cmp_lt_i32 s12, 27
	s_mov_b64 s[8:9], -1
	s_cbranch_scc1 .LBB87_544
; %bb.539:
	s_cmp_gt_i32 s12, 27
	s_cbranch_scc0 .LBB87_541
; %bb.540:
	s_lshl_b32 s8, s2, 16
	v_cvt_u32_f32_e32 v1, s8
	s_mov_b64 s[8:9], 0
	global_store_dword v[5:6], v1, off
.LBB87_541:
	s_andn2_b64 vcc, exec, s[8:9]
	s_cbranch_vccnz .LBB87_543
; %bb.542:
	s_lshl_b32 s8, s2, 16
	v_cvt_u32_f32_e32 v1, s8
	global_store_short v[5:6], v1, off
.LBB87_543:
	s_mov_b64 s[8:9], 0
.LBB87_544:
	s_andn2_b64 vcc, exec, s[8:9]
	s_cbranch_vccnz .LBB87_556
; %bb.545:
	s_lshl_b32 s13, s2, 16
	s_and_b32 s8, s13, 0x7fffffff
	s_cmp_gt_u32 s8, 0x437fffff
	v_mov_b32_e32 v3, 0x80
	s_cbranch_scc1 .LBB87_555
; %bb.546:
	s_cmp_gt_u32 s8, 0x3bffffff
	s_cbranch_scc0 .LBB87_550
; %bb.547:
	s_bfe_u32 s8, s13, 0x10014
	s_add_i32 s8, s13, s8
	s_add_i32 s8, s8, 0x487ffff
	s_lshr_b32 s14, s8, 20
	s_mov_b64 s[10:11], 0
	s_mov_b64 s[8:9], -1
	s_branch .LBB87_551
.LBB87_548:
	s_mov_b64 s[8:9], 0
	s_mov_b64 s[4:5], s[20:21]
	s_cbranch_execnz .LBB87_608
.LBB87_549:
	s_andn2_b64 vcc, exec, s[8:9]
	s_cbranch_vccz .LBB87_646
	s_branch .LBB87_944
.LBB87_550:
	s_mov_b64 s[10:11], -1
	s_mov_b64 s[8:9], 0
                                        ; implicit-def: $sgpr14
.LBB87_551:
	s_andn2_b64 vcc, exec, s[10:11]
	v_mov_b32_e32 v1, s14
	s_cbranch_vccnz .LBB87_553
; %bb.552:
	v_mov_b32_e32 v1, 0x46000000
	v_add_f32_e64 v1, |s13|, v1
	v_and_b32_e32 v1, 0xff, v1
	v_cmp_ne_u32_e64 s[8:9], 0, v1
.LBB87_553:
	s_andn2_b64 vcc, exec, s[8:9]
	v_mov_b32_e32 v3, 0
	s_cbranch_vccnz .LBB87_555
; %bb.554:
	s_lshr_b32 s8, s13, 24
	s_and_b32 s8, s8, 0x80
	v_or_b32_e32 v3, s8, v1
.LBB87_555:
	global_store_byte v[5:6], v3, off
.LBB87_556:
	s_mov_b64 s[8:9], -1
.LBB87_557:
	s_mov_b64 s[10:11], 0
.LBB87_558:
	s_and_b64 vcc, exec, s[10:11]
	s_cbranch_vccz .LBB87_604
; %bb.559:
	s_cmp_gt_i32 s12, 22
	s_mov_b64 s[6:7], -1
	s_cbranch_scc0 .LBB87_597
; %bb.560:
	s_cmp_lt_i32 s12, 24
	s_cbranch_scc1 .LBB87_584
; %bb.561:
	s_cmp_gt_i32 s12, 24
	s_cbranch_scc0 .LBB87_571
; %bb.562:
	s_lshl_b32 s10, s2, 16
	s_and_b32 s6, s10, 0x7fffffff
	s_cmp_gt_u32 s6, 0x477fffff
	v_mov_b32_e32 v3, 0x80
	s_cbranch_scc1 .LBB87_570
; %bb.563:
	s_cmp_gt_u32 s6, 0x37ffffff
	s_cbranch_scc0 .LBB87_565
; %bb.564:
	s_bfe_u32 s6, s10, 0x10015
	s_add_i32 s6, s10, s6
	s_add_i32 s6, s6, 0x88fffff
	s_lshr_b32 s11, s6, 21
	s_mov_b64 s[8:9], 0
	s_mov_b64 s[6:7], -1
	s_branch .LBB87_566
.LBB87_565:
	s_mov_b64 s[8:9], -1
	s_mov_b64 s[6:7], 0
                                        ; implicit-def: $sgpr11
.LBB87_566:
	s_andn2_b64 vcc, exec, s[8:9]
	v_mov_b32_e32 v1, s11
	s_cbranch_vccnz .LBB87_568
; %bb.567:
	v_mov_b32_e32 v1, 0x42800000
	v_add_f32_e64 v1, |s10|, v1
	v_and_b32_e32 v1, 0xff, v1
	v_cmp_ne_u32_e64 s[6:7], 0, v1
.LBB87_568:
	s_andn2_b64 vcc, exec, s[6:7]
	v_mov_b32_e32 v3, 0
	s_cbranch_vccnz .LBB87_570
; %bb.569:
	s_lshr_b32 s6, s10, 24
	s_and_b32 s6, s6, 0x80
	v_or_b32_e32 v3, s6, v1
.LBB87_570:
	s_mov_b64 s[6:7], 0
	global_store_byte v[5:6], v3, off
.LBB87_571:
	s_and_b64 vcc, exec, s[6:7]
	s_cbranch_vccz .LBB87_583
; %bb.572:
	s_lshl_b32 s8, s2, 16
	s_and_b32 s9, s8, 0x7fffffff
	s_cmp_lt_u32 s9, 0x43f00000
	s_cbranch_scc0 .LBB87_575
; %bb.573:
	s_cmp_gt_u32 s9, 0x3c7fffff
	s_cbranch_scc0 .LBB87_576
; %bb.574:
	s_bfe_u32 s6, s8, 0x10014
	s_add_i32 s6, s8, s6
	s_add_i32 s6, s6, 0x407ffff
	s_lshr_b32 s7, s6, 20
	s_and_b32 s6, s6, 0xff00000
	s_cmp_lg_u32 s6, 0x7f00000
	s_cselect_b32 s10, s7, 0x7e
	s_mov_b64 s[6:7], 0
	s_branch .LBB87_577
.LBB87_575:
	s_mov_b64 s[6:7], -1
                                        ; implicit-def: $vgpr1
	s_branch .LBB87_580
.LBB87_576:
	s_mov_b64 s[6:7], -1
                                        ; implicit-def: $sgpr10
.LBB87_577:
	s_andn2_b64 vcc, exec, s[6:7]
	v_mov_b32_e32 v1, s10
	s_cbranch_vccnz .LBB87_579
; %bb.578:
	v_mov_b32_e32 v1, 0x46800000
	v_add_f32_e64 v1, |s8|, v1
.LBB87_579:
	s_mov_b64 s[6:7], 0
.LBB87_580:
	s_andn2_b64 vcc, exec, s[6:7]
	s_cbranch_vccnz .LBB87_582
; %bb.581:
	s_cmp_gt_u32 s9, 0x7f800000
	s_movk_i32 s6, 0x7f
	s_cselect_b32 s6, s6, 0x7e
	v_mov_b32_e32 v1, s6
.LBB87_582:
	s_lshr_b32 s6, s8, 24
	s_and_b32 s6, s6, 0x80
	v_or_b32_e32 v1, s6, v1
	global_store_byte v[5:6], v1, off
.LBB87_583:
	s_mov_b64 s[6:7], 0
.LBB87_584:
	s_andn2_b64 vcc, exec, s[6:7]
	s_cbranch_vccnz .LBB87_596
; %bb.585:
	s_lshl_b32 s8, s2, 16
	s_and_b32 s9, s8, 0x7fffffff
	s_cmp_lt_u32 s9, 0x47800000
	s_cbranch_scc0 .LBB87_588
; %bb.586:
	s_cmp_gt_u32 s9, 0x387fffff
	s_cbranch_scc0 .LBB87_589
; %bb.587:
	s_bfe_u32 s6, s8, 0x10015
	s_add_i32 s6, s8, s6
	s_add_i32 s6, s6, 0x80fffff
	s_lshr_b32 s10, s6, 21
	s_mov_b64 s[6:7], 0
	s_branch .LBB87_590
.LBB87_588:
	s_mov_b64 s[6:7], -1
                                        ; implicit-def: $vgpr1
	s_branch .LBB87_593
.LBB87_589:
	s_mov_b64 s[6:7], -1
                                        ; implicit-def: $sgpr10
.LBB87_590:
	s_andn2_b64 vcc, exec, s[6:7]
	v_mov_b32_e32 v1, s10
	s_cbranch_vccnz .LBB87_592
; %bb.591:
	v_mov_b32_e32 v1, 0x43000000
	v_add_f32_e64 v1, |s8|, v1
.LBB87_592:
	s_mov_b64 s[6:7], 0
.LBB87_593:
	s_andn2_b64 vcc, exec, s[6:7]
	s_cbranch_vccnz .LBB87_595
; %bb.594:
	s_cmp_gt_u32 s9, 0x7f800000
	s_movk_i32 s6, 0x7f
	s_cselect_b32 s6, s6, 0x7c
	v_mov_b32_e32 v1, s6
.LBB87_595:
	s_lshr_b32 s6, s8, 24
	s_and_b32 s6, s6, 0x80
	v_or_b32_e32 v1, s6, v1
	global_store_byte v[5:6], v1, off
.LBB87_596:
	s_mov_b64 s[6:7], 0
	s_mov_b64 s[8:9], -1
.LBB87_597:
	s_andn2_b64 vcc, exec, s[6:7]
	s_mov_b64 s[6:7], 0
	s_cbranch_vccnz .LBB87_604
; %bb.598:
	s_cmp_gt_i32 s12, 14
	s_mov_b64 s[10:11], -1
	s_cbranch_scc0 .LBB87_602
; %bb.599:
	s_cmp_eq_u32 s12, 15
	s_mov_b64 s[4:5], -1
	s_cbranch_scc0 .LBB87_601
; %bb.600:
	v_mov_b32_e32 v1, s2
	global_store_short v[5:6], v1, off
	s_mov_b64 s[4:5], 0
	s_mov_b64 s[8:9], -1
.LBB87_601:
	s_mov_b64 s[10:11], 0
.LBB87_602:
	s_and_b64 vcc, exec, s[10:11]
	s_cbranch_vccz .LBB87_604
; %bb.603:
	s_cmp_lg_u32 s12, 11
	s_mov_b64 s[6:7], -1
	s_cselect_b64 s[4:5], -1, 0
.LBB87_604:
	s_and_b64 vcc, exec, s[4:5]
	s_mov_b64 s[4:5], s[20:21]
	s_cbranch_vccnz .LBB87_676
; %bb.605:
	s_andn2_b64 vcc, exec, s[6:7]
	s_cbranch_vccnz .LBB87_607
.LBB87_606:
	s_and_b32 s6, s2, 0x7fff7fff
	s_cmp_lg_u32 s6, 0
	s_cselect_b64 s[6:7], -1, 0
	v_cndmask_b32_e64 v1, 0, 1, s[6:7]
	global_store_byte v[5:6], v1, off
	s_mov_b64 s[8:9], -1
.LBB87_607:
	s_branch .LBB87_549
.LBB87_608:
	s_and_b32 s8, 0xffff, s3
	s_cmp_lt_i32 s8, 5
	s_mov_b64 s[6:7], -1
	s_cbranch_scc1 .LBB87_629
; %bb.609:
	s_cmp_lt_i32 s8, 8
	s_cbranch_scc1 .LBB87_619
; %bb.610:
	s_cmp_lt_i32 s8, 9
	s_cbranch_scc1 .LBB87_616
; %bb.611:
	s_cmp_gt_i32 s8, 9
	s_cbranch_scc0 .LBB87_613
; %bb.612:
	s_and_b32 s6, s2, 0xffff0000
	s_lshl_b32 s7, s2, 16
	v_cvt_f64_f32_e32 v[7:8], s7
	v_cvt_f64_f32_e32 v[9:10], s6
	s_mov_b64 s[6:7], 0
	global_store_dwordx4 v[5:6], v[7:10], off
.LBB87_613:
	s_andn2_b64 vcc, exec, s[6:7]
	s_cbranch_vccnz .LBB87_615
; %bb.614:
	s_and_b32 s6, s2, 0xffff0000
	s_lshl_b32 s7, s2, 16
	v_mov_b32_e32 v7, s7
	v_mov_b32_e32 v8, s6
	global_store_dwordx2 v[5:6], v[7:8], off
.LBB87_615:
	s_mov_b64 s[6:7], 0
.LBB87_616:
	s_andn2_b64 vcc, exec, s[6:7]
	s_cbranch_vccnz .LBB87_618
; %bb.617:
	s_and_b32 s6, s2, 0xffff0000
	s_lshl_b32 s7, s2, 16
	v_cvt_f16_f32_e32 v1, s7
	v_cvt_f16_f32_sdwa v3, s6 dst_sel:WORD_1 dst_unused:UNUSED_PAD src0_sel:DWORD
	v_or_b32_e32 v1, v3, v1
	global_store_dword v[5:6], v1, off
.LBB87_618:
	s_mov_b64 s[6:7], 0
.LBB87_619:
	s_andn2_b64 vcc, exec, s[6:7]
	s_cbranch_vccnz .LBB87_628
; %bb.620:
	s_cmp_lt_i32 s8, 6
	s_mov_b64 s[6:7], -1
	s_cbranch_scc1 .LBB87_626
; %bb.621:
	s_cmp_gt_i32 s8, 6
	s_cbranch_scc0 .LBB87_623
; %bb.622:
	s_lshl_b32 s6, s2, 16
	v_cvt_f64_f32_e32 v[7:8], s6
	s_mov_b64 s[6:7], 0
	global_store_dwordx2 v[5:6], v[7:8], off
.LBB87_623:
	s_andn2_b64 vcc, exec, s[6:7]
	s_cbranch_vccnz .LBB87_625
; %bb.624:
	s_lshl_b32 s6, s2, 16
	v_mov_b32_e32 v1, s6
	global_store_dword v[5:6], v1, off
.LBB87_625:
	s_mov_b64 s[6:7], 0
.LBB87_626:
	s_andn2_b64 vcc, exec, s[6:7]
	s_cbranch_vccnz .LBB87_628
; %bb.627:
	s_lshl_b32 s6, s2, 16
	v_cvt_f16_f32_e32 v1, s6
	global_store_short v[5:6], v1, off
.LBB87_628:
	s_mov_b64 s[6:7], 0
.LBB87_629:
	s_andn2_b64 vcc, exec, s[6:7]
	s_cbranch_vccnz .LBB87_645
; %bb.630:
	s_cmp_lt_i32 s8, 2
	s_mov_b64 s[6:7], -1
	s_cbranch_scc1 .LBB87_640
; %bb.631:
	s_cmp_lt_i32 s8, 3
	s_cbranch_scc1 .LBB87_637
; %bb.632:
	s_cmp_gt_i32 s8, 3
	s_cbranch_scc0 .LBB87_634
; %bb.633:
	s_lshl_b32 s6, s2, 16
	v_trunc_f32_e32 v1, s6
	s_mov_b32 s6, 0x2f800000
	v_mul_f32_e64 v3, |v1|, s6
	v_floor_f32_e32 v3, v3
	s_mov_b32 s6, 0xcf800000
	v_fma_f32 v7, v3, s6, |v1|
	v_cvt_u32_f32_e32 v7, v7
	v_cvt_u32_f32_e32 v3, v3
	v_ashrrev_i32_e32 v1, 31, v1
	s_mov_b64 s[6:7], 0
	v_xor_b32_e32 v7, v7, v1
	v_xor_b32_e32 v3, v3, v1
	v_sub_co_u32_e32 v7, vcc, v7, v1
	v_subb_co_u32_e32 v8, vcc, v3, v1, vcc
	global_store_dwordx2 v[5:6], v[7:8], off
.LBB87_634:
	s_andn2_b64 vcc, exec, s[6:7]
	s_cbranch_vccnz .LBB87_636
; %bb.635:
	s_lshl_b32 s6, s2, 16
	v_cvt_i32_f32_e32 v1, s6
	global_store_dword v[5:6], v1, off
.LBB87_636:
	s_mov_b64 s[6:7], 0
.LBB87_637:
	s_andn2_b64 vcc, exec, s[6:7]
	s_cbranch_vccnz .LBB87_639
; %bb.638:
	s_lshl_b32 s6, s2, 16
	v_cvt_i32_f32_e32 v1, s6
	global_store_short v[5:6], v1, off
.LBB87_639:
	s_mov_b64 s[6:7], 0
.LBB87_640:
	s_andn2_b64 vcc, exec, s[6:7]
	s_cbranch_vccnz .LBB87_645
; %bb.641:
	s_cmp_gt_i32 s8, 0
	s_mov_b64 s[6:7], -1
	s_cbranch_scc0 .LBB87_643
; %bb.642:
	s_lshl_b32 s6, s2, 16
	v_cvt_i32_f32_e32 v1, s6
	s_mov_b64 s[6:7], 0
	global_store_byte v[5:6], v1, off
.LBB87_643:
	s_andn2_b64 vcc, exec, s[6:7]
	s_cbranch_vccnz .LBB87_645
; %bb.644:
	s_lshl_b32 s6, s2, 16
	v_trunc_f32_e32 v1, s6
	s_mov_b32 s6, 0x2f800000
	v_mul_f32_e64 v3, |v1|, s6
	v_floor_f32_e32 v3, v3
	s_mov_b32 s6, 0xcf800000
	v_fma_f32 v3, v3, s6, |v1|
	v_cvt_u32_f32_e32 v3, v3
	v_ashrrev_i32_e32 v1, 31, v1
	v_xor_b32_e32 v3, v3, v1
	v_sub_u32_e32 v1, v3, v1
	global_store_byte v[5:6], v1, off
.LBB87_645:
.LBB87_646:
	v_mov_b32_e32 v1, s1
	s_and_b32 s14, 0xffff, s3
	v_add_co_u32_e32 v3, vcc, s0, v4
	s_cmp_lt_i32 s14, 11
	v_addc_co_u32_e32 v4, vcc, 0, v1, vcc
	s_cbranch_scc1 .LBB87_674
; %bb.647:
	s_mov_b64 s[12:13], -1
	s_mov_b64 s[8:9], 0
	s_cmp_gt_i32 s14, 25
	s_mov_b64 s[10:11], 0
	s_mov_b64 s[6:7], 0
	s_cbranch_scc0 .LBB87_685
; %bb.648:
	s_cmp_gt_i32 s14, 28
	s_cbranch_scc0 .LBB87_663
; %bb.649:
	s_cmp_gt_i32 s14, 43
	;; [unrolled: 3-line block ×3, first 2 shown]
	s_cbranch_scc0 .LBB87_653
; %bb.651:
	s_mov_b64 s[6:7], -1
	s_mov_b64 s[12:13], 0
	s_cmp_eq_u32 s14, 46
	s_cbranch_scc0 .LBB87_653
; %bb.652:
	v_mov_b32_e32 v1, s2
	global_store_dword v[3:4], v1, off
	s_mov_b64 s[6:7], 0
	s_mov_b64 s[10:11], -1
.LBB87_653:
	s_and_b64 vcc, exec, s[12:13]
	s_cbranch_vccz .LBB87_658
; %bb.654:
	s_cmp_eq_u32 s14, 44
	s_mov_b64 s[6:7], -1
	s_cbranch_scc0 .LBB87_658
; %bb.655:
	s_lshl_b32 s6, s2, 16
	s_bfe_u32 s7, s6, 0x80017
	s_cmpk_eq_i32 s7, 0xff
	v_mov_b32_e32 v1, 0xff
	s_cbranch_scc1 .LBB87_657
; %bb.656:
	s_bfe_u32 s12, s2, 0x90007
	s_bitcmp1_b32 s2, 6
	s_cselect_b64 s[10:11], -1, 0
	s_and_b32 s6, s6, 0x3f0000
	s_or_b32 s6, s7, s6
	s_cmp_lg_u32 s6, 0
	s_cselect_b64 s[6:7], -1, 0
	s_and_b64 s[6:7], s[10:11], s[6:7]
	v_cndmask_b32_e64 v1, 0, 1, s[6:7]
	v_add_u32_e32 v1, s12, v1
.LBB87_657:
	s_mov_b64 s[6:7], 0
	s_mov_b64 s[10:11], -1
	global_store_byte v[3:4], v1, off
.LBB87_658:
	s_mov_b64 s[12:13], 0
.LBB87_659:
	s_and_b64 vcc, exec, s[12:13]
	s_cbranch_vccz .LBB87_662
; %bb.660:
	s_cmp_eq_u32 s14, 29
	s_mov_b64 s[6:7], -1
	s_cbranch_scc0 .LBB87_662
; %bb.661:
	s_lshl_b32 s6, s2, 16
	v_trunc_f32_e32 v1, s6
	v_mul_f32_e32 v5, 0x2f800000, v1
	v_floor_f32_e32 v5, v5
	v_fmac_f32_e32 v1, 0xcf800000, v5
	v_cvt_u32_f32_e32 v6, v5
	v_cvt_u32_f32_e32 v5, v1
	s_mov_b64 s[6:7], 0
	s_mov_b64 s[10:11], -1
	global_store_dwordx2 v[3:4], v[5:6], off
.LBB87_662:
	s_mov_b64 s[12:13], 0
.LBB87_663:
	s_and_b64 vcc, exec, s[12:13]
	s_cbranch_vccz .LBB87_684
; %bb.664:
	s_cmp_lt_i32 s14, 27
	s_mov_b64 s[10:11], -1
	s_cbranch_scc1 .LBB87_670
; %bb.665:
	s_cmp_gt_i32 s14, 27
	s_cbranch_scc0 .LBB87_667
; %bb.666:
	s_lshl_b32 s10, s2, 16
	v_cvt_u32_f32_e32 v1, s10
	s_mov_b64 s[10:11], 0
	global_store_dword v[3:4], v1, off
.LBB87_667:
	s_andn2_b64 vcc, exec, s[10:11]
	s_cbranch_vccnz .LBB87_669
; %bb.668:
	s_lshl_b32 s10, s2, 16
	v_cvt_u32_f32_e32 v1, s10
	global_store_short v[3:4], v1, off
.LBB87_669:
	s_mov_b64 s[10:11], 0
.LBB87_670:
	s_andn2_b64 vcc, exec, s[10:11]
	s_cbranch_vccnz .LBB87_683
; %bb.671:
	s_lshl_b32 s15, s2, 16
	s_and_b32 s10, s15, 0x7fffffff
	s_cmp_gt_u32 s10, 0x437fffff
	v_mov_b32_e32 v5, 0x80
	s_cbranch_scc1 .LBB87_682
; %bb.672:
	s_cmp_gt_u32 s10, 0x3bffffff
	s_cbranch_scc0 .LBB87_677
; %bb.673:
	s_bfe_u32 s10, s15, 0x10014
	s_add_i32 s10, s15, s10
	s_add_i32 s10, s10, 0x487ffff
	s_lshr_b32 s16, s10, 20
	s_mov_b64 s[12:13], 0
	s_mov_b64 s[10:11], -1
	s_branch .LBB87_678
.LBB87_674:
	s_mov_b64 s[10:11], 0
	s_cbranch_execnz .LBB87_735
.LBB87_675:
	s_andn2_b64 vcc, exec, s[10:11]
	s_cbranch_vccz .LBB87_773
	s_branch .LBB87_944
.LBB87_676:
	s_or_b64 s[4:5], s[20:21], exec
	s_trap 2
	s_cbranch_execz .LBB87_606
	s_branch .LBB87_607
.LBB87_677:
	s_mov_b64 s[12:13], -1
	s_mov_b64 s[10:11], 0
                                        ; implicit-def: $sgpr16
.LBB87_678:
	s_andn2_b64 vcc, exec, s[12:13]
	v_mov_b32_e32 v1, s16
	s_cbranch_vccnz .LBB87_680
; %bb.679:
	v_mov_b32_e32 v1, 0x46000000
	v_add_f32_e64 v1, |s15|, v1
	v_and_b32_e32 v1, 0xff, v1
	v_cmp_ne_u32_e64 s[10:11], 0, v1
.LBB87_680:
	s_andn2_b64 vcc, exec, s[10:11]
	v_mov_b32_e32 v5, 0
	s_cbranch_vccnz .LBB87_682
; %bb.681:
	s_lshr_b32 s10, s15, 24
	s_and_b32 s10, s10, 0x80
	v_or_b32_e32 v5, s10, v1
.LBB87_682:
	global_store_byte v[3:4], v5, off
.LBB87_683:
	s_mov_b64 s[10:11], -1
.LBB87_684:
	s_mov_b64 s[12:13], 0
.LBB87_685:
	s_and_b64 vcc, exec, s[12:13]
	s_cbranch_vccz .LBB87_731
; %bb.686:
	s_cmp_gt_i32 s14, 22
	s_mov_b64 s[8:9], -1
	s_cbranch_scc0 .LBB87_724
; %bb.687:
	s_cmp_lt_i32 s14, 24
	s_cbranch_scc1 .LBB87_711
; %bb.688:
	s_cmp_gt_i32 s14, 24
	s_cbranch_scc0 .LBB87_698
; %bb.689:
	s_lshl_b32 s12, s2, 16
	s_and_b32 s8, s12, 0x7fffffff
	s_cmp_gt_u32 s8, 0x477fffff
	v_mov_b32_e32 v5, 0x80
	s_cbranch_scc1 .LBB87_697
; %bb.690:
	s_cmp_gt_u32 s8, 0x37ffffff
	s_cbranch_scc0 .LBB87_692
; %bb.691:
	s_bfe_u32 s8, s12, 0x10015
	s_add_i32 s8, s12, s8
	s_add_i32 s8, s8, 0x88fffff
	s_lshr_b32 s13, s8, 21
	s_mov_b64 s[10:11], 0
	s_mov_b64 s[8:9], -1
	s_branch .LBB87_693
.LBB87_692:
	s_mov_b64 s[10:11], -1
	s_mov_b64 s[8:9], 0
                                        ; implicit-def: $sgpr13
.LBB87_693:
	s_andn2_b64 vcc, exec, s[10:11]
	v_mov_b32_e32 v1, s13
	s_cbranch_vccnz .LBB87_695
; %bb.694:
	v_mov_b32_e32 v1, 0x42800000
	v_add_f32_e64 v1, |s12|, v1
	v_and_b32_e32 v1, 0xff, v1
	v_cmp_ne_u32_e64 s[8:9], 0, v1
.LBB87_695:
	s_andn2_b64 vcc, exec, s[8:9]
	v_mov_b32_e32 v5, 0
	s_cbranch_vccnz .LBB87_697
; %bb.696:
	s_lshr_b32 s8, s12, 24
	s_and_b32 s8, s8, 0x80
	v_or_b32_e32 v5, s8, v1
.LBB87_697:
	s_mov_b64 s[8:9], 0
	global_store_byte v[3:4], v5, off
.LBB87_698:
	s_and_b64 vcc, exec, s[8:9]
	s_cbranch_vccz .LBB87_710
; %bb.699:
	s_lshl_b32 s10, s2, 16
	s_and_b32 s11, s10, 0x7fffffff
	s_cmp_lt_u32 s11, 0x43f00000
	s_cbranch_scc0 .LBB87_702
; %bb.700:
	s_cmp_gt_u32 s11, 0x3c7fffff
	s_cbranch_scc0 .LBB87_703
; %bb.701:
	s_bfe_u32 s8, s10, 0x10014
	s_add_i32 s8, s10, s8
	s_add_i32 s8, s8, 0x407ffff
	s_lshr_b32 s9, s8, 20
	s_and_b32 s8, s8, 0xff00000
	s_cmp_lg_u32 s8, 0x7f00000
	s_cselect_b32 s12, s9, 0x7e
	s_mov_b64 s[8:9], 0
	s_branch .LBB87_704
.LBB87_702:
	s_mov_b64 s[8:9], -1
                                        ; implicit-def: $vgpr1
	s_branch .LBB87_707
.LBB87_703:
	s_mov_b64 s[8:9], -1
                                        ; implicit-def: $sgpr12
.LBB87_704:
	s_andn2_b64 vcc, exec, s[8:9]
	v_mov_b32_e32 v1, s12
	s_cbranch_vccnz .LBB87_706
; %bb.705:
	v_mov_b32_e32 v1, 0x46800000
	v_add_f32_e64 v1, |s10|, v1
.LBB87_706:
	s_mov_b64 s[8:9], 0
.LBB87_707:
	s_andn2_b64 vcc, exec, s[8:9]
	s_cbranch_vccnz .LBB87_709
; %bb.708:
	s_cmp_gt_u32 s11, 0x7f800000
	s_movk_i32 s8, 0x7f
	s_cselect_b32 s8, s8, 0x7e
	v_mov_b32_e32 v1, s8
.LBB87_709:
	s_lshr_b32 s8, s10, 24
	s_and_b32 s8, s8, 0x80
	v_or_b32_e32 v1, s8, v1
	global_store_byte v[3:4], v1, off
.LBB87_710:
	s_mov_b64 s[8:9], 0
.LBB87_711:
	s_andn2_b64 vcc, exec, s[8:9]
	s_cbranch_vccnz .LBB87_723
; %bb.712:
	s_lshl_b32 s10, s2, 16
	s_and_b32 s11, s10, 0x7fffffff
	s_cmp_lt_u32 s11, 0x47800000
	s_cbranch_scc0 .LBB87_715
; %bb.713:
	s_cmp_gt_u32 s11, 0x387fffff
	s_cbranch_scc0 .LBB87_716
; %bb.714:
	s_bfe_u32 s8, s10, 0x10015
	s_add_i32 s8, s10, s8
	s_add_i32 s8, s8, 0x80fffff
	s_lshr_b32 s12, s8, 21
	s_mov_b64 s[8:9], 0
	s_branch .LBB87_717
.LBB87_715:
	s_mov_b64 s[8:9], -1
                                        ; implicit-def: $vgpr1
	s_branch .LBB87_720
.LBB87_716:
	s_mov_b64 s[8:9], -1
                                        ; implicit-def: $sgpr12
.LBB87_717:
	s_andn2_b64 vcc, exec, s[8:9]
	v_mov_b32_e32 v1, s12
	s_cbranch_vccnz .LBB87_719
; %bb.718:
	v_mov_b32_e32 v1, 0x43000000
	v_add_f32_e64 v1, |s10|, v1
.LBB87_719:
	s_mov_b64 s[8:9], 0
.LBB87_720:
	s_andn2_b64 vcc, exec, s[8:9]
	s_cbranch_vccnz .LBB87_722
; %bb.721:
	s_cmp_gt_u32 s11, 0x7f800000
	s_movk_i32 s8, 0x7f
	s_cselect_b32 s8, s8, 0x7c
	v_mov_b32_e32 v1, s8
.LBB87_722:
	s_lshr_b32 s8, s10, 24
	s_and_b32 s8, s8, 0x80
	v_or_b32_e32 v1, s8, v1
	global_store_byte v[3:4], v1, off
.LBB87_723:
	s_mov_b64 s[8:9], 0
	s_mov_b64 s[10:11], -1
.LBB87_724:
	s_andn2_b64 vcc, exec, s[8:9]
	s_mov_b64 s[8:9], 0
	s_cbranch_vccnz .LBB87_731
; %bb.725:
	s_cmp_gt_i32 s14, 14
	s_mov_b64 s[12:13], -1
	s_cbranch_scc0 .LBB87_729
; %bb.726:
	s_cmp_eq_u32 s14, 15
	s_mov_b64 s[6:7], -1
	s_cbranch_scc0 .LBB87_728
; %bb.727:
	v_mov_b32_e32 v1, s2
	global_store_short v[3:4], v1, off
	s_mov_b64 s[6:7], 0
	s_mov_b64 s[10:11], -1
.LBB87_728:
	s_mov_b64 s[12:13], 0
.LBB87_729:
	s_and_b64 vcc, exec, s[12:13]
	s_cbranch_vccz .LBB87_731
; %bb.730:
	s_cmp_lg_u32 s14, 11
	s_mov_b64 s[8:9], -1
	s_cselect_b64 s[6:7], -1, 0
.LBB87_731:
	s_and_b64 vcc, exec, s[6:7]
	s_cbranch_vccnz .LBB87_833
; %bb.732:
	s_andn2_b64 vcc, exec, s[8:9]
	s_cbranch_vccnz .LBB87_734
.LBB87_733:
	s_and_b32 s6, s2, 0x7fff7fff
	s_cmp_lg_u32 s6, 0
	s_cselect_b64 s[6:7], -1, 0
	v_cndmask_b32_e64 v1, 0, 1, s[6:7]
	s_mov_b64 s[10:11], -1
	global_store_byte v[3:4], v1, off
.LBB87_734:
	s_branch .LBB87_675
.LBB87_735:
	s_cmp_lt_i32 s14, 5
	s_mov_b64 s[6:7], -1
	s_cbranch_scc1 .LBB87_756
; %bb.736:
	s_cmp_lt_i32 s14, 8
	s_cbranch_scc1 .LBB87_746
; %bb.737:
	s_cmp_lt_i32 s14, 9
	s_cbranch_scc1 .LBB87_743
; %bb.738:
	s_cmp_gt_i32 s14, 9
	s_cbranch_scc0 .LBB87_740
; %bb.739:
	s_and_b32 s6, s2, 0xffff0000
	s_lshl_b32 s7, s2, 16
	v_cvt_f64_f32_e32 v[5:6], s7
	v_cvt_f64_f32_e32 v[7:8], s6
	s_mov_b64 s[6:7], 0
	global_store_dwordx4 v[3:4], v[5:8], off
.LBB87_740:
	s_andn2_b64 vcc, exec, s[6:7]
	s_cbranch_vccnz .LBB87_742
; %bb.741:
	s_and_b32 s6, s2, 0xffff0000
	s_lshl_b32 s7, s2, 16
	v_mov_b32_e32 v5, s7
	v_mov_b32_e32 v6, s6
	global_store_dwordx2 v[3:4], v[5:6], off
.LBB87_742:
	s_mov_b64 s[6:7], 0
.LBB87_743:
	s_andn2_b64 vcc, exec, s[6:7]
	s_cbranch_vccnz .LBB87_745
; %bb.744:
	s_and_b32 s6, s2, 0xffff0000
	s_lshl_b32 s7, s2, 16
	v_cvt_f16_f32_e32 v1, s7
	v_cvt_f16_f32_sdwa v5, s6 dst_sel:WORD_1 dst_unused:UNUSED_PAD src0_sel:DWORD
	v_or_b32_e32 v1, v5, v1
	global_store_dword v[3:4], v1, off
.LBB87_745:
	s_mov_b64 s[6:7], 0
.LBB87_746:
	s_andn2_b64 vcc, exec, s[6:7]
	s_cbranch_vccnz .LBB87_755
; %bb.747:
	s_cmp_lt_i32 s14, 6
	s_mov_b64 s[6:7], -1
	s_cbranch_scc1 .LBB87_753
; %bb.748:
	s_cmp_gt_i32 s14, 6
	s_cbranch_scc0 .LBB87_750
; %bb.749:
	s_lshl_b32 s6, s2, 16
	v_cvt_f64_f32_e32 v[5:6], s6
	s_mov_b64 s[6:7], 0
	global_store_dwordx2 v[3:4], v[5:6], off
.LBB87_750:
	s_andn2_b64 vcc, exec, s[6:7]
	s_cbranch_vccnz .LBB87_752
; %bb.751:
	s_lshl_b32 s6, s2, 16
	v_mov_b32_e32 v1, s6
	global_store_dword v[3:4], v1, off
.LBB87_752:
	s_mov_b64 s[6:7], 0
.LBB87_753:
	s_andn2_b64 vcc, exec, s[6:7]
	s_cbranch_vccnz .LBB87_755
; %bb.754:
	s_lshl_b32 s6, s2, 16
	v_cvt_f16_f32_e32 v1, s6
	global_store_short v[3:4], v1, off
.LBB87_755:
	s_mov_b64 s[6:7], 0
.LBB87_756:
	s_andn2_b64 vcc, exec, s[6:7]
	s_cbranch_vccnz .LBB87_772
; %bb.757:
	s_cmp_lt_i32 s14, 2
	s_mov_b64 s[6:7], -1
	s_cbranch_scc1 .LBB87_767
; %bb.758:
	s_cmp_lt_i32 s14, 3
	s_cbranch_scc1 .LBB87_764
; %bb.759:
	s_cmp_gt_i32 s14, 3
	s_cbranch_scc0 .LBB87_761
; %bb.760:
	s_lshl_b32 s6, s2, 16
	v_trunc_f32_e32 v1, s6
	s_mov_b32 s6, 0x2f800000
	v_mul_f32_e64 v5, |v1|, s6
	v_floor_f32_e32 v5, v5
	s_mov_b32 s6, 0xcf800000
	v_fma_f32 v6, v5, s6, |v1|
	v_cvt_u32_f32_e32 v6, v6
	v_cvt_u32_f32_e32 v5, v5
	v_ashrrev_i32_e32 v1, 31, v1
	s_mov_b64 s[6:7], 0
	v_xor_b32_e32 v6, v6, v1
	v_xor_b32_e32 v7, v5, v1
	v_sub_co_u32_e32 v5, vcc, v6, v1
	v_subb_co_u32_e32 v6, vcc, v7, v1, vcc
	global_store_dwordx2 v[3:4], v[5:6], off
.LBB87_761:
	s_andn2_b64 vcc, exec, s[6:7]
	s_cbranch_vccnz .LBB87_763
; %bb.762:
	s_lshl_b32 s6, s2, 16
	v_cvt_i32_f32_e32 v1, s6
	global_store_dword v[3:4], v1, off
.LBB87_763:
	s_mov_b64 s[6:7], 0
.LBB87_764:
	s_andn2_b64 vcc, exec, s[6:7]
	s_cbranch_vccnz .LBB87_766
; %bb.765:
	s_lshl_b32 s6, s2, 16
	v_cvt_i32_f32_e32 v1, s6
	global_store_short v[3:4], v1, off
.LBB87_766:
	s_mov_b64 s[6:7], 0
.LBB87_767:
	s_andn2_b64 vcc, exec, s[6:7]
	s_cbranch_vccnz .LBB87_772
; %bb.768:
	s_cmp_gt_i32 s14, 0
	s_mov_b64 s[6:7], -1
	s_cbranch_scc0 .LBB87_770
; %bb.769:
	s_lshl_b32 s6, s2, 16
	v_cvt_i32_f32_e32 v1, s6
	s_mov_b64 s[6:7], 0
	global_store_byte v[3:4], v1, off
.LBB87_770:
	s_andn2_b64 vcc, exec, s[6:7]
	s_cbranch_vccnz .LBB87_772
; %bb.771:
	s_lshl_b32 s6, s2, 16
	v_trunc_f32_e32 v1, s6
	s_mov_b32 s6, 0x2f800000
	v_mul_f32_e64 v5, |v1|, s6
	v_floor_f32_e32 v5, v5
	s_mov_b32 s6, 0xcf800000
	v_fma_f32 v5, v5, s6, |v1|
	v_cvt_u32_f32_e32 v5, v5
	v_ashrrev_i32_e32 v1, 31, v1
	v_xor_b32_e32 v5, v5, v1
	v_sub_u32_e32 v1, v5, v1
	global_store_byte v[3:4], v1, off
.LBB87_772:
.LBB87_773:
	v_mov_b32_e32 v3, s1
	v_add_co_u32_e32 v1, vcc, s0, v2
	s_cmp_lt_i32 s14, 11
	v_addc_co_u32_e32 v2, vcc, 0, v3, vcc
	s_cbranch_scc1 .LBB87_801
; %bb.774:
	s_mov_b64 s[12:13], -1
	s_mov_b64 s[8:9], 0
	s_cmp_gt_i32 s14, 25
	s_mov_b64 s[10:11], 0
	s_mov_b64 s[6:7], 0
	s_cbranch_scc0 .LBB87_842
; %bb.775:
	s_cmp_gt_i32 s14, 28
	s_cbranch_scc0 .LBB87_790
; %bb.776:
	s_cmp_gt_i32 s14, 43
	;; [unrolled: 3-line block ×3, first 2 shown]
	s_cbranch_scc0 .LBB87_780
; %bb.778:
	s_mov_b64 s[6:7], -1
	s_mov_b64 s[12:13], 0
	s_cmp_eq_u32 s14, 46
	s_cbranch_scc0 .LBB87_780
; %bb.779:
	v_mov_b32_e32 v3, s2
	global_store_dword v[1:2], v3, off
	s_mov_b64 s[6:7], 0
	s_mov_b64 s[10:11], -1
.LBB87_780:
	s_and_b64 vcc, exec, s[12:13]
	s_cbranch_vccz .LBB87_785
; %bb.781:
	s_cmp_eq_u32 s14, 44
	s_mov_b64 s[6:7], -1
	s_cbranch_scc0 .LBB87_785
; %bb.782:
	s_lshl_b32 s6, s2, 16
	s_bfe_u32 s7, s6, 0x80017
	s_cmpk_eq_i32 s7, 0xff
	v_mov_b32_e32 v3, 0xff
	s_cbranch_scc1 .LBB87_784
; %bb.783:
	s_bfe_u32 s12, s2, 0x90007
	s_bitcmp1_b32 s2, 6
	s_cselect_b64 s[10:11], -1, 0
	s_and_b32 s6, s6, 0x3f0000
	s_or_b32 s6, s7, s6
	s_cmp_lg_u32 s6, 0
	s_cselect_b64 s[6:7], -1, 0
	s_and_b64 s[6:7], s[10:11], s[6:7]
	v_cndmask_b32_e64 v3, 0, 1, s[6:7]
	v_add_u32_e32 v3, s12, v3
.LBB87_784:
	s_mov_b64 s[6:7], 0
	s_mov_b64 s[10:11], -1
	global_store_byte v[1:2], v3, off
.LBB87_785:
	s_mov_b64 s[12:13], 0
.LBB87_786:
	s_and_b64 vcc, exec, s[12:13]
	s_cbranch_vccz .LBB87_789
; %bb.787:
	s_cmp_eq_u32 s14, 29
	s_mov_b64 s[6:7], -1
	s_cbranch_scc0 .LBB87_789
; %bb.788:
	s_lshl_b32 s6, s2, 16
	v_trunc_f32_e32 v3, s6
	v_mul_f32_e32 v4, 0x2f800000, v3
	v_floor_f32_e32 v4, v4
	v_fmac_f32_e32 v3, 0xcf800000, v4
	v_cvt_u32_f32_e32 v4, v4
	v_cvt_u32_f32_e32 v3, v3
	s_mov_b64 s[6:7], 0
	s_mov_b64 s[10:11], -1
	global_store_dwordx2 v[1:2], v[3:4], off
.LBB87_789:
	s_mov_b64 s[12:13], 0
.LBB87_790:
	s_and_b64 vcc, exec, s[12:13]
	s_cbranch_vccz .LBB87_841
; %bb.791:
	s_cmp_lt_i32 s14, 27
	s_mov_b64 s[10:11], -1
	s_cbranch_scc1 .LBB87_797
; %bb.792:
	s_cmp_gt_i32 s14, 27
	s_cbranch_scc0 .LBB87_794
; %bb.793:
	s_lshl_b32 s10, s2, 16
	v_cvt_u32_f32_e32 v3, s10
	s_mov_b64 s[10:11], 0
	global_store_dword v[1:2], v3, off
.LBB87_794:
	s_andn2_b64 vcc, exec, s[10:11]
	s_cbranch_vccnz .LBB87_796
; %bb.795:
	s_lshl_b32 s10, s2, 16
	v_cvt_u32_f32_e32 v3, s10
	global_store_short v[1:2], v3, off
.LBB87_796:
	s_mov_b64 s[10:11], 0
.LBB87_797:
	s_andn2_b64 vcc, exec, s[10:11]
	s_cbranch_vccnz .LBB87_840
; %bb.798:
	s_lshl_b32 s15, s2, 16
	s_and_b32 s10, s15, 0x7fffffff
	s_cmp_gt_u32 s10, 0x437fffff
	v_mov_b32_e32 v4, 0x80
	s_cbranch_scc1 .LBB87_839
; %bb.799:
	s_cmp_gt_u32 s10, 0x3bffffff
	s_cbranch_scc0 .LBB87_834
; %bb.800:
	s_bfe_u32 s10, s15, 0x10014
	s_add_i32 s10, s15, s10
	s_add_i32 s10, s10, 0x487ffff
	s_lshr_b32 s16, s10, 20
	s_mov_b64 s[12:13], 0
	s_mov_b64 s[10:11], -1
	s_branch .LBB87_835
.LBB87_801:
	s_mov_b64 s[10:11], 0
	s_cbranch_execnz .LBB87_906
.LBB87_802:
	s_andn2_b64 vcc, exec, s[10:11]
	s_cbranch_vccnz .LBB87_944
.LBB87_803:
	v_mov_b32_e32 v1, s1
	v_add_co_u32_e32 v0, vcc, s0, v0
	s_cmp_lt_i32 s14, 11
	v_addc_co_u32_e32 v1, vcc, 0, v1, vcc
	s_cbranch_scc1 .LBB87_832
; %bb.804:
	s_mov_b64 s[8:9], -1
	s_mov_b64 s[6:7], 0
	s_cmp_gt_i32 s14, 25
	s_mov_b64 s[0:1], 0
	s_cbranch_scc0 .LBB87_856
; %bb.805:
	s_cmp_gt_i32 s14, 28
	s_cbranch_scc0 .LBB87_821
; %bb.806:
	s_cmp_gt_i32 s14, 43
	s_cbranch_scc0 .LBB87_817
; %bb.807:
	s_cmp_gt_i32 s14, 45
	s_cbranch_scc0 .LBB87_811
; %bb.808:
	s_cmp_eq_u32 s14, 46
	s_mov_b64 s[0:1], -1
	s_cbranch_scc0 .LBB87_810
; %bb.809:
	v_mov_b32_e32 v2, s2
	global_store_dword v[0:1], v2, off
	s_mov_b64 s[0:1], 0
.LBB87_810:
	s_mov_b64 s[8:9], 0
.LBB87_811:
	s_and_b64 vcc, exec, s[8:9]
	s_cbranch_vccz .LBB87_816
; %bb.812:
	s_cmp_eq_u32 s14, 44
	s_mov_b64 s[0:1], -1
	s_cbranch_scc0 .LBB87_816
; %bb.813:
	s_lshl_b32 s0, s2, 16
	s_bfe_u32 s1, s0, 0x80017
	s_cmpk_eq_i32 s1, 0xff
	v_mov_b32_e32 v2, 0xff
	s_cbranch_scc1 .LBB87_815
; %bb.814:
	s_bfe_u32 s10, s2, 0x90007
	s_bitcmp1_b32 s2, 6
	s_cselect_b64 s[8:9], -1, 0
	s_and_b32 s0, s0, 0x3f0000
	s_or_b32 s0, s1, s0
	s_cmp_lg_u32 s0, 0
	s_cselect_b64 s[0:1], -1, 0
	s_and_b64 s[0:1], s[8:9], s[0:1]
	v_cndmask_b32_e64 v2, 0, 1, s[0:1]
	v_add_u32_e32 v2, s10, v2
.LBB87_815:
	s_mov_b64 s[0:1], 0
	global_store_byte v[0:1], v2, off
.LBB87_816:
	s_mov_b64 s[8:9], 0
.LBB87_817:
	s_and_b64 vcc, exec, s[8:9]
	s_cbranch_vccz .LBB87_820
; %bb.818:
	s_cmp_eq_u32 s14, 29
	s_mov_b64 s[0:1], -1
	s_cbranch_scc0 .LBB87_820
; %bb.819:
	s_lshl_b32 s0, s2, 16
	v_trunc_f32_e32 v2, s0
	v_mul_f32_e32 v3, 0x2f800000, v2
	v_floor_f32_e32 v3, v3
	v_fmac_f32_e32 v2, 0xcf800000, v3
	v_cvt_u32_f32_e32 v3, v3
	v_cvt_u32_f32_e32 v2, v2
	s_mov_b64 s[0:1], 0
	global_store_dwordx2 v[0:1], v[2:3], off
.LBB87_820:
	s_mov_b64 s[8:9], 0
.LBB87_821:
	s_and_b64 vcc, exec, s[8:9]
	s_cbranch_vccz .LBB87_855
; %bb.822:
	s_cmp_lt_i32 s14, 27
	s_mov_b64 s[8:9], -1
	s_cbranch_scc1 .LBB87_828
; %bb.823:
	s_cmp_gt_i32 s14, 27
	s_cbranch_scc0 .LBB87_825
; %bb.824:
	s_lshl_b32 s8, s2, 16
	v_cvt_u32_f32_e32 v2, s8
	s_mov_b64 s[8:9], 0
	global_store_dword v[0:1], v2, off
.LBB87_825:
	s_andn2_b64 vcc, exec, s[8:9]
	s_cbranch_vccnz .LBB87_827
; %bb.826:
	s_lshl_b32 s8, s2, 16
	v_cvt_u32_f32_e32 v2, s8
	global_store_short v[0:1], v2, off
.LBB87_827:
	s_mov_b64 s[8:9], 0
.LBB87_828:
	s_andn2_b64 vcc, exec, s[8:9]
	s_cbranch_vccnz .LBB87_855
; %bb.829:
	s_lshl_b32 s12, s2, 16
	s_and_b32 s8, s12, 0x7fffffff
	s_cmp_gt_u32 s8, 0x437fffff
	v_mov_b32_e32 v3, 0x80
	s_cbranch_scc1 .LBB87_854
; %bb.830:
	s_cmp_gt_u32 s8, 0x3bffffff
	s_cbranch_scc0 .LBB87_849
; %bb.831:
	s_bfe_u32 s8, s12, 0x10014
	s_add_i32 s8, s12, s8
	s_add_i32 s8, s8, 0x487ffff
	s_lshr_b32 s13, s8, 20
	s_mov_b64 s[10:11], 0
	s_mov_b64 s[8:9], -1
	s_branch .LBB87_850
.LBB87_832:
	s_mov_b64 s[6:7], 0
	s_mov_b64 s[0:1], -1
	s_branch .LBB87_945
.LBB87_833:
	s_trap 2
	s_or_b64 s[4:5], s[4:5], exec
	s_cbranch_execz .LBB87_733
	s_branch .LBB87_734
.LBB87_834:
	s_mov_b64 s[12:13], -1
	s_mov_b64 s[10:11], 0
                                        ; implicit-def: $sgpr16
.LBB87_835:
	s_andn2_b64 vcc, exec, s[12:13]
	v_mov_b32_e32 v3, s16
	s_cbranch_vccnz .LBB87_837
; %bb.836:
	v_mov_b32_e32 v3, 0x46000000
	v_add_f32_e64 v3, |s15|, v3
	v_and_b32_e32 v3, 0xff, v3
	v_cmp_ne_u32_e64 s[10:11], 0, v3
.LBB87_837:
	s_andn2_b64 vcc, exec, s[10:11]
	v_mov_b32_e32 v4, 0
	s_cbranch_vccnz .LBB87_839
; %bb.838:
	s_lshr_b32 s10, s15, 24
	s_and_b32 s10, s10, 0x80
	v_or_b32_e32 v4, s10, v3
.LBB87_839:
	global_store_byte v[1:2], v4, off
.LBB87_840:
	s_mov_b64 s[10:11], -1
.LBB87_841:
	s_mov_b64 s[12:13], 0
.LBB87_842:
	s_and_b64 vcc, exec, s[12:13]
	s_cbranch_vccz .LBB87_902
; %bb.843:
	s_cmp_gt_i32 s14, 22
	s_mov_b64 s[8:9], -1
	s_cbranch_scc0 .LBB87_895
; %bb.844:
	s_cmp_lt_i32 s14, 24
	s_cbranch_scc1 .LBB87_882
; %bb.845:
	s_cmp_gt_i32 s14, 24
	s_cbranch_scc0 .LBB87_869
; %bb.846:
	s_lshl_b32 s12, s2, 16
	s_and_b32 s8, s12, 0x7fffffff
	s_cmp_gt_u32 s8, 0x477fffff
	v_mov_b32_e32 v4, 0x80
	s_cbranch_scc1 .LBB87_868
; %bb.847:
	s_cmp_gt_u32 s8, 0x37ffffff
	s_cbranch_scc0 .LBB87_863
; %bb.848:
	s_bfe_u32 s8, s12, 0x10015
	s_add_i32 s8, s12, s8
	s_add_i32 s8, s8, 0x88fffff
	s_lshr_b32 s13, s8, 21
	s_mov_b64 s[10:11], 0
	s_mov_b64 s[8:9], -1
	s_branch .LBB87_864
.LBB87_849:
	s_mov_b64 s[10:11], -1
	s_mov_b64 s[8:9], 0
                                        ; implicit-def: $sgpr13
.LBB87_850:
	s_andn2_b64 vcc, exec, s[10:11]
	v_mov_b32_e32 v2, s13
	s_cbranch_vccnz .LBB87_852
; %bb.851:
	v_mov_b32_e32 v2, 0x46000000
	v_add_f32_e64 v2, |s12|, v2
	v_and_b32_e32 v2, 0xff, v2
	v_cmp_ne_u32_e64 s[8:9], 0, v2
.LBB87_852:
	s_andn2_b64 vcc, exec, s[8:9]
	v_mov_b32_e32 v3, 0
	s_cbranch_vccnz .LBB87_854
; %bb.853:
	s_lshr_b32 s8, s12, 24
	s_and_b32 s8, s8, 0x80
	v_or_b32_e32 v3, s8, v2
.LBB87_854:
	global_store_byte v[0:1], v3, off
.LBB87_855:
	s_mov_b64 s[8:9], 0
.LBB87_856:
	s_and_b64 vcc, exec, s[8:9]
	s_cbranch_vccz .LBB87_1029
; %bb.857:
	s_cmp_gt_i32 s14, 22
	s_mov_b64 s[6:7], -1
	s_cbranch_scc0 .LBB87_1022
; %bb.858:
	s_cmp_lt_i32 s14, 24
	s_cbranch_scc1 .LBB87_1009
; %bb.859:
	s_cmp_gt_i32 s14, 24
	s_cbranch_scc0 .LBB87_996
; %bb.860:
	s_lshl_b32 s10, s2, 16
	s_and_b32 s6, s10, 0x7fffffff
	s_cmp_gt_u32 s6, 0x477fffff
	v_mov_b32_e32 v3, 0x80
	s_cbranch_scc1 .LBB87_995
; %bb.861:
	s_cmp_gt_u32 s6, 0x37ffffff
	s_cbranch_scc0 .LBB87_990
; %bb.862:
	s_bfe_u32 s6, s10, 0x10015
	s_add_i32 s6, s10, s6
	s_add_i32 s6, s6, 0x88fffff
	s_lshr_b32 s11, s6, 21
	s_mov_b64 s[8:9], 0
	s_mov_b64 s[6:7], -1
	s_branch .LBB87_991
.LBB87_863:
	s_mov_b64 s[10:11], -1
	s_mov_b64 s[8:9], 0
                                        ; implicit-def: $sgpr13
.LBB87_864:
	s_andn2_b64 vcc, exec, s[10:11]
	v_mov_b32_e32 v3, s13
	s_cbranch_vccnz .LBB87_866
; %bb.865:
	v_mov_b32_e32 v3, 0x42800000
	v_add_f32_e64 v3, |s12|, v3
	v_and_b32_e32 v3, 0xff, v3
	v_cmp_ne_u32_e64 s[8:9], 0, v3
.LBB87_866:
	s_andn2_b64 vcc, exec, s[8:9]
	v_mov_b32_e32 v4, 0
	s_cbranch_vccnz .LBB87_868
; %bb.867:
	s_lshr_b32 s8, s12, 24
	s_and_b32 s8, s8, 0x80
	v_or_b32_e32 v4, s8, v3
.LBB87_868:
	s_mov_b64 s[8:9], 0
	global_store_byte v[1:2], v4, off
.LBB87_869:
	s_and_b64 vcc, exec, s[8:9]
	s_cbranch_vccz .LBB87_881
; %bb.870:
	s_lshl_b32 s10, s2, 16
	s_and_b32 s11, s10, 0x7fffffff
	s_cmp_lt_u32 s11, 0x43f00000
	s_cbranch_scc0 .LBB87_873
; %bb.871:
	s_cmp_gt_u32 s11, 0x3c7fffff
	s_cbranch_scc0 .LBB87_874
; %bb.872:
	s_bfe_u32 s8, s10, 0x10014
	s_add_i32 s8, s10, s8
	s_add_i32 s8, s8, 0x407ffff
	s_lshr_b32 s9, s8, 20
	s_and_b32 s8, s8, 0xff00000
	s_cmp_lg_u32 s8, 0x7f00000
	s_cselect_b32 s12, s9, 0x7e
	s_mov_b64 s[8:9], 0
	s_branch .LBB87_875
.LBB87_873:
	s_mov_b64 s[8:9], -1
                                        ; implicit-def: $vgpr3
	s_branch .LBB87_878
.LBB87_874:
	s_mov_b64 s[8:9], -1
                                        ; implicit-def: $sgpr12
.LBB87_875:
	s_andn2_b64 vcc, exec, s[8:9]
	v_mov_b32_e32 v3, s12
	s_cbranch_vccnz .LBB87_877
; %bb.876:
	v_mov_b32_e32 v3, 0x46800000
	v_add_f32_e64 v3, |s10|, v3
.LBB87_877:
	s_mov_b64 s[8:9], 0
.LBB87_878:
	s_andn2_b64 vcc, exec, s[8:9]
	s_cbranch_vccnz .LBB87_880
; %bb.879:
	s_cmp_gt_u32 s11, 0x7f800000
	s_movk_i32 s8, 0x7f
	s_cselect_b32 s8, s8, 0x7e
	v_mov_b32_e32 v3, s8
.LBB87_880:
	s_lshr_b32 s8, s10, 24
	s_and_b32 s8, s8, 0x80
	v_or_b32_e32 v3, s8, v3
	global_store_byte v[1:2], v3, off
.LBB87_881:
	s_mov_b64 s[8:9], 0
.LBB87_882:
	s_andn2_b64 vcc, exec, s[8:9]
	s_cbranch_vccnz .LBB87_894
; %bb.883:
	s_lshl_b32 s10, s2, 16
	s_and_b32 s11, s10, 0x7fffffff
	s_cmp_lt_u32 s11, 0x47800000
	s_cbranch_scc0 .LBB87_886
; %bb.884:
	s_cmp_gt_u32 s11, 0x387fffff
	s_cbranch_scc0 .LBB87_887
; %bb.885:
	s_bfe_u32 s8, s10, 0x10015
	s_add_i32 s8, s10, s8
	s_add_i32 s8, s8, 0x80fffff
	s_lshr_b32 s12, s8, 21
	s_mov_b64 s[8:9], 0
	s_branch .LBB87_888
.LBB87_886:
	s_mov_b64 s[8:9], -1
                                        ; implicit-def: $vgpr3
	s_branch .LBB87_891
.LBB87_887:
	s_mov_b64 s[8:9], -1
                                        ; implicit-def: $sgpr12
.LBB87_888:
	s_andn2_b64 vcc, exec, s[8:9]
	v_mov_b32_e32 v3, s12
	s_cbranch_vccnz .LBB87_890
; %bb.889:
	v_mov_b32_e32 v3, 0x43000000
	v_add_f32_e64 v3, |s10|, v3
.LBB87_890:
	s_mov_b64 s[8:9], 0
.LBB87_891:
	s_andn2_b64 vcc, exec, s[8:9]
	s_cbranch_vccnz .LBB87_893
; %bb.892:
	s_cmp_gt_u32 s11, 0x7f800000
	s_movk_i32 s8, 0x7f
	s_cselect_b32 s8, s8, 0x7c
	v_mov_b32_e32 v3, s8
.LBB87_893:
	s_lshr_b32 s8, s10, 24
	s_and_b32 s8, s8, 0x80
	v_or_b32_e32 v3, s8, v3
	global_store_byte v[1:2], v3, off
.LBB87_894:
	s_mov_b64 s[8:9], 0
	s_mov_b64 s[10:11], -1
.LBB87_895:
	s_andn2_b64 vcc, exec, s[8:9]
	s_mov_b64 s[8:9], 0
	s_cbranch_vccnz .LBB87_902
; %bb.896:
	s_cmp_gt_i32 s14, 14
	s_mov_b64 s[12:13], -1
	s_cbranch_scc0 .LBB87_900
; %bb.897:
	s_cmp_eq_u32 s14, 15
	s_mov_b64 s[6:7], -1
	s_cbranch_scc0 .LBB87_899
; %bb.898:
	v_mov_b32_e32 v3, s2
	global_store_short v[1:2], v3, off
	s_mov_b64 s[6:7], 0
	s_mov_b64 s[10:11], -1
.LBB87_899:
	s_mov_b64 s[12:13], 0
.LBB87_900:
	s_and_b64 vcc, exec, s[12:13]
	s_cbranch_vccz .LBB87_902
; %bb.901:
	s_cmp_lg_u32 s14, 11
	s_mov_b64 s[8:9], -1
	s_cselect_b64 s[6:7], -1, 0
.LBB87_902:
	s_and_b64 vcc, exec, s[6:7]
	s_cbranch_vccnz .LBB87_989
; %bb.903:
	s_andn2_b64 vcc, exec, s[8:9]
	s_cbranch_vccnz .LBB87_905
.LBB87_904:
	s_and_b32 s6, s2, 0x7fff7fff
	s_cmp_lg_u32 s6, 0
	s_cselect_b64 s[6:7], -1, 0
	v_cndmask_b32_e64 v3, 0, 1, s[6:7]
	s_mov_b64 s[10:11], -1
	global_store_byte v[1:2], v3, off
.LBB87_905:
	s_branch .LBB87_802
.LBB87_906:
	s_cmp_lt_i32 s14, 5
	s_mov_b64 s[6:7], -1
	s_cbranch_scc1 .LBB87_927
; %bb.907:
	s_cmp_lt_i32 s14, 8
	s_cbranch_scc1 .LBB87_917
; %bb.908:
	s_cmp_lt_i32 s14, 9
	s_cbranch_scc1 .LBB87_914
; %bb.909:
	s_cmp_gt_i32 s14, 9
	s_cbranch_scc0 .LBB87_911
; %bb.910:
	s_and_b32 s6, s2, 0xffff0000
	s_lshl_b32 s7, s2, 16
	v_cvt_f64_f32_e32 v[3:4], s7
	v_cvt_f64_f32_e32 v[5:6], s6
	s_mov_b64 s[6:7], 0
	global_store_dwordx4 v[1:2], v[3:6], off
.LBB87_911:
	s_andn2_b64 vcc, exec, s[6:7]
	s_cbranch_vccnz .LBB87_913
; %bb.912:
	s_and_b32 s6, s2, 0xffff0000
	s_lshl_b32 s7, s2, 16
	v_mov_b32_e32 v3, s7
	v_mov_b32_e32 v4, s6
	global_store_dwordx2 v[1:2], v[3:4], off
.LBB87_913:
	s_mov_b64 s[6:7], 0
.LBB87_914:
	s_andn2_b64 vcc, exec, s[6:7]
	s_cbranch_vccnz .LBB87_916
; %bb.915:
	s_and_b32 s6, s2, 0xffff0000
	s_lshl_b32 s7, s2, 16
	v_cvt_f16_f32_e32 v3, s7
	v_cvt_f16_f32_sdwa v4, s6 dst_sel:WORD_1 dst_unused:UNUSED_PAD src0_sel:DWORD
	v_or_b32_e32 v3, v4, v3
	global_store_dword v[1:2], v3, off
.LBB87_916:
	s_mov_b64 s[6:7], 0
.LBB87_917:
	s_andn2_b64 vcc, exec, s[6:7]
	s_cbranch_vccnz .LBB87_926
; %bb.918:
	s_cmp_lt_i32 s14, 6
	s_mov_b64 s[6:7], -1
	s_cbranch_scc1 .LBB87_924
; %bb.919:
	s_cmp_gt_i32 s14, 6
	s_cbranch_scc0 .LBB87_921
; %bb.920:
	s_lshl_b32 s6, s2, 16
	v_cvt_f64_f32_e32 v[3:4], s6
	s_mov_b64 s[6:7], 0
	global_store_dwordx2 v[1:2], v[3:4], off
.LBB87_921:
	s_andn2_b64 vcc, exec, s[6:7]
	s_cbranch_vccnz .LBB87_923
; %bb.922:
	s_lshl_b32 s6, s2, 16
	v_mov_b32_e32 v3, s6
	global_store_dword v[1:2], v3, off
.LBB87_923:
	s_mov_b64 s[6:7], 0
.LBB87_924:
	s_andn2_b64 vcc, exec, s[6:7]
	s_cbranch_vccnz .LBB87_926
; %bb.925:
	s_lshl_b32 s6, s2, 16
	v_cvt_f16_f32_e32 v3, s6
	global_store_short v[1:2], v3, off
.LBB87_926:
	s_mov_b64 s[6:7], 0
.LBB87_927:
	s_andn2_b64 vcc, exec, s[6:7]
	s_cbranch_vccnz .LBB87_943
; %bb.928:
	s_cmp_lt_i32 s14, 2
	s_mov_b64 s[6:7], -1
	s_cbranch_scc1 .LBB87_938
; %bb.929:
	s_cmp_lt_i32 s14, 3
	s_cbranch_scc1 .LBB87_935
; %bb.930:
	s_cmp_gt_i32 s14, 3
	s_cbranch_scc0 .LBB87_932
; %bb.931:
	s_lshl_b32 s6, s2, 16
	v_trunc_f32_e32 v3, s6
	s_mov_b32 s6, 0x2f800000
	v_mul_f32_e64 v4, |v3|, s6
	v_floor_f32_e32 v4, v4
	s_mov_b32 s6, 0xcf800000
	v_fma_f32 v5, v4, s6, |v3|
	v_cvt_u32_f32_e32 v5, v5
	v_cvt_u32_f32_e32 v4, v4
	v_ashrrev_i32_e32 v6, 31, v3
	s_mov_b64 s[6:7], 0
	v_xor_b32_e32 v3, v5, v6
	v_xor_b32_e32 v4, v4, v6
	v_sub_co_u32_e32 v3, vcc, v3, v6
	v_subb_co_u32_e32 v4, vcc, v4, v6, vcc
	global_store_dwordx2 v[1:2], v[3:4], off
.LBB87_932:
	s_andn2_b64 vcc, exec, s[6:7]
	s_cbranch_vccnz .LBB87_934
; %bb.933:
	s_lshl_b32 s6, s2, 16
	v_cvt_i32_f32_e32 v3, s6
	global_store_dword v[1:2], v3, off
.LBB87_934:
	s_mov_b64 s[6:7], 0
.LBB87_935:
	s_andn2_b64 vcc, exec, s[6:7]
	s_cbranch_vccnz .LBB87_937
; %bb.936:
	s_lshl_b32 s6, s2, 16
	v_cvt_i32_f32_e32 v3, s6
	global_store_short v[1:2], v3, off
.LBB87_937:
	s_mov_b64 s[6:7], 0
.LBB87_938:
	s_andn2_b64 vcc, exec, s[6:7]
	s_cbranch_vccnz .LBB87_943
; %bb.939:
	s_cmp_gt_i32 s14, 0
	s_mov_b64 s[6:7], -1
	s_cbranch_scc0 .LBB87_941
; %bb.940:
	s_lshl_b32 s6, s2, 16
	v_cvt_i32_f32_e32 v3, s6
	s_mov_b64 s[6:7], 0
	global_store_byte v[1:2], v3, off
.LBB87_941:
	s_andn2_b64 vcc, exec, s[6:7]
	s_cbranch_vccnz .LBB87_943
; %bb.942:
	s_lshl_b32 s6, s2, 16
	v_trunc_f32_e32 v3, s6
	s_mov_b32 s6, 0x2f800000
	v_mul_f32_e64 v4, |v3|, s6
	v_floor_f32_e32 v4, v4
	s_mov_b32 s6, 0xcf800000
	v_fma_f32 v4, v4, s6, |v3|
	v_cvt_u32_f32_e32 v4, v4
	v_ashrrev_i32_e32 v3, 31, v3
	v_xor_b32_e32 v4, v4, v3
	v_sub_u32_e32 v3, v4, v3
	global_store_byte v[1:2], v3, off
.LBB87_943:
	s_branch .LBB87_803
.LBB87_944:
	s_mov_b64 s[0:1], 0
	s_mov_b64 s[6:7], 0
                                        ; implicit-def: $sgpr3
                                        ; implicit-def: $vgpr0_vgpr1
.LBB87_945:
	s_and_b64 s[30:31], s[6:7], exec
	s_andn2_b64 s[6:7], s[20:21], exec
	s_and_b64 s[4:5], s[4:5], exec
	s_and_b64 s[0:1], s[0:1], exec
	s_or_b64 s[20:21], s[6:7], s[4:5]
.LBB87_946:
	s_or_b64 exec, exec, s[22:23]
	s_and_saveexec_b64 s[4:5], s[20:21]
	s_cbranch_execz .LBB87_949
; %bb.947:
	; divergent unreachable
	s_or_b64 exec, exec, s[4:5]
	s_and_saveexec_b64 s[4:5], s[30:31]
	s_xor_b64 s[4:5], exec, s[4:5]
	s_cbranch_execnz .LBB87_950
.LBB87_948:
	s_or_b64 exec, exec, s[4:5]
	s_and_saveexec_b64 s[4:5], s[0:1]
	s_cbranch_execnz .LBB87_951
	s_branch .LBB87_988
.LBB87_949:
	s_or_b64 exec, exec, s[4:5]
	s_and_saveexec_b64 s[4:5], s[30:31]
	s_xor_b64 s[4:5], exec, s[4:5]
	s_cbranch_execz .LBB87_948
.LBB87_950:
	s_and_b32 s6, s2, 0x7fff7fff
	s_cmp_lg_u32 s6, 0
	s_cselect_b64 s[6:7], -1, 0
	v_cndmask_b32_e64 v2, 0, 1, s[6:7]
	global_store_byte v[0:1], v2, off
	s_or_b64 exec, exec, s[4:5]
	s_and_saveexec_b64 s[4:5], s[0:1]
	s_cbranch_execz .LBB87_988
.LBB87_951:
	s_sext_i32_i16 s4, s3
	s_cmp_lt_i32 s4, 5
	s_mov_b64 s[0:1], -1
	s_cbranch_scc1 .LBB87_972
; %bb.952:
	s_cmp_lt_i32 s4, 8
	s_cbranch_scc1 .LBB87_962
; %bb.953:
	s_cmp_lt_i32 s4, 9
	s_cbranch_scc1 .LBB87_959
; %bb.954:
	s_cmp_gt_i32 s4, 9
	s_cbranch_scc0 .LBB87_956
; %bb.955:
	s_and_b32 s0, s2, 0xffff0000
	s_lshl_b32 s1, s2, 16
	v_cvt_f64_f32_e32 v[2:3], s1
	v_cvt_f64_f32_e32 v[4:5], s0
	s_mov_b64 s[0:1], 0
	global_store_dwordx4 v[0:1], v[2:5], off
.LBB87_956:
	s_andn2_b64 vcc, exec, s[0:1]
	s_cbranch_vccnz .LBB87_958
; %bb.957:
	s_and_b32 s0, s2, 0xffff0000
	s_lshl_b32 s1, s2, 16
	v_mov_b32_e32 v2, s1
	v_mov_b32_e32 v3, s0
	global_store_dwordx2 v[0:1], v[2:3], off
.LBB87_958:
	s_mov_b64 s[0:1], 0
.LBB87_959:
	s_andn2_b64 vcc, exec, s[0:1]
	s_cbranch_vccnz .LBB87_961
; %bb.960:
	s_and_b32 s0, s2, 0xffff0000
	s_lshl_b32 s1, s2, 16
	v_cvt_f16_f32_e32 v2, s1
	v_cvt_f16_f32_sdwa v3, s0 dst_sel:WORD_1 dst_unused:UNUSED_PAD src0_sel:DWORD
	v_or_b32_e32 v2, v3, v2
	global_store_dword v[0:1], v2, off
.LBB87_961:
	s_mov_b64 s[0:1], 0
.LBB87_962:
	s_andn2_b64 vcc, exec, s[0:1]
	s_cbranch_vccnz .LBB87_971
; %bb.963:
	s_sext_i32_i16 s4, s3
	s_cmp_lt_i32 s4, 6
	s_mov_b64 s[0:1], -1
	s_cbranch_scc1 .LBB87_969
; %bb.964:
	s_cmp_gt_i32 s4, 6
	s_cbranch_scc0 .LBB87_966
; %bb.965:
	s_lshl_b32 s0, s2, 16
	v_cvt_f64_f32_e32 v[2:3], s0
	s_mov_b64 s[0:1], 0
	global_store_dwordx2 v[0:1], v[2:3], off
.LBB87_966:
	s_andn2_b64 vcc, exec, s[0:1]
	s_cbranch_vccnz .LBB87_968
; %bb.967:
	s_lshl_b32 s0, s2, 16
	v_mov_b32_e32 v2, s0
	global_store_dword v[0:1], v2, off
.LBB87_968:
	s_mov_b64 s[0:1], 0
.LBB87_969:
	s_andn2_b64 vcc, exec, s[0:1]
	s_cbranch_vccnz .LBB87_971
; %bb.970:
	s_lshl_b32 s0, s2, 16
	v_cvt_f16_f32_e32 v2, s0
	global_store_short v[0:1], v2, off
.LBB87_971:
	s_mov_b64 s[0:1], 0
.LBB87_972:
	s_andn2_b64 vcc, exec, s[0:1]
	s_cbranch_vccnz .LBB87_988
; %bb.973:
	s_sext_i32_i16 s4, s3
	s_cmp_lt_i32 s4, 2
	s_mov_b64 s[0:1], -1
	s_cbranch_scc1 .LBB87_983
; %bb.974:
	s_cmp_lt_i32 s4, 3
	s_cbranch_scc1 .LBB87_980
; %bb.975:
	s_cmp_gt_i32 s4, 3
	s_cbranch_scc0 .LBB87_977
; %bb.976:
	s_lshl_b32 s0, s2, 16
	v_trunc_f32_e32 v2, s0
	s_mov_b32 s0, 0x2f800000
	v_mul_f32_e64 v3, |v2|, s0
	v_floor_f32_e32 v3, v3
	s_mov_b32 s0, 0xcf800000
	v_fma_f32 v4, v3, s0, |v2|
	v_cvt_u32_f32_e32 v4, v4
	v_cvt_u32_f32_e32 v3, v3
	v_ashrrev_i32_e32 v5, 31, v2
	s_mov_b64 s[0:1], 0
	v_xor_b32_e32 v2, v4, v5
	v_xor_b32_e32 v3, v3, v5
	v_sub_co_u32_e32 v2, vcc, v2, v5
	v_subb_co_u32_e32 v3, vcc, v3, v5, vcc
	global_store_dwordx2 v[0:1], v[2:3], off
.LBB87_977:
	s_andn2_b64 vcc, exec, s[0:1]
	s_cbranch_vccnz .LBB87_979
; %bb.978:
	s_lshl_b32 s0, s2, 16
	v_cvt_i32_f32_e32 v2, s0
	global_store_dword v[0:1], v2, off
.LBB87_979:
	s_mov_b64 s[0:1], 0
.LBB87_980:
	s_andn2_b64 vcc, exec, s[0:1]
	s_cbranch_vccnz .LBB87_982
; %bb.981:
	s_lshl_b32 s0, s2, 16
	v_cvt_i32_f32_e32 v2, s0
	global_store_short v[0:1], v2, off
.LBB87_982:
	s_mov_b64 s[0:1], 0
.LBB87_983:
	s_andn2_b64 vcc, exec, s[0:1]
	s_cbranch_vccnz .LBB87_988
; %bb.984:
	s_sext_i32_i16 s0, s3
	s_cmp_gt_i32 s0, 0
	s_mov_b64 s[0:1], -1
	s_cbranch_scc0 .LBB87_986
; %bb.985:
	s_lshl_b32 s0, s2, 16
	v_cvt_i32_f32_e32 v2, s0
	s_mov_b64 s[0:1], 0
	global_store_byte v[0:1], v2, off
.LBB87_986:
	s_andn2_b64 vcc, exec, s[0:1]
	s_cbranch_vccnz .LBB87_988
; %bb.987:
	s_lshl_b32 s0, s2, 16
	v_trunc_f32_e32 v2, s0
	s_mov_b32 s0, 0x2f800000
	v_mul_f32_e64 v3, |v2|, s0
	v_floor_f32_e32 v3, v3
	s_mov_b32 s0, 0xcf800000
	v_fma_f32 v3, v3, s0, |v2|
	v_cvt_u32_f32_e32 v3, v3
	v_ashrrev_i32_e32 v2, 31, v2
	v_xor_b32_e32 v3, v3, v2
	v_sub_u32_e32 v2, v3, v2
	global_store_byte v[0:1], v2, off
	s_endpgm
.LBB87_988:
	s_endpgm
.LBB87_989:
	s_trap 2
	s_or_b64 s[4:5], s[4:5], exec
	s_cbranch_execz .LBB87_904
	s_branch .LBB87_905
.LBB87_990:
	s_mov_b64 s[8:9], -1
	s_mov_b64 s[6:7], 0
                                        ; implicit-def: $sgpr11
.LBB87_991:
	s_andn2_b64 vcc, exec, s[8:9]
	v_mov_b32_e32 v2, s11
	s_cbranch_vccnz .LBB87_993
; %bb.992:
	v_mov_b32_e32 v2, 0x42800000
	v_add_f32_e64 v2, |s10|, v2
	v_and_b32_e32 v2, 0xff, v2
	v_cmp_ne_u32_e64 s[6:7], 0, v2
.LBB87_993:
	s_andn2_b64 vcc, exec, s[6:7]
	v_mov_b32_e32 v3, 0
	s_cbranch_vccnz .LBB87_995
; %bb.994:
	s_lshr_b32 s6, s10, 24
	s_and_b32 s6, s6, 0x80
	v_or_b32_e32 v3, s6, v2
.LBB87_995:
	s_mov_b64 s[6:7], 0
	global_store_byte v[0:1], v3, off
.LBB87_996:
	s_and_b64 vcc, exec, s[6:7]
	s_cbranch_vccz .LBB87_1008
; %bb.997:
	s_lshl_b32 s8, s2, 16
	s_and_b32 s9, s8, 0x7fffffff
	s_cmp_lt_u32 s9, 0x43f00000
	s_cbranch_scc0 .LBB87_1000
; %bb.998:
	s_cmp_gt_u32 s9, 0x3c7fffff
	s_cbranch_scc0 .LBB87_1001
; %bb.999:
	s_bfe_u32 s6, s8, 0x10014
	s_add_i32 s6, s8, s6
	s_add_i32 s6, s6, 0x407ffff
	s_lshr_b32 s7, s6, 20
	s_and_b32 s6, s6, 0xff00000
	s_cmp_lg_u32 s6, 0x7f00000
	s_cselect_b32 s10, s7, 0x7e
	s_mov_b64 s[6:7], 0
	s_branch .LBB87_1002
.LBB87_1000:
	s_mov_b64 s[6:7], -1
                                        ; implicit-def: $vgpr2
	s_branch .LBB87_1005
.LBB87_1001:
	s_mov_b64 s[6:7], -1
                                        ; implicit-def: $sgpr10
.LBB87_1002:
	s_andn2_b64 vcc, exec, s[6:7]
	v_mov_b32_e32 v2, s10
	s_cbranch_vccnz .LBB87_1004
; %bb.1003:
	v_mov_b32_e32 v2, 0x46800000
	v_add_f32_e64 v2, |s8|, v2
.LBB87_1004:
	s_mov_b64 s[6:7], 0
.LBB87_1005:
	s_andn2_b64 vcc, exec, s[6:7]
	s_cbranch_vccnz .LBB87_1007
; %bb.1006:
	s_cmp_gt_u32 s9, 0x7f800000
	s_movk_i32 s6, 0x7f
	s_cselect_b32 s6, s6, 0x7e
	v_mov_b32_e32 v2, s6
.LBB87_1007:
	s_lshr_b32 s6, s8, 24
	s_and_b32 s6, s6, 0x80
	v_or_b32_e32 v2, s6, v2
	global_store_byte v[0:1], v2, off
.LBB87_1008:
	s_mov_b64 s[6:7], 0
.LBB87_1009:
	s_andn2_b64 vcc, exec, s[6:7]
	s_cbranch_vccnz .LBB87_1021
; %bb.1010:
	s_lshl_b32 s8, s2, 16
	s_and_b32 s9, s8, 0x7fffffff
	s_cmp_lt_u32 s9, 0x47800000
	s_cbranch_scc0 .LBB87_1013
; %bb.1011:
	s_cmp_gt_u32 s9, 0x387fffff
	s_cbranch_scc0 .LBB87_1014
; %bb.1012:
	s_bfe_u32 s6, s8, 0x10015
	s_add_i32 s6, s8, s6
	s_add_i32 s6, s6, 0x80fffff
	s_lshr_b32 s10, s6, 21
	s_mov_b64 s[6:7], 0
	s_branch .LBB87_1015
.LBB87_1013:
	s_mov_b64 s[6:7], -1
                                        ; implicit-def: $vgpr2
	s_branch .LBB87_1018
.LBB87_1014:
	s_mov_b64 s[6:7], -1
                                        ; implicit-def: $sgpr10
.LBB87_1015:
	s_andn2_b64 vcc, exec, s[6:7]
	v_mov_b32_e32 v2, s10
	s_cbranch_vccnz .LBB87_1017
; %bb.1016:
	v_mov_b32_e32 v2, 0x43000000
	v_add_f32_e64 v2, |s8|, v2
.LBB87_1017:
	s_mov_b64 s[6:7], 0
.LBB87_1018:
	s_andn2_b64 vcc, exec, s[6:7]
	s_cbranch_vccnz .LBB87_1020
; %bb.1019:
	s_cmp_gt_u32 s9, 0x7f800000
	s_movk_i32 s6, 0x7f
	s_cselect_b32 s6, s6, 0x7c
	v_mov_b32_e32 v2, s6
.LBB87_1020:
	s_lshr_b32 s6, s8, 24
	s_and_b32 s6, s6, 0x80
	v_or_b32_e32 v2, s6, v2
	global_store_byte v[0:1], v2, off
.LBB87_1021:
	s_mov_b64 s[6:7], 0
.LBB87_1022:
	s_andn2_b64 vcc, exec, s[6:7]
	s_mov_b64 s[6:7], 0
	s_cbranch_vccnz .LBB87_1029
; %bb.1023:
	s_cmp_gt_i32 s14, 14
	s_mov_b64 s[8:9], -1
	s_cbranch_scc0 .LBB87_1027
; %bb.1024:
	s_cmp_eq_u32 s14, 15
	s_mov_b64 s[0:1], -1
	s_cbranch_scc0 .LBB87_1026
; %bb.1025:
	v_mov_b32_e32 v2, s2
	global_store_short v[0:1], v2, off
	s_mov_b64 s[0:1], 0
.LBB87_1026:
	s_mov_b64 s[8:9], 0
.LBB87_1027:
	s_and_b64 vcc, exec, s[8:9]
	s_cbranch_vccz .LBB87_1029
; %bb.1028:
	s_cmp_lg_u32 s14, 11
	s_mov_b64 s[6:7], -1
	s_cselect_b64 s[0:1], -1, 0
.LBB87_1029:
	s_and_b64 vcc, exec, s[0:1]
	s_cbranch_vccnz .LBB87_1031
.LBB87_1030:
	s_mov_b64 s[0:1], 0
	s_branch .LBB87_945
.LBB87_1031:
	s_mov_b64 s[6:7], 0
	s_or_b64 s[4:5], s[4:5], exec
	s_trap 2
	s_branch .LBB87_1030
	.section	.rodata,"a",@progbits
	.p2align	6, 0x0
	.amdhsa_kernel _ZN2at6native32elementwise_kernel_manual_unrollILi128ELi4EZNS0_15gpu_kernel_implINS0_11FillFunctorIN3c107complexINS4_8BFloat16EEEEEEEvRNS_18TensorIteratorBaseERKT_EUlibE0_EEviT1_
		.amdhsa_group_segment_fixed_size 0
		.amdhsa_private_segment_fixed_size 0
		.amdhsa_kernarg_size 288
		.amdhsa_user_sgpr_count 6
		.amdhsa_user_sgpr_private_segment_buffer 1
		.amdhsa_user_sgpr_dispatch_ptr 0
		.amdhsa_user_sgpr_queue_ptr 0
		.amdhsa_user_sgpr_kernarg_segment_ptr 1
		.amdhsa_user_sgpr_dispatch_id 0
		.amdhsa_user_sgpr_flat_scratch_init 0
		.amdhsa_user_sgpr_private_segment_size 0
		.amdhsa_uses_dynamic_stack 0
		.amdhsa_system_sgpr_private_segment_wavefront_offset 0
		.amdhsa_system_sgpr_workgroup_id_x 1
		.amdhsa_system_sgpr_workgroup_id_y 0
		.amdhsa_system_sgpr_workgroup_id_z 0
		.amdhsa_system_sgpr_workgroup_info 0
		.amdhsa_system_vgpr_workitem_id 0
		.amdhsa_next_free_vgpr 23
		.amdhsa_next_free_sgpr 96
		.amdhsa_reserve_vcc 1
		.amdhsa_reserve_flat_scratch 0
		.amdhsa_float_round_mode_32 0
		.amdhsa_float_round_mode_16_64 0
		.amdhsa_float_denorm_mode_32 3
		.amdhsa_float_denorm_mode_16_64 3
		.amdhsa_dx10_clamp 1
		.amdhsa_ieee_mode 1
		.amdhsa_fp16_overflow 0
		.amdhsa_exception_fp_ieee_invalid_op 0
		.amdhsa_exception_fp_denorm_src 0
		.amdhsa_exception_fp_ieee_div_zero 0
		.amdhsa_exception_fp_ieee_overflow 0
		.amdhsa_exception_fp_ieee_underflow 0
		.amdhsa_exception_fp_ieee_inexact 0
		.amdhsa_exception_int_div_zero 0
	.end_amdhsa_kernel
	.section	.text._ZN2at6native32elementwise_kernel_manual_unrollILi128ELi4EZNS0_15gpu_kernel_implINS0_11FillFunctorIN3c107complexINS4_8BFloat16EEEEEEEvRNS_18TensorIteratorBaseERKT_EUlibE0_EEviT1_,"axG",@progbits,_ZN2at6native32elementwise_kernel_manual_unrollILi128ELi4EZNS0_15gpu_kernel_implINS0_11FillFunctorIN3c107complexINS4_8BFloat16EEEEEEEvRNS_18TensorIteratorBaseERKT_EUlibE0_EEviT1_,comdat
.Lfunc_end87:
	.size	_ZN2at6native32elementwise_kernel_manual_unrollILi128ELi4EZNS0_15gpu_kernel_implINS0_11FillFunctorIN3c107complexINS4_8BFloat16EEEEEEEvRNS_18TensorIteratorBaseERKT_EUlibE0_EEviT1_, .Lfunc_end87-_ZN2at6native32elementwise_kernel_manual_unrollILi128ELi4EZNS0_15gpu_kernel_implINS0_11FillFunctorIN3c107complexINS4_8BFloat16EEEEEEEvRNS_18TensorIteratorBaseERKT_EUlibE0_EEviT1_
                                        ; -- End function
	.set _ZN2at6native32elementwise_kernel_manual_unrollILi128ELi4EZNS0_15gpu_kernel_implINS0_11FillFunctorIN3c107complexINS4_8BFloat16EEEEEEEvRNS_18TensorIteratorBaseERKT_EUlibE0_EEviT1_.num_vgpr, 23
	.set _ZN2at6native32elementwise_kernel_manual_unrollILi128ELi4EZNS0_15gpu_kernel_implINS0_11FillFunctorIN3c107complexINS4_8BFloat16EEEEEEEvRNS_18TensorIteratorBaseERKT_EUlibE0_EEviT1_.num_agpr, 0
	.set _ZN2at6native32elementwise_kernel_manual_unrollILi128ELi4EZNS0_15gpu_kernel_implINS0_11FillFunctorIN3c107complexINS4_8BFloat16EEEEEEEvRNS_18TensorIteratorBaseERKT_EUlibE0_EEviT1_.numbered_sgpr, 96
	.set _ZN2at6native32elementwise_kernel_manual_unrollILi128ELi4EZNS0_15gpu_kernel_implINS0_11FillFunctorIN3c107complexINS4_8BFloat16EEEEEEEvRNS_18TensorIteratorBaseERKT_EUlibE0_EEviT1_.num_named_barrier, 0
	.set _ZN2at6native32elementwise_kernel_manual_unrollILi128ELi4EZNS0_15gpu_kernel_implINS0_11FillFunctorIN3c107complexINS4_8BFloat16EEEEEEEvRNS_18TensorIteratorBaseERKT_EUlibE0_EEviT1_.private_seg_size, 0
	.set _ZN2at6native32elementwise_kernel_manual_unrollILi128ELi4EZNS0_15gpu_kernel_implINS0_11FillFunctorIN3c107complexINS4_8BFloat16EEEEEEEvRNS_18TensorIteratorBaseERKT_EUlibE0_EEviT1_.uses_vcc, 1
	.set _ZN2at6native32elementwise_kernel_manual_unrollILi128ELi4EZNS0_15gpu_kernel_implINS0_11FillFunctorIN3c107complexINS4_8BFloat16EEEEEEEvRNS_18TensorIteratorBaseERKT_EUlibE0_EEviT1_.uses_flat_scratch, 0
	.set _ZN2at6native32elementwise_kernel_manual_unrollILi128ELi4EZNS0_15gpu_kernel_implINS0_11FillFunctorIN3c107complexINS4_8BFloat16EEEEEEEvRNS_18TensorIteratorBaseERKT_EUlibE0_EEviT1_.has_dyn_sized_stack, 0
	.set _ZN2at6native32elementwise_kernel_manual_unrollILi128ELi4EZNS0_15gpu_kernel_implINS0_11FillFunctorIN3c107complexINS4_8BFloat16EEEEEEEvRNS_18TensorIteratorBaseERKT_EUlibE0_EEviT1_.has_recursion, 0
	.set _ZN2at6native32elementwise_kernel_manual_unrollILi128ELi4EZNS0_15gpu_kernel_implINS0_11FillFunctorIN3c107complexINS4_8BFloat16EEEEEEEvRNS_18TensorIteratorBaseERKT_EUlibE0_EEviT1_.has_indirect_call, 0
	.section	.AMDGPU.csdata,"",@progbits
; Kernel info:
; codeLenInByte = 17676
; TotalNumSgprs: 100
; NumVgprs: 23
; ScratchSize: 0
; MemoryBound: 0
; FloatMode: 240
; IeeeMode: 1
; LDSByteSize: 0 bytes/workgroup (compile time only)
; SGPRBlocks: 12
; VGPRBlocks: 5
; NumSGPRsForWavesPerEU: 100
; NumVGPRsForWavesPerEU: 23
; Occupancy: 8
; WaveLimiterHint : 1
; COMPUTE_PGM_RSRC2:SCRATCH_EN: 0
; COMPUTE_PGM_RSRC2:USER_SGPR: 6
; COMPUTE_PGM_RSRC2:TRAP_HANDLER: 0
; COMPUTE_PGM_RSRC2:TGID_X_EN: 1
; COMPUTE_PGM_RSRC2:TGID_Y_EN: 0
; COMPUTE_PGM_RSRC2:TGID_Z_EN: 0
; COMPUTE_PGM_RSRC2:TIDIG_COMP_CNT: 0
	.section	.text._ZN2at6native29vectorized_elementwise_kernelILi16ENS0_11FillFunctorIbEESt5arrayIPcLm1EEEEviT0_T1_,"axG",@progbits,_ZN2at6native29vectorized_elementwise_kernelILi16ENS0_11FillFunctorIbEESt5arrayIPcLm1EEEEviT0_T1_,comdat
	.protected	_ZN2at6native29vectorized_elementwise_kernelILi16ENS0_11FillFunctorIbEESt5arrayIPcLm1EEEEviT0_T1_ ; -- Begin function _ZN2at6native29vectorized_elementwise_kernelILi16ENS0_11FillFunctorIbEESt5arrayIPcLm1EEEEviT0_T1_
	.globl	_ZN2at6native29vectorized_elementwise_kernelILi16ENS0_11FillFunctorIbEESt5arrayIPcLm1EEEEviT0_T1_
	.p2align	8
	.type	_ZN2at6native29vectorized_elementwise_kernelILi16ENS0_11FillFunctorIbEESt5arrayIPcLm1EEEEviT0_T1_,@function
_ZN2at6native29vectorized_elementwise_kernelILi16ENS0_11FillFunctorIbEESt5arrayIPcLm1EEEEviT0_T1_: ; @_ZN2at6native29vectorized_elementwise_kernelILi16ENS0_11FillFunctorIbEESt5arrayIPcLm1EEEEviT0_T1_
; %bb.0:
	s_load_dwordx2 s[10:11], s[4:5], 0x4
	s_load_dwordx4 s[0:3], s[6:7], 0x0
	s_waitcnt lgkmcnt(0)
	s_lshr_b32 s4, s10, 16
	s_mul_i32 s4, s4, s11
	v_mul_lo_u32 v3, s4, v0
	v_mul_u32_u24_e32 v1, s11, v1
	s_and_b32 s1, s1, 1
	s_lshl_b32 s4, s8, 12
	v_add3_u32 v1, v3, v1, v2
	v_mov_b32_e32 v2, s1
	ds_write_b8 v1, v2
	ds_read_u8 v2, v1
	s_sub_i32 s5, s0, s4
	s_cmpk_gt_i32 s5, 0xfff
	s_mov_b64 s[0:1], -1
	s_waitcnt lgkmcnt(0)
	v_and_b32_e32 v2, 1, v2
	v_cmp_eq_u32_e32 vcc, 1, v2
	ds_write_b8 v1, v2 offset:256
	v_cndmask_b32_e64 v2, 0, 1, vcc
	s_cbranch_scc0 .LBB88_2
; %bb.1:
	s_ashr_i32 s1, s4, 31
	s_mov_b32 s6, 0x4040404
	s_add_u32 s0, s2, s4
	v_perm_b32 v3, v2, v2, s6
	s_addc_u32 s1, s3, s1
	v_lshlrev_b32_e32 v7, 4, v0
	v_mov_b32_e32 v4, v3
	v_mov_b32_e32 v5, v3
	v_mov_b32_e32 v6, v3
	ds_write_b8 v1, v2 offset:512
	global_store_dwordx4 v7, v[3:6], s[0:1]
	s_mov_b64 s[0:1], 0
.LBB88_2:
	s_andn2_b64 vcc, exec, s[0:1]
	s_cbranch_vccnz .LBB88_20
; %bb.3:
	ds_write_b8 v1, v2 offset:768
	ds_read_u8 v1, v1 offset:768
	v_cmp_gt_i32_e32 vcc, s5, v0
	s_mov_b32 s7, 0x7060004
	v_or_b32_e32 v5, 0x100, v0
	v_cmp_gt_i32_e64 s[0:1], s5, v5
	s_waitcnt lgkmcnt(0)
	v_and_b32_e32 v2, 0xffff, v1
	v_cndmask_b32_e32 v3, 0, v2, vcc
	v_perm_b32 v4, v3, v1, s7
	v_cndmask_b32_e64 v3, v3, v4, s[0:1]
	s_mov_b32 s8, 0xc0c0304
	v_perm_b32 v6, v1, v3, s8
	v_or_b32_e32 v4, 0x200, v0
	v_lshlrev_b32_e32 v6, 16, v6
	s_movk_i32 s9, 0x1ff
	v_and_or_b32 v6, v3, s9, v6
	v_cmp_gt_i32_e64 s[0:1], s5, v4
	v_cndmask_b32_e64 v3, v3, v6, s[0:1]
	s_mov_b32 s10, 0xc0c0006
	v_perm_b32 v6, v3, v1, s10
	s_mov_b32 s6, 0xffff
	v_or_b32_e32 v4, 0x300, v0
	v_lshlrev_b32_e32 v6, 16, v6
	v_and_or_b32 v6, v3, s6, v6
	v_cmp_gt_i32_e64 s[0:1], s5, v4
	v_cndmask_b32_e64 v4, v3, v6, s[0:1]
	s_mov_b32 s0, 0x3020104
	v_or_b32_e32 v3, 0x400, v0
	v_perm_b32 v6, v1, 0, s0
	v_cmp_gt_i32_e64 s[0:1], s5, v3
	v_cndmask_b32_e64 v3, 0, v6, s[0:1]
	v_or_b32_e32 v8, 0x500, v0
	v_perm_b32 v7, v3, v1, s7
	v_cmp_gt_i32_e64 s[0:1], s5, v8
	v_cndmask_b32_e64 v3, v3, v7, s[0:1]
	v_or_b32_e32 v7, 0x600, v0
	s_mov_b32 s11, 0x7000504
	v_perm_b32 v8, v3, v1, s11
	v_cmp_gt_i32_e64 s[0:1], s5, v7
	v_cndmask_b32_e64 v3, v3, v8, s[0:1]
	v_or_b32_e32 v7, 0x700, v0
	s_mov_b32 s12, 0x60504
	v_perm_b32 v8, v3, v1, s12
	v_cmp_gt_i32_e64 s[0:1], s5, v7
	v_or_b32_e32 v7, 0x800, v0
	v_cndmask_b32_e64 v3, v3, v8, s[0:1]
	v_cmp_gt_i32_e64 s[0:1], s5, v7
	v_cndmask_b32_e64 v2, 0, v2, s[0:1]
	v_or_b32_e32 v8, 0x900, v0
	v_perm_b32 v7, v2, v1, s7
	v_cmp_gt_i32_e64 s[0:1], s5, v8
	v_cndmask_b32_e64 v2, v2, v7, s[0:1]
	v_perm_b32 v8, v1, v2, s8
	v_or_b32_e32 v7, 0xa00, v0
	v_lshlrev_b32_e32 v8, 16, v8
	v_and_or_b32 v8, v2, s9, v8
	v_cmp_gt_i32_e64 s[0:1], s5, v7
	v_cndmask_b32_e64 v2, v2, v8, s[0:1]
	v_perm_b32 v8, v2, v1, s10
	v_or_b32_e32 v7, 0xb00, v0
	v_lshlrev_b32_e32 v8, 16, v8
	v_and_or_b32 v8, v2, s6, v8
	v_cmp_gt_i32_e64 s[0:1], s5, v7
	v_or_b32_e32 v7, 0xc00, v0
	v_cndmask_b32_e64 v2, v2, v8, s[0:1]
	v_cmp_gt_i32_e64 s[0:1], s5, v7
	v_cndmask_b32_e64 v6, 0, v6, s[0:1]
	v_or_b32_e32 v8, 0xd00, v0
	v_perm_b32 v7, v6, v1, s7
	v_cmp_gt_i32_e64 s[0:1], s5, v8
	v_cndmask_b32_e64 v6, v6, v7, s[0:1]
	v_or_b32_e32 v7, 0xe00, v0
	v_perm_b32 v8, v6, v1, s11
	;; [unrolled: 4-line block ×3, first 2 shown]
	v_cmp_gt_i32_e64 s[0:1], s5, v7
	v_cndmask_b32_e64 v1, v6, v1, s[0:1]
	s_and_saveexec_b64 s[0:1], vcc
	s_cbranch_execnz .LBB88_21
; %bb.4:
	s_or_b64 exec, exec, s[0:1]
	v_cmp_gt_i32_e32 vcc, s5, v0
	s_and_saveexec_b64 s[0:1], vcc
	s_cbranch_execnz .LBB88_22
.LBB88_5:
	s_or_b64 exec, exec, s[0:1]
	v_cmp_gt_i32_e32 vcc, s5, v0
	s_and_saveexec_b64 s[0:1], vcc
	s_cbranch_execnz .LBB88_23
.LBB88_6:
	s_or_b64 exec, exec, s[0:1]
	v_cmp_gt_i32_e32 vcc, s5, v0
	s_and_saveexec_b64 s[0:1], vcc
	s_cbranch_execnz .LBB88_24
.LBB88_7:
	s_or_b64 exec, exec, s[0:1]
	v_cmp_gt_i32_e32 vcc, s5, v0
	s_and_saveexec_b64 s[0:1], vcc
	s_cbranch_execnz .LBB88_25
.LBB88_8:
	s_or_b64 exec, exec, s[0:1]
	v_cmp_gt_i32_e32 vcc, s5, v0
	s_and_saveexec_b64 s[0:1], vcc
	s_cbranch_execnz .LBB88_26
.LBB88_9:
	s_or_b64 exec, exec, s[0:1]
	v_cmp_gt_i32_e32 vcc, s5, v0
	s_and_saveexec_b64 s[0:1], vcc
	s_cbranch_execnz .LBB88_27
.LBB88_10:
	s_or_b64 exec, exec, s[0:1]
	v_cmp_gt_i32_e32 vcc, s5, v0
	s_and_saveexec_b64 s[0:1], vcc
	s_cbranch_execnz .LBB88_28
.LBB88_11:
	s_or_b64 exec, exec, s[0:1]
	v_cmp_gt_i32_e32 vcc, s5, v0
	s_and_saveexec_b64 s[0:1], vcc
	s_cbranch_execnz .LBB88_29
.LBB88_12:
	s_or_b64 exec, exec, s[0:1]
	v_cmp_gt_i32_e32 vcc, s5, v0
	s_and_saveexec_b64 s[0:1], vcc
	s_cbranch_execnz .LBB88_30
.LBB88_13:
	s_or_b64 exec, exec, s[0:1]
	v_cmp_gt_i32_e32 vcc, s5, v0
	s_and_saveexec_b64 s[0:1], vcc
	s_cbranch_execnz .LBB88_31
.LBB88_14:
	s_or_b64 exec, exec, s[0:1]
	v_cmp_gt_i32_e32 vcc, s5, v0
	s_and_saveexec_b64 s[0:1], vcc
	s_cbranch_execnz .LBB88_32
.LBB88_15:
	s_or_b64 exec, exec, s[0:1]
	v_cmp_gt_i32_e32 vcc, s5, v0
	s_and_saveexec_b64 s[0:1], vcc
	s_cbranch_execnz .LBB88_33
.LBB88_16:
	s_or_b64 exec, exec, s[0:1]
	v_cmp_gt_i32_e32 vcc, s5, v0
	s_and_saveexec_b64 s[0:1], vcc
	s_cbranch_execnz .LBB88_34
.LBB88_17:
	s_or_b64 exec, exec, s[0:1]
	v_cmp_gt_i32_e32 vcc, s5, v0
	s_and_saveexec_b64 s[0:1], vcc
	s_cbranch_execnz .LBB88_35
.LBB88_18:
	s_or_b64 exec, exec, s[0:1]
	v_cmp_gt_i32_e32 vcc, s5, v0
	s_and_saveexec_b64 s[0:1], vcc
	s_cbranch_execz .LBB88_20
.LBB88_19:
	v_lshrrev_b32_e32 v1, 24, v1
	v_add_u32_e32 v0, s4, v0
	global_store_byte v0, v1, s[2:3]
.LBB88_20:
	s_endpgm
.LBB88_21:
	v_or_b32_e32 v0, s4, v0
	global_store_byte v0, v4, s[2:3]
	v_mov_b32_e32 v0, v5
	s_or_b64 exec, exec, s[0:1]
	v_cmp_gt_i32_e32 vcc, s5, v0
	s_and_saveexec_b64 s[0:1], vcc
	s_cbranch_execz .LBB88_5
.LBB88_22:
	v_lshrrev_b32_e32 v5, 8, v4
	v_add_u32_e32 v6, s4, v0
	v_add_u32_e32 v0, 0x100, v0
	global_store_byte v6, v5, s[2:3]
	s_or_b64 exec, exec, s[0:1]
	v_cmp_gt_i32_e32 vcc, s5, v0
	s_and_saveexec_b64 s[0:1], vcc
	s_cbranch_execz .LBB88_6
.LBB88_23:
	v_add_u32_e32 v5, s4, v0
	v_add_u32_e32 v0, 0x100, v0
	global_store_byte_d16_hi v5, v4, s[2:3]
	s_or_b64 exec, exec, s[0:1]
	v_cmp_gt_i32_e32 vcc, s5, v0
	s_and_saveexec_b64 s[0:1], vcc
	s_cbranch_execz .LBB88_7
.LBB88_24:
	v_lshrrev_b32_e32 v4, 24, v4
	v_add_u32_e32 v5, s4, v0
	v_add_u32_e32 v0, 0x100, v0
	global_store_byte v5, v4, s[2:3]
	s_or_b64 exec, exec, s[0:1]
	v_cmp_gt_i32_e32 vcc, s5, v0
	s_and_saveexec_b64 s[0:1], vcc
	s_cbranch_execz .LBB88_8
.LBB88_25:
	v_add_u32_e32 v4, s4, v0
	v_add_u32_e32 v0, 0x100, v0
	global_store_byte v4, v3, s[2:3]
	s_or_b64 exec, exec, s[0:1]
	v_cmp_gt_i32_e32 vcc, s5, v0
	s_and_saveexec_b64 s[0:1], vcc
	s_cbranch_execz .LBB88_9
.LBB88_26:
	v_lshrrev_b32_e32 v4, 8, v3
	v_add_u32_e32 v5, s4, v0
	v_add_u32_e32 v0, 0x100, v0
	global_store_byte v5, v4, s[2:3]
	s_or_b64 exec, exec, s[0:1]
	v_cmp_gt_i32_e32 vcc, s5, v0
	s_and_saveexec_b64 s[0:1], vcc
	s_cbranch_execz .LBB88_10
.LBB88_27:
	v_add_u32_e32 v4, s4, v0
	v_add_u32_e32 v0, 0x100, v0
	global_store_byte_d16_hi v4, v3, s[2:3]
	s_or_b64 exec, exec, s[0:1]
	v_cmp_gt_i32_e32 vcc, s5, v0
	s_and_saveexec_b64 s[0:1], vcc
	s_cbranch_execz .LBB88_11
.LBB88_28:
	v_lshrrev_b32_e32 v3, 24, v3
	v_add_u32_e32 v4, s4, v0
	v_add_u32_e32 v0, 0x100, v0
	global_store_byte v4, v3, s[2:3]
	s_or_b64 exec, exec, s[0:1]
	v_cmp_gt_i32_e32 vcc, s5, v0
	s_and_saveexec_b64 s[0:1], vcc
	s_cbranch_execz .LBB88_12
.LBB88_29:
	v_add_u32_e32 v3, s4, v0
	v_add_u32_e32 v0, 0x100, v0
	global_store_byte v3, v2, s[2:3]
	s_or_b64 exec, exec, s[0:1]
	v_cmp_gt_i32_e32 vcc, s5, v0
	s_and_saveexec_b64 s[0:1], vcc
	s_cbranch_execz .LBB88_13
.LBB88_30:
	v_lshrrev_b32_e32 v3, 8, v2
	v_add_u32_e32 v4, s4, v0
	v_add_u32_e32 v0, 0x100, v0
	global_store_byte v4, v3, s[2:3]
	s_or_b64 exec, exec, s[0:1]
	v_cmp_gt_i32_e32 vcc, s5, v0
	s_and_saveexec_b64 s[0:1], vcc
	s_cbranch_execz .LBB88_14
.LBB88_31:
	v_add_u32_e32 v3, s4, v0
	v_add_u32_e32 v0, 0x100, v0
	global_store_byte_d16_hi v3, v2, s[2:3]
	s_or_b64 exec, exec, s[0:1]
	v_cmp_gt_i32_e32 vcc, s5, v0
	s_and_saveexec_b64 s[0:1], vcc
	s_cbranch_execz .LBB88_15
.LBB88_32:
	v_lshrrev_b32_e32 v2, 24, v2
	v_add_u32_e32 v3, s4, v0
	v_add_u32_e32 v0, 0x100, v0
	global_store_byte v3, v2, s[2:3]
	s_or_b64 exec, exec, s[0:1]
	v_cmp_gt_i32_e32 vcc, s5, v0
	s_and_saveexec_b64 s[0:1], vcc
	s_cbranch_execz .LBB88_16
.LBB88_33:
	v_add_u32_e32 v2, s4, v0
	v_add_u32_e32 v0, 0x100, v0
	global_store_byte v2, v1, s[2:3]
	s_or_b64 exec, exec, s[0:1]
	v_cmp_gt_i32_e32 vcc, s5, v0
	s_and_saveexec_b64 s[0:1], vcc
	s_cbranch_execz .LBB88_17
.LBB88_34:
	v_lshrrev_b32_e32 v2, 8, v1
	v_add_u32_e32 v3, s4, v0
	v_add_u32_e32 v0, 0x100, v0
	global_store_byte v3, v2, s[2:3]
	s_or_b64 exec, exec, s[0:1]
	v_cmp_gt_i32_e32 vcc, s5, v0
	s_and_saveexec_b64 s[0:1], vcc
	s_cbranch_execz .LBB88_18
.LBB88_35:
	v_add_u32_e32 v2, s4, v0
	v_add_u32_e32 v0, 0x100, v0
	global_store_byte_d16_hi v2, v1, s[2:3]
	s_or_b64 exec, exec, s[0:1]
	v_cmp_gt_i32_e32 vcc, s5, v0
	s_and_saveexec_b64 s[0:1], vcc
	s_cbranch_execnz .LBB88_19
	s_branch .LBB88_20
	.section	.rodata,"a",@progbits
	.p2align	6, 0x0
	.amdhsa_kernel _ZN2at6native29vectorized_elementwise_kernelILi16ENS0_11FillFunctorIbEESt5arrayIPcLm1EEEEviT0_T1_
		.amdhsa_group_segment_fixed_size 1024
		.amdhsa_private_segment_fixed_size 0
		.amdhsa_kernarg_size 16
		.amdhsa_user_sgpr_count 8
		.amdhsa_user_sgpr_private_segment_buffer 1
		.amdhsa_user_sgpr_dispatch_ptr 1
		.amdhsa_user_sgpr_queue_ptr 0
		.amdhsa_user_sgpr_kernarg_segment_ptr 1
		.amdhsa_user_sgpr_dispatch_id 0
		.amdhsa_user_sgpr_flat_scratch_init 0
		.amdhsa_user_sgpr_private_segment_size 0
		.amdhsa_uses_dynamic_stack 0
		.amdhsa_system_sgpr_private_segment_wavefront_offset 0
		.amdhsa_system_sgpr_workgroup_id_x 1
		.amdhsa_system_sgpr_workgroup_id_y 0
		.amdhsa_system_sgpr_workgroup_id_z 0
		.amdhsa_system_sgpr_workgroup_info 0
		.amdhsa_system_vgpr_workitem_id 2
		.amdhsa_next_free_vgpr 9
		.amdhsa_next_free_sgpr 13
		.amdhsa_reserve_vcc 1
		.amdhsa_reserve_flat_scratch 0
		.amdhsa_float_round_mode_32 0
		.amdhsa_float_round_mode_16_64 0
		.amdhsa_float_denorm_mode_32 3
		.amdhsa_float_denorm_mode_16_64 3
		.amdhsa_dx10_clamp 1
		.amdhsa_ieee_mode 1
		.amdhsa_fp16_overflow 0
		.amdhsa_exception_fp_ieee_invalid_op 0
		.amdhsa_exception_fp_denorm_src 0
		.amdhsa_exception_fp_ieee_div_zero 0
		.amdhsa_exception_fp_ieee_overflow 0
		.amdhsa_exception_fp_ieee_underflow 0
		.amdhsa_exception_fp_ieee_inexact 0
		.amdhsa_exception_int_div_zero 0
	.end_amdhsa_kernel
	.section	.text._ZN2at6native29vectorized_elementwise_kernelILi16ENS0_11FillFunctorIbEESt5arrayIPcLm1EEEEviT0_T1_,"axG",@progbits,_ZN2at6native29vectorized_elementwise_kernelILi16ENS0_11FillFunctorIbEESt5arrayIPcLm1EEEEviT0_T1_,comdat
.Lfunc_end88:
	.size	_ZN2at6native29vectorized_elementwise_kernelILi16ENS0_11FillFunctorIbEESt5arrayIPcLm1EEEEviT0_T1_, .Lfunc_end88-_ZN2at6native29vectorized_elementwise_kernelILi16ENS0_11FillFunctorIbEESt5arrayIPcLm1EEEEviT0_T1_
                                        ; -- End function
	.set _ZN2at6native29vectorized_elementwise_kernelILi16ENS0_11FillFunctorIbEESt5arrayIPcLm1EEEEviT0_T1_.num_vgpr, 9
	.set _ZN2at6native29vectorized_elementwise_kernelILi16ENS0_11FillFunctorIbEESt5arrayIPcLm1EEEEviT0_T1_.num_agpr, 0
	.set _ZN2at6native29vectorized_elementwise_kernelILi16ENS0_11FillFunctorIbEESt5arrayIPcLm1EEEEviT0_T1_.numbered_sgpr, 13
	.set _ZN2at6native29vectorized_elementwise_kernelILi16ENS0_11FillFunctorIbEESt5arrayIPcLm1EEEEviT0_T1_.num_named_barrier, 0
	.set _ZN2at6native29vectorized_elementwise_kernelILi16ENS0_11FillFunctorIbEESt5arrayIPcLm1EEEEviT0_T1_.private_seg_size, 0
	.set _ZN2at6native29vectorized_elementwise_kernelILi16ENS0_11FillFunctorIbEESt5arrayIPcLm1EEEEviT0_T1_.uses_vcc, 1
	.set _ZN2at6native29vectorized_elementwise_kernelILi16ENS0_11FillFunctorIbEESt5arrayIPcLm1EEEEviT0_T1_.uses_flat_scratch, 0
	.set _ZN2at6native29vectorized_elementwise_kernelILi16ENS0_11FillFunctorIbEESt5arrayIPcLm1EEEEviT0_T1_.has_dyn_sized_stack, 0
	.set _ZN2at6native29vectorized_elementwise_kernelILi16ENS0_11FillFunctorIbEESt5arrayIPcLm1EEEEviT0_T1_.has_recursion, 0
	.set _ZN2at6native29vectorized_elementwise_kernelILi16ENS0_11FillFunctorIbEESt5arrayIPcLm1EEEEviT0_T1_.has_indirect_call, 0
	.section	.AMDGPU.csdata,"",@progbits
; Kernel info:
; codeLenInByte = 1636
; TotalNumSgprs: 17
; NumVgprs: 9
; ScratchSize: 0
; MemoryBound: 0
; FloatMode: 240
; IeeeMode: 1
; LDSByteSize: 1024 bytes/workgroup (compile time only)
; SGPRBlocks: 2
; VGPRBlocks: 2
; NumSGPRsForWavesPerEU: 17
; NumVGPRsForWavesPerEU: 9
; Occupancy: 10
; WaveLimiterHint : 0
; COMPUTE_PGM_RSRC2:SCRATCH_EN: 0
; COMPUTE_PGM_RSRC2:USER_SGPR: 8
; COMPUTE_PGM_RSRC2:TRAP_HANDLER: 0
; COMPUTE_PGM_RSRC2:TGID_X_EN: 1
; COMPUTE_PGM_RSRC2:TGID_Y_EN: 0
; COMPUTE_PGM_RSRC2:TGID_Z_EN: 0
; COMPUTE_PGM_RSRC2:TIDIG_COMP_CNT: 2
	.section	.text._ZN2at6native29vectorized_elementwise_kernelILi8ENS0_11FillFunctorIbEESt5arrayIPcLm1EEEEviT0_T1_,"axG",@progbits,_ZN2at6native29vectorized_elementwise_kernelILi8ENS0_11FillFunctorIbEESt5arrayIPcLm1EEEEviT0_T1_,comdat
	.protected	_ZN2at6native29vectorized_elementwise_kernelILi8ENS0_11FillFunctorIbEESt5arrayIPcLm1EEEEviT0_T1_ ; -- Begin function _ZN2at6native29vectorized_elementwise_kernelILi8ENS0_11FillFunctorIbEESt5arrayIPcLm1EEEEviT0_T1_
	.globl	_ZN2at6native29vectorized_elementwise_kernelILi8ENS0_11FillFunctorIbEESt5arrayIPcLm1EEEEviT0_T1_
	.p2align	8
	.type	_ZN2at6native29vectorized_elementwise_kernelILi8ENS0_11FillFunctorIbEESt5arrayIPcLm1EEEEviT0_T1_,@function
_ZN2at6native29vectorized_elementwise_kernelILi8ENS0_11FillFunctorIbEESt5arrayIPcLm1EEEEviT0_T1_: ; @_ZN2at6native29vectorized_elementwise_kernelILi8ENS0_11FillFunctorIbEESt5arrayIPcLm1EEEEviT0_T1_
; %bb.0:
	s_load_dwordx2 s[10:11], s[4:5], 0x4
	s_load_dwordx4 s[0:3], s[6:7], 0x0
	s_waitcnt lgkmcnt(0)
	s_lshr_b32 s4, s10, 16
	s_mul_i32 s4, s4, s11
	v_mul_lo_u32 v3, s4, v0
	v_mul_u32_u24_e32 v1, s11, v1
	s_and_b32 s1, s1, 1
	s_lshl_b32 s4, s8, 12
	v_add3_u32 v1, v3, v1, v2
	v_mov_b32_e32 v2, s1
	ds_write_b8 v1, v2
	ds_read_u8 v2, v1
	s_sub_i32 s5, s0, s4
	s_cmpk_gt_i32 s5, 0xfff
	s_mov_b64 s[0:1], -1
	s_waitcnt lgkmcnt(0)
	v_and_b32_e32 v2, 1, v2
	v_cmp_eq_u32_e32 vcc, 1, v2
	ds_write_b8 v1, v2 offset:256
	v_cndmask_b32_e64 v2, 0, 1, vcc
	s_cbranch_scc0 .LBB89_2
; %bb.1:
	s_mov_b32 s0, 0x4040404
	s_ashr_i32 s1, s4, 31
	v_perm_b32 v3, v2, v2, s0
	s_add_u32 s0, s2, s4
	v_mov_b32_e32 v4, v3
	s_addc_u32 s1, s3, s1
	v_lshlrev_b32_e32 v5, 3, v0
	ds_write_b8 v1, v2 offset:512
	global_store_dwordx2 v5, v[3:4], s[0:1]
	global_store_dwordx2 v5, v[3:4], s[0:1] offset:2048
	s_mov_b64 s[0:1], 0
.LBB89_2:
	s_andn2_b64 vcc, exec, s[0:1]
	s_cbranch_vccnz .LBB89_20
; %bb.3:
	ds_write_b8 v1, v2 offset:768
	ds_read_u8 v1, v1 offset:768
	v_cmp_gt_i32_e32 vcc, s5, v0
	s_mov_b32 s7, 0x7060004
	v_or_b32_e32 v5, 0x100, v0
	v_cmp_gt_i32_e64 s[0:1], s5, v5
	s_waitcnt lgkmcnt(0)
	v_and_b32_e32 v2, 0xffff, v1
	v_cndmask_b32_e32 v3, 0, v2, vcc
	v_perm_b32 v4, v3, v1, s7
	v_cndmask_b32_e64 v3, v3, v4, s[0:1]
	s_mov_b32 s8, 0xc0c0304
	v_perm_b32 v6, v1, v3, s8
	v_or_b32_e32 v4, 0x200, v0
	v_lshlrev_b32_e32 v6, 16, v6
	s_movk_i32 s9, 0x1ff
	v_and_or_b32 v6, v3, s9, v6
	v_cmp_gt_i32_e64 s[0:1], s5, v4
	v_cndmask_b32_e64 v3, v3, v6, s[0:1]
	s_mov_b32 s10, 0xc0c0006
	v_perm_b32 v6, v3, v1, s10
	s_mov_b32 s6, 0xffff
	v_or_b32_e32 v4, 0x300, v0
	v_lshlrev_b32_e32 v6, 16, v6
	v_and_or_b32 v6, v3, s6, v6
	v_cmp_gt_i32_e64 s[0:1], s5, v4
	v_cndmask_b32_e64 v4, v3, v6, s[0:1]
	s_mov_b32 s0, 0x3020104
	v_or_b32_e32 v3, 0x400, v0
	v_perm_b32 v6, v1, 0, s0
	v_cmp_gt_i32_e64 s[0:1], s5, v3
	v_cndmask_b32_e64 v3, 0, v6, s[0:1]
	v_or_b32_e32 v8, 0x500, v0
	v_perm_b32 v7, v3, v1, s7
	v_cmp_gt_i32_e64 s[0:1], s5, v8
	v_cndmask_b32_e64 v3, v3, v7, s[0:1]
	v_or_b32_e32 v7, 0x600, v0
	s_mov_b32 s11, 0x7000504
	v_perm_b32 v8, v3, v1, s11
	v_cmp_gt_i32_e64 s[0:1], s5, v7
	v_cndmask_b32_e64 v3, v3, v8, s[0:1]
	v_or_b32_e32 v7, 0x700, v0
	s_mov_b32 s12, 0x60504
	v_perm_b32 v8, v3, v1, s12
	v_cmp_gt_i32_e64 s[0:1], s5, v7
	v_or_b32_e32 v7, 0x800, v0
	v_cndmask_b32_e64 v3, v3, v8, s[0:1]
	v_cmp_gt_i32_e64 s[0:1], s5, v7
	v_cndmask_b32_e64 v2, 0, v2, s[0:1]
	v_or_b32_e32 v8, 0x900, v0
	v_perm_b32 v7, v2, v1, s7
	v_cmp_gt_i32_e64 s[0:1], s5, v8
	v_cndmask_b32_e64 v2, v2, v7, s[0:1]
	v_perm_b32 v8, v1, v2, s8
	v_or_b32_e32 v7, 0xa00, v0
	v_lshlrev_b32_e32 v8, 16, v8
	v_and_or_b32 v8, v2, s9, v8
	v_cmp_gt_i32_e64 s[0:1], s5, v7
	v_cndmask_b32_e64 v2, v2, v8, s[0:1]
	v_perm_b32 v8, v2, v1, s10
	v_or_b32_e32 v7, 0xb00, v0
	v_lshlrev_b32_e32 v8, 16, v8
	v_and_or_b32 v8, v2, s6, v8
	v_cmp_gt_i32_e64 s[0:1], s5, v7
	v_or_b32_e32 v7, 0xc00, v0
	v_cndmask_b32_e64 v2, v2, v8, s[0:1]
	v_cmp_gt_i32_e64 s[0:1], s5, v7
	v_cndmask_b32_e64 v6, 0, v6, s[0:1]
	v_or_b32_e32 v8, 0xd00, v0
	v_perm_b32 v7, v6, v1, s7
	v_cmp_gt_i32_e64 s[0:1], s5, v8
	v_cndmask_b32_e64 v6, v6, v7, s[0:1]
	v_or_b32_e32 v7, 0xe00, v0
	v_perm_b32 v8, v6, v1, s11
	;; [unrolled: 4-line block ×3, first 2 shown]
	v_cmp_gt_i32_e64 s[0:1], s5, v7
	v_cndmask_b32_e64 v1, v6, v1, s[0:1]
	s_and_saveexec_b64 s[0:1], vcc
	s_cbranch_execnz .LBB89_21
; %bb.4:
	s_or_b64 exec, exec, s[0:1]
	v_cmp_gt_i32_e32 vcc, s5, v0
	s_and_saveexec_b64 s[0:1], vcc
	s_cbranch_execnz .LBB89_22
.LBB89_5:
	s_or_b64 exec, exec, s[0:1]
	v_cmp_gt_i32_e32 vcc, s5, v0
	s_and_saveexec_b64 s[0:1], vcc
	s_cbranch_execnz .LBB89_23
.LBB89_6:
	s_or_b64 exec, exec, s[0:1]
	v_cmp_gt_i32_e32 vcc, s5, v0
	s_and_saveexec_b64 s[0:1], vcc
	s_cbranch_execnz .LBB89_24
.LBB89_7:
	s_or_b64 exec, exec, s[0:1]
	v_cmp_gt_i32_e32 vcc, s5, v0
	s_and_saveexec_b64 s[0:1], vcc
	s_cbranch_execnz .LBB89_25
.LBB89_8:
	s_or_b64 exec, exec, s[0:1]
	v_cmp_gt_i32_e32 vcc, s5, v0
	s_and_saveexec_b64 s[0:1], vcc
	s_cbranch_execnz .LBB89_26
.LBB89_9:
	s_or_b64 exec, exec, s[0:1]
	v_cmp_gt_i32_e32 vcc, s5, v0
	s_and_saveexec_b64 s[0:1], vcc
	s_cbranch_execnz .LBB89_27
.LBB89_10:
	s_or_b64 exec, exec, s[0:1]
	v_cmp_gt_i32_e32 vcc, s5, v0
	s_and_saveexec_b64 s[0:1], vcc
	s_cbranch_execnz .LBB89_28
.LBB89_11:
	s_or_b64 exec, exec, s[0:1]
	v_cmp_gt_i32_e32 vcc, s5, v0
	s_and_saveexec_b64 s[0:1], vcc
	s_cbranch_execnz .LBB89_29
.LBB89_12:
	s_or_b64 exec, exec, s[0:1]
	v_cmp_gt_i32_e32 vcc, s5, v0
	s_and_saveexec_b64 s[0:1], vcc
	s_cbranch_execnz .LBB89_30
.LBB89_13:
	s_or_b64 exec, exec, s[0:1]
	v_cmp_gt_i32_e32 vcc, s5, v0
	s_and_saveexec_b64 s[0:1], vcc
	s_cbranch_execnz .LBB89_31
.LBB89_14:
	s_or_b64 exec, exec, s[0:1]
	v_cmp_gt_i32_e32 vcc, s5, v0
	s_and_saveexec_b64 s[0:1], vcc
	s_cbranch_execnz .LBB89_32
.LBB89_15:
	s_or_b64 exec, exec, s[0:1]
	v_cmp_gt_i32_e32 vcc, s5, v0
	s_and_saveexec_b64 s[0:1], vcc
	s_cbranch_execnz .LBB89_33
.LBB89_16:
	s_or_b64 exec, exec, s[0:1]
	v_cmp_gt_i32_e32 vcc, s5, v0
	s_and_saveexec_b64 s[0:1], vcc
	s_cbranch_execnz .LBB89_34
.LBB89_17:
	s_or_b64 exec, exec, s[0:1]
	v_cmp_gt_i32_e32 vcc, s5, v0
	s_and_saveexec_b64 s[0:1], vcc
	s_cbranch_execnz .LBB89_35
.LBB89_18:
	s_or_b64 exec, exec, s[0:1]
	v_cmp_gt_i32_e32 vcc, s5, v0
	s_and_saveexec_b64 s[0:1], vcc
	s_cbranch_execz .LBB89_20
.LBB89_19:
	v_lshrrev_b32_e32 v1, 24, v1
	v_add_u32_e32 v0, s4, v0
	global_store_byte v0, v1, s[2:3]
.LBB89_20:
	s_endpgm
.LBB89_21:
	v_or_b32_e32 v0, s4, v0
	global_store_byte v0, v4, s[2:3]
	v_mov_b32_e32 v0, v5
	s_or_b64 exec, exec, s[0:1]
	v_cmp_gt_i32_e32 vcc, s5, v0
	s_and_saveexec_b64 s[0:1], vcc
	s_cbranch_execz .LBB89_5
.LBB89_22:
	v_lshrrev_b32_e32 v5, 8, v4
	v_add_u32_e32 v6, s4, v0
	v_add_u32_e32 v0, 0x100, v0
	global_store_byte v6, v5, s[2:3]
	s_or_b64 exec, exec, s[0:1]
	v_cmp_gt_i32_e32 vcc, s5, v0
	s_and_saveexec_b64 s[0:1], vcc
	s_cbranch_execz .LBB89_6
.LBB89_23:
	v_add_u32_e32 v5, s4, v0
	v_add_u32_e32 v0, 0x100, v0
	global_store_byte_d16_hi v5, v4, s[2:3]
	s_or_b64 exec, exec, s[0:1]
	v_cmp_gt_i32_e32 vcc, s5, v0
	s_and_saveexec_b64 s[0:1], vcc
	s_cbranch_execz .LBB89_7
.LBB89_24:
	v_lshrrev_b32_e32 v4, 24, v4
	v_add_u32_e32 v5, s4, v0
	v_add_u32_e32 v0, 0x100, v0
	global_store_byte v5, v4, s[2:3]
	s_or_b64 exec, exec, s[0:1]
	v_cmp_gt_i32_e32 vcc, s5, v0
	s_and_saveexec_b64 s[0:1], vcc
	s_cbranch_execz .LBB89_8
.LBB89_25:
	v_add_u32_e32 v4, s4, v0
	v_add_u32_e32 v0, 0x100, v0
	global_store_byte v4, v3, s[2:3]
	s_or_b64 exec, exec, s[0:1]
	v_cmp_gt_i32_e32 vcc, s5, v0
	s_and_saveexec_b64 s[0:1], vcc
	s_cbranch_execz .LBB89_9
.LBB89_26:
	v_lshrrev_b32_e32 v4, 8, v3
	v_add_u32_e32 v5, s4, v0
	v_add_u32_e32 v0, 0x100, v0
	global_store_byte v5, v4, s[2:3]
	s_or_b64 exec, exec, s[0:1]
	v_cmp_gt_i32_e32 vcc, s5, v0
	s_and_saveexec_b64 s[0:1], vcc
	s_cbranch_execz .LBB89_10
.LBB89_27:
	v_add_u32_e32 v4, s4, v0
	v_add_u32_e32 v0, 0x100, v0
	global_store_byte_d16_hi v4, v3, s[2:3]
	s_or_b64 exec, exec, s[0:1]
	v_cmp_gt_i32_e32 vcc, s5, v0
	s_and_saveexec_b64 s[0:1], vcc
	s_cbranch_execz .LBB89_11
.LBB89_28:
	v_lshrrev_b32_e32 v3, 24, v3
	v_add_u32_e32 v4, s4, v0
	v_add_u32_e32 v0, 0x100, v0
	global_store_byte v4, v3, s[2:3]
	s_or_b64 exec, exec, s[0:1]
	v_cmp_gt_i32_e32 vcc, s5, v0
	s_and_saveexec_b64 s[0:1], vcc
	s_cbranch_execz .LBB89_12
.LBB89_29:
	v_add_u32_e32 v3, s4, v0
	v_add_u32_e32 v0, 0x100, v0
	global_store_byte v3, v2, s[2:3]
	s_or_b64 exec, exec, s[0:1]
	v_cmp_gt_i32_e32 vcc, s5, v0
	s_and_saveexec_b64 s[0:1], vcc
	s_cbranch_execz .LBB89_13
.LBB89_30:
	v_lshrrev_b32_e32 v3, 8, v2
	v_add_u32_e32 v4, s4, v0
	v_add_u32_e32 v0, 0x100, v0
	global_store_byte v4, v3, s[2:3]
	s_or_b64 exec, exec, s[0:1]
	v_cmp_gt_i32_e32 vcc, s5, v0
	s_and_saveexec_b64 s[0:1], vcc
	s_cbranch_execz .LBB89_14
.LBB89_31:
	v_add_u32_e32 v3, s4, v0
	v_add_u32_e32 v0, 0x100, v0
	global_store_byte_d16_hi v3, v2, s[2:3]
	s_or_b64 exec, exec, s[0:1]
	v_cmp_gt_i32_e32 vcc, s5, v0
	s_and_saveexec_b64 s[0:1], vcc
	s_cbranch_execz .LBB89_15
.LBB89_32:
	v_lshrrev_b32_e32 v2, 24, v2
	v_add_u32_e32 v3, s4, v0
	v_add_u32_e32 v0, 0x100, v0
	global_store_byte v3, v2, s[2:3]
	s_or_b64 exec, exec, s[0:1]
	v_cmp_gt_i32_e32 vcc, s5, v0
	s_and_saveexec_b64 s[0:1], vcc
	s_cbranch_execz .LBB89_16
.LBB89_33:
	v_add_u32_e32 v2, s4, v0
	v_add_u32_e32 v0, 0x100, v0
	global_store_byte v2, v1, s[2:3]
	s_or_b64 exec, exec, s[0:1]
	v_cmp_gt_i32_e32 vcc, s5, v0
	s_and_saveexec_b64 s[0:1], vcc
	s_cbranch_execz .LBB89_17
.LBB89_34:
	v_lshrrev_b32_e32 v2, 8, v1
	v_add_u32_e32 v3, s4, v0
	v_add_u32_e32 v0, 0x100, v0
	global_store_byte v3, v2, s[2:3]
	s_or_b64 exec, exec, s[0:1]
	v_cmp_gt_i32_e32 vcc, s5, v0
	s_and_saveexec_b64 s[0:1], vcc
	s_cbranch_execz .LBB89_18
.LBB89_35:
	v_add_u32_e32 v2, s4, v0
	v_add_u32_e32 v0, 0x100, v0
	global_store_byte_d16_hi v2, v1, s[2:3]
	s_or_b64 exec, exec, s[0:1]
	v_cmp_gt_i32_e32 vcc, s5, v0
	s_and_saveexec_b64 s[0:1], vcc
	s_cbranch_execnz .LBB89_19
	s_branch .LBB89_20
	.section	.rodata,"a",@progbits
	.p2align	6, 0x0
	.amdhsa_kernel _ZN2at6native29vectorized_elementwise_kernelILi8ENS0_11FillFunctorIbEESt5arrayIPcLm1EEEEviT0_T1_
		.amdhsa_group_segment_fixed_size 1024
		.amdhsa_private_segment_fixed_size 0
		.amdhsa_kernarg_size 16
		.amdhsa_user_sgpr_count 8
		.amdhsa_user_sgpr_private_segment_buffer 1
		.amdhsa_user_sgpr_dispatch_ptr 1
		.amdhsa_user_sgpr_queue_ptr 0
		.amdhsa_user_sgpr_kernarg_segment_ptr 1
		.amdhsa_user_sgpr_dispatch_id 0
		.amdhsa_user_sgpr_flat_scratch_init 0
		.amdhsa_user_sgpr_private_segment_size 0
		.amdhsa_uses_dynamic_stack 0
		.amdhsa_system_sgpr_private_segment_wavefront_offset 0
		.amdhsa_system_sgpr_workgroup_id_x 1
		.amdhsa_system_sgpr_workgroup_id_y 0
		.amdhsa_system_sgpr_workgroup_id_z 0
		.amdhsa_system_sgpr_workgroup_info 0
		.amdhsa_system_vgpr_workitem_id 2
		.amdhsa_next_free_vgpr 9
		.amdhsa_next_free_sgpr 13
		.amdhsa_reserve_vcc 1
		.amdhsa_reserve_flat_scratch 0
		.amdhsa_float_round_mode_32 0
		.amdhsa_float_round_mode_16_64 0
		.amdhsa_float_denorm_mode_32 3
		.amdhsa_float_denorm_mode_16_64 3
		.amdhsa_dx10_clamp 1
		.amdhsa_ieee_mode 1
		.amdhsa_fp16_overflow 0
		.amdhsa_exception_fp_ieee_invalid_op 0
		.amdhsa_exception_fp_denorm_src 0
		.amdhsa_exception_fp_ieee_div_zero 0
		.amdhsa_exception_fp_ieee_overflow 0
		.amdhsa_exception_fp_ieee_underflow 0
		.amdhsa_exception_fp_ieee_inexact 0
		.amdhsa_exception_int_div_zero 0
	.end_amdhsa_kernel
	.section	.text._ZN2at6native29vectorized_elementwise_kernelILi8ENS0_11FillFunctorIbEESt5arrayIPcLm1EEEEviT0_T1_,"axG",@progbits,_ZN2at6native29vectorized_elementwise_kernelILi8ENS0_11FillFunctorIbEESt5arrayIPcLm1EEEEviT0_T1_,comdat
.Lfunc_end89:
	.size	_ZN2at6native29vectorized_elementwise_kernelILi8ENS0_11FillFunctorIbEESt5arrayIPcLm1EEEEviT0_T1_, .Lfunc_end89-_ZN2at6native29vectorized_elementwise_kernelILi8ENS0_11FillFunctorIbEESt5arrayIPcLm1EEEEviT0_T1_
                                        ; -- End function
	.set _ZN2at6native29vectorized_elementwise_kernelILi8ENS0_11FillFunctorIbEESt5arrayIPcLm1EEEEviT0_T1_.num_vgpr, 9
	.set _ZN2at6native29vectorized_elementwise_kernelILi8ENS0_11FillFunctorIbEESt5arrayIPcLm1EEEEviT0_T1_.num_agpr, 0
	.set _ZN2at6native29vectorized_elementwise_kernelILi8ENS0_11FillFunctorIbEESt5arrayIPcLm1EEEEviT0_T1_.numbered_sgpr, 13
	.set _ZN2at6native29vectorized_elementwise_kernelILi8ENS0_11FillFunctorIbEESt5arrayIPcLm1EEEEviT0_T1_.num_named_barrier, 0
	.set _ZN2at6native29vectorized_elementwise_kernelILi8ENS0_11FillFunctorIbEESt5arrayIPcLm1EEEEviT0_T1_.private_seg_size, 0
	.set _ZN2at6native29vectorized_elementwise_kernelILi8ENS0_11FillFunctorIbEESt5arrayIPcLm1EEEEviT0_T1_.uses_vcc, 1
	.set _ZN2at6native29vectorized_elementwise_kernelILi8ENS0_11FillFunctorIbEESt5arrayIPcLm1EEEEviT0_T1_.uses_flat_scratch, 0
	.set _ZN2at6native29vectorized_elementwise_kernelILi8ENS0_11FillFunctorIbEESt5arrayIPcLm1EEEEviT0_T1_.has_dyn_sized_stack, 0
	.set _ZN2at6native29vectorized_elementwise_kernelILi8ENS0_11FillFunctorIbEESt5arrayIPcLm1EEEEviT0_T1_.has_recursion, 0
	.set _ZN2at6native29vectorized_elementwise_kernelILi8ENS0_11FillFunctorIbEESt5arrayIPcLm1EEEEviT0_T1_.has_indirect_call, 0
	.section	.AMDGPU.csdata,"",@progbits
; Kernel info:
; codeLenInByte = 1636
; TotalNumSgprs: 17
; NumVgprs: 9
; ScratchSize: 0
; MemoryBound: 0
; FloatMode: 240
; IeeeMode: 1
; LDSByteSize: 1024 bytes/workgroup (compile time only)
; SGPRBlocks: 2
; VGPRBlocks: 2
; NumSGPRsForWavesPerEU: 17
; NumVGPRsForWavesPerEU: 9
; Occupancy: 10
; WaveLimiterHint : 1
; COMPUTE_PGM_RSRC2:SCRATCH_EN: 0
; COMPUTE_PGM_RSRC2:USER_SGPR: 8
; COMPUTE_PGM_RSRC2:TRAP_HANDLER: 0
; COMPUTE_PGM_RSRC2:TGID_X_EN: 1
; COMPUTE_PGM_RSRC2:TGID_Y_EN: 0
; COMPUTE_PGM_RSRC2:TGID_Z_EN: 0
; COMPUTE_PGM_RSRC2:TIDIG_COMP_CNT: 2
	.section	.text._ZN2at6native29vectorized_elementwise_kernelILi4ENS0_11FillFunctorIbEESt5arrayIPcLm1EEEEviT0_T1_,"axG",@progbits,_ZN2at6native29vectorized_elementwise_kernelILi4ENS0_11FillFunctorIbEESt5arrayIPcLm1EEEEviT0_T1_,comdat
	.protected	_ZN2at6native29vectorized_elementwise_kernelILi4ENS0_11FillFunctorIbEESt5arrayIPcLm1EEEEviT0_T1_ ; -- Begin function _ZN2at6native29vectorized_elementwise_kernelILi4ENS0_11FillFunctorIbEESt5arrayIPcLm1EEEEviT0_T1_
	.globl	_ZN2at6native29vectorized_elementwise_kernelILi4ENS0_11FillFunctorIbEESt5arrayIPcLm1EEEEviT0_T1_
	.p2align	8
	.type	_ZN2at6native29vectorized_elementwise_kernelILi4ENS0_11FillFunctorIbEESt5arrayIPcLm1EEEEviT0_T1_,@function
_ZN2at6native29vectorized_elementwise_kernelILi4ENS0_11FillFunctorIbEESt5arrayIPcLm1EEEEviT0_T1_: ; @_ZN2at6native29vectorized_elementwise_kernelILi4ENS0_11FillFunctorIbEESt5arrayIPcLm1EEEEviT0_T1_
; %bb.0:
	s_load_dwordx2 s[10:11], s[4:5], 0x4
	s_load_dwordx4 s[0:3], s[6:7], 0x0
	s_waitcnt lgkmcnt(0)
	s_lshr_b32 s4, s10, 16
	s_mul_i32 s4, s4, s11
	v_mul_lo_u32 v3, s4, v0
	v_mul_u32_u24_e32 v1, s11, v1
	s_and_b32 s1, s1, 1
	s_lshl_b32 s4, s8, 12
	v_add3_u32 v1, v3, v1, v2
	v_mov_b32_e32 v2, s1
	ds_write_b8 v1, v2
	ds_read_u8 v2, v1
	s_sub_i32 s5, s0, s4
	s_cmpk_gt_i32 s5, 0xfff
	s_mov_b64 s[0:1], -1
	s_waitcnt lgkmcnt(0)
	v_and_b32_e32 v2, 1, v2
	v_cmp_eq_u32_e32 vcc, 1, v2
	ds_write_b8 v1, v2 offset:256
	v_cndmask_b32_e64 v2, 0, 1, vcc
	s_cbranch_scc0 .LBB90_2
; %bb.1:
	s_mov_b32 s0, 0x4040404
	s_ashr_i32 s1, s4, 31
	v_perm_b32 v3, v2, v2, s0
	s_add_u32 s0, s2, s4
	s_addc_u32 s1, s3, s1
	v_lshlrev_b32_e32 v4, 2, v0
	ds_write_b8 v1, v2 offset:512
	global_store_dword v4, v3, s[0:1]
	global_store_dword v4, v3, s[0:1] offset:1024
	global_store_dword v4, v3, s[0:1] offset:2048
	;; [unrolled: 1-line block ×3, first 2 shown]
	s_mov_b64 s[0:1], 0
.LBB90_2:
	s_andn2_b64 vcc, exec, s[0:1]
	s_cbranch_vccnz .LBB90_20
; %bb.3:
	ds_write_b8 v1, v2 offset:768
	ds_read_u8 v1, v1 offset:768
	v_cmp_gt_i32_e32 vcc, s5, v0
	s_mov_b32 s7, 0x7060004
	v_or_b32_e32 v5, 0x100, v0
	v_cmp_gt_i32_e64 s[0:1], s5, v5
	s_waitcnt lgkmcnt(0)
	v_and_b32_e32 v2, 0xffff, v1
	v_cndmask_b32_e32 v3, 0, v2, vcc
	v_perm_b32 v4, v3, v1, s7
	v_cndmask_b32_e64 v3, v3, v4, s[0:1]
	s_mov_b32 s8, 0xc0c0304
	v_perm_b32 v6, v1, v3, s8
	v_or_b32_e32 v4, 0x200, v0
	v_lshlrev_b32_e32 v6, 16, v6
	s_movk_i32 s9, 0x1ff
	v_and_or_b32 v6, v3, s9, v6
	v_cmp_gt_i32_e64 s[0:1], s5, v4
	v_cndmask_b32_e64 v3, v3, v6, s[0:1]
	s_mov_b32 s10, 0xc0c0006
	v_perm_b32 v6, v3, v1, s10
	s_mov_b32 s6, 0xffff
	v_or_b32_e32 v4, 0x300, v0
	v_lshlrev_b32_e32 v6, 16, v6
	v_and_or_b32 v6, v3, s6, v6
	v_cmp_gt_i32_e64 s[0:1], s5, v4
	v_cndmask_b32_e64 v4, v3, v6, s[0:1]
	s_mov_b32 s0, 0x3020104
	v_or_b32_e32 v3, 0x400, v0
	v_perm_b32 v6, v1, 0, s0
	v_cmp_gt_i32_e64 s[0:1], s5, v3
	v_cndmask_b32_e64 v3, 0, v6, s[0:1]
	v_or_b32_e32 v8, 0x500, v0
	v_perm_b32 v7, v3, v1, s7
	v_cmp_gt_i32_e64 s[0:1], s5, v8
	v_cndmask_b32_e64 v3, v3, v7, s[0:1]
	v_or_b32_e32 v7, 0x600, v0
	s_mov_b32 s11, 0x7000504
	v_perm_b32 v8, v3, v1, s11
	v_cmp_gt_i32_e64 s[0:1], s5, v7
	v_cndmask_b32_e64 v3, v3, v8, s[0:1]
	v_or_b32_e32 v7, 0x700, v0
	s_mov_b32 s12, 0x60504
	v_perm_b32 v8, v3, v1, s12
	v_cmp_gt_i32_e64 s[0:1], s5, v7
	v_or_b32_e32 v7, 0x800, v0
	v_cndmask_b32_e64 v3, v3, v8, s[0:1]
	v_cmp_gt_i32_e64 s[0:1], s5, v7
	v_cndmask_b32_e64 v2, 0, v2, s[0:1]
	v_or_b32_e32 v8, 0x900, v0
	v_perm_b32 v7, v2, v1, s7
	v_cmp_gt_i32_e64 s[0:1], s5, v8
	v_cndmask_b32_e64 v2, v2, v7, s[0:1]
	v_perm_b32 v8, v1, v2, s8
	v_or_b32_e32 v7, 0xa00, v0
	v_lshlrev_b32_e32 v8, 16, v8
	v_and_or_b32 v8, v2, s9, v8
	v_cmp_gt_i32_e64 s[0:1], s5, v7
	v_cndmask_b32_e64 v2, v2, v8, s[0:1]
	v_perm_b32 v8, v2, v1, s10
	v_or_b32_e32 v7, 0xb00, v0
	v_lshlrev_b32_e32 v8, 16, v8
	v_and_or_b32 v8, v2, s6, v8
	v_cmp_gt_i32_e64 s[0:1], s5, v7
	v_or_b32_e32 v7, 0xc00, v0
	v_cndmask_b32_e64 v2, v2, v8, s[0:1]
	v_cmp_gt_i32_e64 s[0:1], s5, v7
	v_cndmask_b32_e64 v6, 0, v6, s[0:1]
	v_or_b32_e32 v8, 0xd00, v0
	v_perm_b32 v7, v6, v1, s7
	v_cmp_gt_i32_e64 s[0:1], s5, v8
	v_cndmask_b32_e64 v6, v6, v7, s[0:1]
	v_or_b32_e32 v7, 0xe00, v0
	v_perm_b32 v8, v6, v1, s11
	;; [unrolled: 4-line block ×3, first 2 shown]
	v_cmp_gt_i32_e64 s[0:1], s5, v7
	v_cndmask_b32_e64 v1, v6, v1, s[0:1]
	s_and_saveexec_b64 s[0:1], vcc
	s_cbranch_execnz .LBB90_21
; %bb.4:
	s_or_b64 exec, exec, s[0:1]
	v_cmp_gt_i32_e32 vcc, s5, v0
	s_and_saveexec_b64 s[0:1], vcc
	s_cbranch_execnz .LBB90_22
.LBB90_5:
	s_or_b64 exec, exec, s[0:1]
	v_cmp_gt_i32_e32 vcc, s5, v0
	s_and_saveexec_b64 s[0:1], vcc
	s_cbranch_execnz .LBB90_23
.LBB90_6:
	s_or_b64 exec, exec, s[0:1]
	v_cmp_gt_i32_e32 vcc, s5, v0
	s_and_saveexec_b64 s[0:1], vcc
	s_cbranch_execnz .LBB90_24
.LBB90_7:
	s_or_b64 exec, exec, s[0:1]
	v_cmp_gt_i32_e32 vcc, s5, v0
	s_and_saveexec_b64 s[0:1], vcc
	s_cbranch_execnz .LBB90_25
.LBB90_8:
	s_or_b64 exec, exec, s[0:1]
	v_cmp_gt_i32_e32 vcc, s5, v0
	s_and_saveexec_b64 s[0:1], vcc
	s_cbranch_execnz .LBB90_26
.LBB90_9:
	s_or_b64 exec, exec, s[0:1]
	v_cmp_gt_i32_e32 vcc, s5, v0
	s_and_saveexec_b64 s[0:1], vcc
	s_cbranch_execnz .LBB90_27
.LBB90_10:
	s_or_b64 exec, exec, s[0:1]
	v_cmp_gt_i32_e32 vcc, s5, v0
	s_and_saveexec_b64 s[0:1], vcc
	s_cbranch_execnz .LBB90_28
.LBB90_11:
	s_or_b64 exec, exec, s[0:1]
	v_cmp_gt_i32_e32 vcc, s5, v0
	s_and_saveexec_b64 s[0:1], vcc
	s_cbranch_execnz .LBB90_29
.LBB90_12:
	s_or_b64 exec, exec, s[0:1]
	v_cmp_gt_i32_e32 vcc, s5, v0
	s_and_saveexec_b64 s[0:1], vcc
	s_cbranch_execnz .LBB90_30
.LBB90_13:
	s_or_b64 exec, exec, s[0:1]
	v_cmp_gt_i32_e32 vcc, s5, v0
	s_and_saveexec_b64 s[0:1], vcc
	s_cbranch_execnz .LBB90_31
.LBB90_14:
	s_or_b64 exec, exec, s[0:1]
	v_cmp_gt_i32_e32 vcc, s5, v0
	s_and_saveexec_b64 s[0:1], vcc
	s_cbranch_execnz .LBB90_32
.LBB90_15:
	s_or_b64 exec, exec, s[0:1]
	v_cmp_gt_i32_e32 vcc, s5, v0
	s_and_saveexec_b64 s[0:1], vcc
	s_cbranch_execnz .LBB90_33
.LBB90_16:
	s_or_b64 exec, exec, s[0:1]
	v_cmp_gt_i32_e32 vcc, s5, v0
	s_and_saveexec_b64 s[0:1], vcc
	s_cbranch_execnz .LBB90_34
.LBB90_17:
	s_or_b64 exec, exec, s[0:1]
	v_cmp_gt_i32_e32 vcc, s5, v0
	s_and_saveexec_b64 s[0:1], vcc
	s_cbranch_execnz .LBB90_35
.LBB90_18:
	s_or_b64 exec, exec, s[0:1]
	v_cmp_gt_i32_e32 vcc, s5, v0
	s_and_saveexec_b64 s[0:1], vcc
	s_cbranch_execz .LBB90_20
.LBB90_19:
	v_lshrrev_b32_e32 v1, 24, v1
	v_add_u32_e32 v0, s4, v0
	global_store_byte v0, v1, s[2:3]
.LBB90_20:
	s_endpgm
.LBB90_21:
	v_or_b32_e32 v0, s4, v0
	global_store_byte v0, v4, s[2:3]
	v_mov_b32_e32 v0, v5
	s_or_b64 exec, exec, s[0:1]
	v_cmp_gt_i32_e32 vcc, s5, v0
	s_and_saveexec_b64 s[0:1], vcc
	s_cbranch_execz .LBB90_5
.LBB90_22:
	v_lshrrev_b32_e32 v5, 8, v4
	v_add_u32_e32 v6, s4, v0
	v_add_u32_e32 v0, 0x100, v0
	global_store_byte v6, v5, s[2:3]
	s_or_b64 exec, exec, s[0:1]
	v_cmp_gt_i32_e32 vcc, s5, v0
	s_and_saveexec_b64 s[0:1], vcc
	s_cbranch_execz .LBB90_6
.LBB90_23:
	v_add_u32_e32 v5, s4, v0
	v_add_u32_e32 v0, 0x100, v0
	global_store_byte_d16_hi v5, v4, s[2:3]
	s_or_b64 exec, exec, s[0:1]
	v_cmp_gt_i32_e32 vcc, s5, v0
	s_and_saveexec_b64 s[0:1], vcc
	s_cbranch_execz .LBB90_7
.LBB90_24:
	v_lshrrev_b32_e32 v4, 24, v4
	v_add_u32_e32 v5, s4, v0
	v_add_u32_e32 v0, 0x100, v0
	global_store_byte v5, v4, s[2:3]
	s_or_b64 exec, exec, s[0:1]
	v_cmp_gt_i32_e32 vcc, s5, v0
	s_and_saveexec_b64 s[0:1], vcc
	s_cbranch_execz .LBB90_8
.LBB90_25:
	v_add_u32_e32 v4, s4, v0
	v_add_u32_e32 v0, 0x100, v0
	global_store_byte v4, v3, s[2:3]
	s_or_b64 exec, exec, s[0:1]
	v_cmp_gt_i32_e32 vcc, s5, v0
	s_and_saveexec_b64 s[0:1], vcc
	s_cbranch_execz .LBB90_9
.LBB90_26:
	v_lshrrev_b32_e32 v4, 8, v3
	v_add_u32_e32 v5, s4, v0
	v_add_u32_e32 v0, 0x100, v0
	global_store_byte v5, v4, s[2:3]
	s_or_b64 exec, exec, s[0:1]
	v_cmp_gt_i32_e32 vcc, s5, v0
	s_and_saveexec_b64 s[0:1], vcc
	s_cbranch_execz .LBB90_10
.LBB90_27:
	v_add_u32_e32 v4, s4, v0
	v_add_u32_e32 v0, 0x100, v0
	global_store_byte_d16_hi v4, v3, s[2:3]
	s_or_b64 exec, exec, s[0:1]
	v_cmp_gt_i32_e32 vcc, s5, v0
	s_and_saveexec_b64 s[0:1], vcc
	s_cbranch_execz .LBB90_11
.LBB90_28:
	v_lshrrev_b32_e32 v3, 24, v3
	v_add_u32_e32 v4, s4, v0
	v_add_u32_e32 v0, 0x100, v0
	global_store_byte v4, v3, s[2:3]
	s_or_b64 exec, exec, s[0:1]
	v_cmp_gt_i32_e32 vcc, s5, v0
	s_and_saveexec_b64 s[0:1], vcc
	s_cbranch_execz .LBB90_12
.LBB90_29:
	v_add_u32_e32 v3, s4, v0
	v_add_u32_e32 v0, 0x100, v0
	global_store_byte v3, v2, s[2:3]
	s_or_b64 exec, exec, s[0:1]
	v_cmp_gt_i32_e32 vcc, s5, v0
	s_and_saveexec_b64 s[0:1], vcc
	s_cbranch_execz .LBB90_13
.LBB90_30:
	v_lshrrev_b32_e32 v3, 8, v2
	v_add_u32_e32 v4, s4, v0
	v_add_u32_e32 v0, 0x100, v0
	global_store_byte v4, v3, s[2:3]
	s_or_b64 exec, exec, s[0:1]
	v_cmp_gt_i32_e32 vcc, s5, v0
	s_and_saveexec_b64 s[0:1], vcc
	s_cbranch_execz .LBB90_14
.LBB90_31:
	v_add_u32_e32 v3, s4, v0
	v_add_u32_e32 v0, 0x100, v0
	global_store_byte_d16_hi v3, v2, s[2:3]
	s_or_b64 exec, exec, s[0:1]
	v_cmp_gt_i32_e32 vcc, s5, v0
	s_and_saveexec_b64 s[0:1], vcc
	s_cbranch_execz .LBB90_15
.LBB90_32:
	v_lshrrev_b32_e32 v2, 24, v2
	v_add_u32_e32 v3, s4, v0
	v_add_u32_e32 v0, 0x100, v0
	global_store_byte v3, v2, s[2:3]
	s_or_b64 exec, exec, s[0:1]
	v_cmp_gt_i32_e32 vcc, s5, v0
	s_and_saveexec_b64 s[0:1], vcc
	s_cbranch_execz .LBB90_16
.LBB90_33:
	v_add_u32_e32 v2, s4, v0
	v_add_u32_e32 v0, 0x100, v0
	global_store_byte v2, v1, s[2:3]
	s_or_b64 exec, exec, s[0:1]
	v_cmp_gt_i32_e32 vcc, s5, v0
	s_and_saveexec_b64 s[0:1], vcc
	s_cbranch_execz .LBB90_17
.LBB90_34:
	v_lshrrev_b32_e32 v2, 8, v1
	v_add_u32_e32 v3, s4, v0
	v_add_u32_e32 v0, 0x100, v0
	global_store_byte v3, v2, s[2:3]
	s_or_b64 exec, exec, s[0:1]
	v_cmp_gt_i32_e32 vcc, s5, v0
	s_and_saveexec_b64 s[0:1], vcc
	s_cbranch_execz .LBB90_18
.LBB90_35:
	v_add_u32_e32 v2, s4, v0
	v_add_u32_e32 v0, 0x100, v0
	global_store_byte_d16_hi v2, v1, s[2:3]
	s_or_b64 exec, exec, s[0:1]
	v_cmp_gt_i32_e32 vcc, s5, v0
	s_and_saveexec_b64 s[0:1], vcc
	s_cbranch_execnz .LBB90_19
	s_branch .LBB90_20
	.section	.rodata,"a",@progbits
	.p2align	6, 0x0
	.amdhsa_kernel _ZN2at6native29vectorized_elementwise_kernelILi4ENS0_11FillFunctorIbEESt5arrayIPcLm1EEEEviT0_T1_
		.amdhsa_group_segment_fixed_size 1024
		.amdhsa_private_segment_fixed_size 0
		.amdhsa_kernarg_size 16
		.amdhsa_user_sgpr_count 8
		.amdhsa_user_sgpr_private_segment_buffer 1
		.amdhsa_user_sgpr_dispatch_ptr 1
		.amdhsa_user_sgpr_queue_ptr 0
		.amdhsa_user_sgpr_kernarg_segment_ptr 1
		.amdhsa_user_sgpr_dispatch_id 0
		.amdhsa_user_sgpr_flat_scratch_init 0
		.amdhsa_user_sgpr_private_segment_size 0
		.amdhsa_uses_dynamic_stack 0
		.amdhsa_system_sgpr_private_segment_wavefront_offset 0
		.amdhsa_system_sgpr_workgroup_id_x 1
		.amdhsa_system_sgpr_workgroup_id_y 0
		.amdhsa_system_sgpr_workgroup_id_z 0
		.amdhsa_system_sgpr_workgroup_info 0
		.amdhsa_system_vgpr_workitem_id 2
		.amdhsa_next_free_vgpr 9
		.amdhsa_next_free_sgpr 13
		.amdhsa_reserve_vcc 1
		.amdhsa_reserve_flat_scratch 0
		.amdhsa_float_round_mode_32 0
		.amdhsa_float_round_mode_16_64 0
		.amdhsa_float_denorm_mode_32 3
		.amdhsa_float_denorm_mode_16_64 3
		.amdhsa_dx10_clamp 1
		.amdhsa_ieee_mode 1
		.amdhsa_fp16_overflow 0
		.amdhsa_exception_fp_ieee_invalid_op 0
		.amdhsa_exception_fp_denorm_src 0
		.amdhsa_exception_fp_ieee_div_zero 0
		.amdhsa_exception_fp_ieee_overflow 0
		.amdhsa_exception_fp_ieee_underflow 0
		.amdhsa_exception_fp_ieee_inexact 0
		.amdhsa_exception_int_div_zero 0
	.end_amdhsa_kernel
	.section	.text._ZN2at6native29vectorized_elementwise_kernelILi4ENS0_11FillFunctorIbEESt5arrayIPcLm1EEEEviT0_T1_,"axG",@progbits,_ZN2at6native29vectorized_elementwise_kernelILi4ENS0_11FillFunctorIbEESt5arrayIPcLm1EEEEviT0_T1_,comdat
.Lfunc_end90:
	.size	_ZN2at6native29vectorized_elementwise_kernelILi4ENS0_11FillFunctorIbEESt5arrayIPcLm1EEEEviT0_T1_, .Lfunc_end90-_ZN2at6native29vectorized_elementwise_kernelILi4ENS0_11FillFunctorIbEESt5arrayIPcLm1EEEEviT0_T1_
                                        ; -- End function
	.set _ZN2at6native29vectorized_elementwise_kernelILi4ENS0_11FillFunctorIbEESt5arrayIPcLm1EEEEviT0_T1_.num_vgpr, 9
	.set _ZN2at6native29vectorized_elementwise_kernelILi4ENS0_11FillFunctorIbEESt5arrayIPcLm1EEEEviT0_T1_.num_agpr, 0
	.set _ZN2at6native29vectorized_elementwise_kernelILi4ENS0_11FillFunctorIbEESt5arrayIPcLm1EEEEviT0_T1_.numbered_sgpr, 13
	.set _ZN2at6native29vectorized_elementwise_kernelILi4ENS0_11FillFunctorIbEESt5arrayIPcLm1EEEEviT0_T1_.num_named_barrier, 0
	.set _ZN2at6native29vectorized_elementwise_kernelILi4ENS0_11FillFunctorIbEESt5arrayIPcLm1EEEEviT0_T1_.private_seg_size, 0
	.set _ZN2at6native29vectorized_elementwise_kernelILi4ENS0_11FillFunctorIbEESt5arrayIPcLm1EEEEviT0_T1_.uses_vcc, 1
	.set _ZN2at6native29vectorized_elementwise_kernelILi4ENS0_11FillFunctorIbEESt5arrayIPcLm1EEEEviT0_T1_.uses_flat_scratch, 0
	.set _ZN2at6native29vectorized_elementwise_kernelILi4ENS0_11FillFunctorIbEESt5arrayIPcLm1EEEEviT0_T1_.has_dyn_sized_stack, 0
	.set _ZN2at6native29vectorized_elementwise_kernelILi4ENS0_11FillFunctorIbEESt5arrayIPcLm1EEEEviT0_T1_.has_recursion, 0
	.set _ZN2at6native29vectorized_elementwise_kernelILi4ENS0_11FillFunctorIbEESt5arrayIPcLm1EEEEviT0_T1_.has_indirect_call, 0
	.section	.AMDGPU.csdata,"",@progbits
; Kernel info:
; codeLenInByte = 1648
; TotalNumSgprs: 17
; NumVgprs: 9
; ScratchSize: 0
; MemoryBound: 0
; FloatMode: 240
; IeeeMode: 1
; LDSByteSize: 1024 bytes/workgroup (compile time only)
; SGPRBlocks: 2
; VGPRBlocks: 2
; NumSGPRsForWavesPerEU: 17
; NumVGPRsForWavesPerEU: 9
; Occupancy: 10
; WaveLimiterHint : 1
; COMPUTE_PGM_RSRC2:SCRATCH_EN: 0
; COMPUTE_PGM_RSRC2:USER_SGPR: 8
; COMPUTE_PGM_RSRC2:TRAP_HANDLER: 0
; COMPUTE_PGM_RSRC2:TGID_X_EN: 1
; COMPUTE_PGM_RSRC2:TGID_Y_EN: 0
; COMPUTE_PGM_RSRC2:TGID_Z_EN: 0
; COMPUTE_PGM_RSRC2:TIDIG_COMP_CNT: 2
	.section	.text._ZN2at6native29vectorized_elementwise_kernelILi2ENS0_11FillFunctorIbEESt5arrayIPcLm1EEEEviT0_T1_,"axG",@progbits,_ZN2at6native29vectorized_elementwise_kernelILi2ENS0_11FillFunctorIbEESt5arrayIPcLm1EEEEviT0_T1_,comdat
	.protected	_ZN2at6native29vectorized_elementwise_kernelILi2ENS0_11FillFunctorIbEESt5arrayIPcLm1EEEEviT0_T1_ ; -- Begin function _ZN2at6native29vectorized_elementwise_kernelILi2ENS0_11FillFunctorIbEESt5arrayIPcLm1EEEEviT0_T1_
	.globl	_ZN2at6native29vectorized_elementwise_kernelILi2ENS0_11FillFunctorIbEESt5arrayIPcLm1EEEEviT0_T1_
	.p2align	8
	.type	_ZN2at6native29vectorized_elementwise_kernelILi2ENS0_11FillFunctorIbEESt5arrayIPcLm1EEEEviT0_T1_,@function
_ZN2at6native29vectorized_elementwise_kernelILi2ENS0_11FillFunctorIbEESt5arrayIPcLm1EEEEviT0_T1_: ; @_ZN2at6native29vectorized_elementwise_kernelILi2ENS0_11FillFunctorIbEESt5arrayIPcLm1EEEEviT0_T1_
; %bb.0:
	s_load_dwordx2 s[10:11], s[4:5], 0x4
	s_load_dwordx4 s[0:3], s[6:7], 0x0
	s_waitcnt lgkmcnt(0)
	s_lshr_b32 s4, s10, 16
	s_mul_i32 s4, s4, s11
	v_mul_lo_u32 v3, s4, v0
	v_mul_u32_u24_e32 v1, s11, v1
	s_and_b32 s1, s1, 1
	s_lshl_b32 s4, s8, 12
	v_add3_u32 v1, v3, v1, v2
	v_mov_b32_e32 v2, s1
	ds_write_b8 v1, v2
	ds_read_u8 v2, v1
	s_sub_i32 s5, s0, s4
	s_cmpk_gt_i32 s5, 0xfff
	s_mov_b64 s[0:1], -1
	s_waitcnt lgkmcnt(0)
	v_and_b32_e32 v2, 1, v2
	v_cmp_eq_u32_e32 vcc, 1, v2
	ds_write_b8 v1, v2 offset:256
	v_cndmask_b32_e64 v2, 0, 1, vcc
	s_cbranch_scc0 .LBB91_2
; %bb.1:
	s_mov_b32 s0, 0x4040404
	s_ashr_i32 s1, s4, 31
	v_perm_b32 v3, v2, v2, s0
	s_add_u32 s0, s2, s4
	s_addc_u32 s1, s3, s1
	v_lshlrev_b32_e32 v4, 1, v0
	v_lshrrev_b32_e32 v5, 16, v3
	ds_write_b8 v1, v2 offset:512
	global_store_short v4, v3, s[0:1]
	global_store_short v4, v5, s[0:1] offset:512
	global_store_short v4, v3, s[0:1] offset:1024
	global_store_short v4, v5, s[0:1] offset:1536
	global_store_short v4, v3, s[0:1] offset:2048
	global_store_short v4, v5, s[0:1] offset:2560
	global_store_short v4, v3, s[0:1] offset:3072
	global_store_short v4, v5, s[0:1] offset:3584
	s_mov_b64 s[0:1], 0
.LBB91_2:
	s_andn2_b64 vcc, exec, s[0:1]
	s_cbranch_vccnz .LBB91_20
; %bb.3:
	ds_write_b8 v1, v2 offset:768
	ds_read_u8 v1, v1 offset:768
	v_cmp_gt_i32_e32 vcc, s5, v0
	s_mov_b32 s7, 0x7060004
	v_or_b32_e32 v5, 0x100, v0
	v_cmp_gt_i32_e64 s[0:1], s5, v5
	s_waitcnt lgkmcnt(0)
	v_and_b32_e32 v2, 0xffff, v1
	v_cndmask_b32_e32 v3, 0, v2, vcc
	v_perm_b32 v4, v3, v1, s7
	v_cndmask_b32_e64 v3, v3, v4, s[0:1]
	s_mov_b32 s8, 0xc0c0304
	v_perm_b32 v6, v1, v3, s8
	v_or_b32_e32 v4, 0x200, v0
	v_lshlrev_b32_e32 v6, 16, v6
	s_movk_i32 s9, 0x1ff
	v_and_or_b32 v6, v3, s9, v6
	v_cmp_gt_i32_e64 s[0:1], s5, v4
	v_cndmask_b32_e64 v3, v3, v6, s[0:1]
	s_mov_b32 s10, 0xc0c0006
	v_perm_b32 v6, v3, v1, s10
	s_mov_b32 s6, 0xffff
	v_or_b32_e32 v4, 0x300, v0
	v_lshlrev_b32_e32 v6, 16, v6
	v_and_or_b32 v6, v3, s6, v6
	v_cmp_gt_i32_e64 s[0:1], s5, v4
	v_cndmask_b32_e64 v4, v3, v6, s[0:1]
	s_mov_b32 s0, 0x3020104
	v_or_b32_e32 v3, 0x400, v0
	v_perm_b32 v6, v1, 0, s0
	v_cmp_gt_i32_e64 s[0:1], s5, v3
	v_cndmask_b32_e64 v3, 0, v6, s[0:1]
	v_or_b32_e32 v8, 0x500, v0
	v_perm_b32 v7, v3, v1, s7
	v_cmp_gt_i32_e64 s[0:1], s5, v8
	v_cndmask_b32_e64 v3, v3, v7, s[0:1]
	v_or_b32_e32 v7, 0x600, v0
	s_mov_b32 s11, 0x7000504
	v_perm_b32 v8, v3, v1, s11
	v_cmp_gt_i32_e64 s[0:1], s5, v7
	v_cndmask_b32_e64 v3, v3, v8, s[0:1]
	v_or_b32_e32 v7, 0x700, v0
	s_mov_b32 s12, 0x60504
	v_perm_b32 v8, v3, v1, s12
	v_cmp_gt_i32_e64 s[0:1], s5, v7
	v_or_b32_e32 v7, 0x800, v0
	v_cndmask_b32_e64 v3, v3, v8, s[0:1]
	v_cmp_gt_i32_e64 s[0:1], s5, v7
	v_cndmask_b32_e64 v2, 0, v2, s[0:1]
	v_or_b32_e32 v8, 0x900, v0
	v_perm_b32 v7, v2, v1, s7
	v_cmp_gt_i32_e64 s[0:1], s5, v8
	v_cndmask_b32_e64 v2, v2, v7, s[0:1]
	v_perm_b32 v8, v1, v2, s8
	v_or_b32_e32 v7, 0xa00, v0
	v_lshlrev_b32_e32 v8, 16, v8
	v_and_or_b32 v8, v2, s9, v8
	v_cmp_gt_i32_e64 s[0:1], s5, v7
	v_cndmask_b32_e64 v2, v2, v8, s[0:1]
	v_perm_b32 v8, v2, v1, s10
	v_or_b32_e32 v7, 0xb00, v0
	v_lshlrev_b32_e32 v8, 16, v8
	v_and_or_b32 v8, v2, s6, v8
	v_cmp_gt_i32_e64 s[0:1], s5, v7
	v_or_b32_e32 v7, 0xc00, v0
	v_cndmask_b32_e64 v2, v2, v8, s[0:1]
	v_cmp_gt_i32_e64 s[0:1], s5, v7
	v_cndmask_b32_e64 v6, 0, v6, s[0:1]
	v_or_b32_e32 v8, 0xd00, v0
	v_perm_b32 v7, v6, v1, s7
	v_cmp_gt_i32_e64 s[0:1], s5, v8
	v_cndmask_b32_e64 v6, v6, v7, s[0:1]
	v_or_b32_e32 v7, 0xe00, v0
	v_perm_b32 v8, v6, v1, s11
	;; [unrolled: 4-line block ×3, first 2 shown]
	v_cmp_gt_i32_e64 s[0:1], s5, v7
	v_cndmask_b32_e64 v1, v6, v1, s[0:1]
	s_and_saveexec_b64 s[0:1], vcc
	s_cbranch_execnz .LBB91_21
; %bb.4:
	s_or_b64 exec, exec, s[0:1]
	v_cmp_gt_i32_e32 vcc, s5, v0
	s_and_saveexec_b64 s[0:1], vcc
	s_cbranch_execnz .LBB91_22
.LBB91_5:
	s_or_b64 exec, exec, s[0:1]
	v_cmp_gt_i32_e32 vcc, s5, v0
	s_and_saveexec_b64 s[0:1], vcc
	s_cbranch_execnz .LBB91_23
.LBB91_6:
	s_or_b64 exec, exec, s[0:1]
	v_cmp_gt_i32_e32 vcc, s5, v0
	s_and_saveexec_b64 s[0:1], vcc
	s_cbranch_execnz .LBB91_24
.LBB91_7:
	s_or_b64 exec, exec, s[0:1]
	v_cmp_gt_i32_e32 vcc, s5, v0
	s_and_saveexec_b64 s[0:1], vcc
	s_cbranch_execnz .LBB91_25
.LBB91_8:
	s_or_b64 exec, exec, s[0:1]
	v_cmp_gt_i32_e32 vcc, s5, v0
	s_and_saveexec_b64 s[0:1], vcc
	s_cbranch_execnz .LBB91_26
.LBB91_9:
	s_or_b64 exec, exec, s[0:1]
	v_cmp_gt_i32_e32 vcc, s5, v0
	s_and_saveexec_b64 s[0:1], vcc
	s_cbranch_execnz .LBB91_27
.LBB91_10:
	s_or_b64 exec, exec, s[0:1]
	v_cmp_gt_i32_e32 vcc, s5, v0
	s_and_saveexec_b64 s[0:1], vcc
	s_cbranch_execnz .LBB91_28
.LBB91_11:
	s_or_b64 exec, exec, s[0:1]
	v_cmp_gt_i32_e32 vcc, s5, v0
	s_and_saveexec_b64 s[0:1], vcc
	s_cbranch_execnz .LBB91_29
.LBB91_12:
	s_or_b64 exec, exec, s[0:1]
	v_cmp_gt_i32_e32 vcc, s5, v0
	s_and_saveexec_b64 s[0:1], vcc
	s_cbranch_execnz .LBB91_30
.LBB91_13:
	s_or_b64 exec, exec, s[0:1]
	v_cmp_gt_i32_e32 vcc, s5, v0
	s_and_saveexec_b64 s[0:1], vcc
	s_cbranch_execnz .LBB91_31
.LBB91_14:
	s_or_b64 exec, exec, s[0:1]
	v_cmp_gt_i32_e32 vcc, s5, v0
	s_and_saveexec_b64 s[0:1], vcc
	s_cbranch_execnz .LBB91_32
.LBB91_15:
	s_or_b64 exec, exec, s[0:1]
	v_cmp_gt_i32_e32 vcc, s5, v0
	s_and_saveexec_b64 s[0:1], vcc
	s_cbranch_execnz .LBB91_33
.LBB91_16:
	s_or_b64 exec, exec, s[0:1]
	v_cmp_gt_i32_e32 vcc, s5, v0
	s_and_saveexec_b64 s[0:1], vcc
	s_cbranch_execnz .LBB91_34
.LBB91_17:
	s_or_b64 exec, exec, s[0:1]
	v_cmp_gt_i32_e32 vcc, s5, v0
	s_and_saveexec_b64 s[0:1], vcc
	s_cbranch_execnz .LBB91_35
.LBB91_18:
	s_or_b64 exec, exec, s[0:1]
	v_cmp_gt_i32_e32 vcc, s5, v0
	s_and_saveexec_b64 s[0:1], vcc
	s_cbranch_execz .LBB91_20
.LBB91_19:
	v_lshrrev_b32_e32 v1, 24, v1
	v_add_u32_e32 v0, s4, v0
	global_store_byte v0, v1, s[2:3]
.LBB91_20:
	s_endpgm
.LBB91_21:
	v_or_b32_e32 v0, s4, v0
	global_store_byte v0, v4, s[2:3]
	v_mov_b32_e32 v0, v5
	s_or_b64 exec, exec, s[0:1]
	v_cmp_gt_i32_e32 vcc, s5, v0
	s_and_saveexec_b64 s[0:1], vcc
	s_cbranch_execz .LBB91_5
.LBB91_22:
	v_lshrrev_b32_e32 v5, 8, v4
	v_add_u32_e32 v6, s4, v0
	v_add_u32_e32 v0, 0x100, v0
	global_store_byte v6, v5, s[2:3]
	s_or_b64 exec, exec, s[0:1]
	v_cmp_gt_i32_e32 vcc, s5, v0
	s_and_saveexec_b64 s[0:1], vcc
	s_cbranch_execz .LBB91_6
.LBB91_23:
	v_add_u32_e32 v5, s4, v0
	v_add_u32_e32 v0, 0x100, v0
	global_store_byte_d16_hi v5, v4, s[2:3]
	s_or_b64 exec, exec, s[0:1]
	v_cmp_gt_i32_e32 vcc, s5, v0
	s_and_saveexec_b64 s[0:1], vcc
	s_cbranch_execz .LBB91_7
.LBB91_24:
	v_lshrrev_b32_e32 v4, 24, v4
	v_add_u32_e32 v5, s4, v0
	v_add_u32_e32 v0, 0x100, v0
	global_store_byte v5, v4, s[2:3]
	s_or_b64 exec, exec, s[0:1]
	v_cmp_gt_i32_e32 vcc, s5, v0
	s_and_saveexec_b64 s[0:1], vcc
	s_cbranch_execz .LBB91_8
.LBB91_25:
	v_add_u32_e32 v4, s4, v0
	v_add_u32_e32 v0, 0x100, v0
	global_store_byte v4, v3, s[2:3]
	s_or_b64 exec, exec, s[0:1]
	v_cmp_gt_i32_e32 vcc, s5, v0
	s_and_saveexec_b64 s[0:1], vcc
	s_cbranch_execz .LBB91_9
.LBB91_26:
	v_lshrrev_b32_e32 v4, 8, v3
	v_add_u32_e32 v5, s4, v0
	v_add_u32_e32 v0, 0x100, v0
	global_store_byte v5, v4, s[2:3]
	s_or_b64 exec, exec, s[0:1]
	v_cmp_gt_i32_e32 vcc, s5, v0
	s_and_saveexec_b64 s[0:1], vcc
	s_cbranch_execz .LBB91_10
.LBB91_27:
	v_add_u32_e32 v4, s4, v0
	v_add_u32_e32 v0, 0x100, v0
	global_store_byte_d16_hi v4, v3, s[2:3]
	s_or_b64 exec, exec, s[0:1]
	v_cmp_gt_i32_e32 vcc, s5, v0
	s_and_saveexec_b64 s[0:1], vcc
	s_cbranch_execz .LBB91_11
.LBB91_28:
	v_lshrrev_b32_e32 v3, 24, v3
	v_add_u32_e32 v4, s4, v0
	v_add_u32_e32 v0, 0x100, v0
	global_store_byte v4, v3, s[2:3]
	s_or_b64 exec, exec, s[0:1]
	v_cmp_gt_i32_e32 vcc, s5, v0
	s_and_saveexec_b64 s[0:1], vcc
	s_cbranch_execz .LBB91_12
.LBB91_29:
	v_add_u32_e32 v3, s4, v0
	v_add_u32_e32 v0, 0x100, v0
	global_store_byte v3, v2, s[2:3]
	s_or_b64 exec, exec, s[0:1]
	v_cmp_gt_i32_e32 vcc, s5, v0
	s_and_saveexec_b64 s[0:1], vcc
	s_cbranch_execz .LBB91_13
.LBB91_30:
	v_lshrrev_b32_e32 v3, 8, v2
	v_add_u32_e32 v4, s4, v0
	v_add_u32_e32 v0, 0x100, v0
	global_store_byte v4, v3, s[2:3]
	s_or_b64 exec, exec, s[0:1]
	v_cmp_gt_i32_e32 vcc, s5, v0
	s_and_saveexec_b64 s[0:1], vcc
	s_cbranch_execz .LBB91_14
.LBB91_31:
	v_add_u32_e32 v3, s4, v0
	v_add_u32_e32 v0, 0x100, v0
	global_store_byte_d16_hi v3, v2, s[2:3]
	s_or_b64 exec, exec, s[0:1]
	v_cmp_gt_i32_e32 vcc, s5, v0
	s_and_saveexec_b64 s[0:1], vcc
	s_cbranch_execz .LBB91_15
.LBB91_32:
	v_lshrrev_b32_e32 v2, 24, v2
	v_add_u32_e32 v3, s4, v0
	v_add_u32_e32 v0, 0x100, v0
	global_store_byte v3, v2, s[2:3]
	s_or_b64 exec, exec, s[0:1]
	v_cmp_gt_i32_e32 vcc, s5, v0
	s_and_saveexec_b64 s[0:1], vcc
	s_cbranch_execz .LBB91_16
.LBB91_33:
	v_add_u32_e32 v2, s4, v0
	v_add_u32_e32 v0, 0x100, v0
	global_store_byte v2, v1, s[2:3]
	s_or_b64 exec, exec, s[0:1]
	v_cmp_gt_i32_e32 vcc, s5, v0
	s_and_saveexec_b64 s[0:1], vcc
	s_cbranch_execz .LBB91_17
.LBB91_34:
	v_lshrrev_b32_e32 v2, 8, v1
	v_add_u32_e32 v3, s4, v0
	v_add_u32_e32 v0, 0x100, v0
	global_store_byte v3, v2, s[2:3]
	s_or_b64 exec, exec, s[0:1]
	v_cmp_gt_i32_e32 vcc, s5, v0
	s_and_saveexec_b64 s[0:1], vcc
	s_cbranch_execz .LBB91_18
.LBB91_35:
	v_add_u32_e32 v2, s4, v0
	v_add_u32_e32 v0, 0x100, v0
	global_store_byte_d16_hi v2, v1, s[2:3]
	s_or_b64 exec, exec, s[0:1]
	v_cmp_gt_i32_e32 vcc, s5, v0
	s_and_saveexec_b64 s[0:1], vcc
	s_cbranch_execnz .LBB91_19
	s_branch .LBB91_20
	.section	.rodata,"a",@progbits
	.p2align	6, 0x0
	.amdhsa_kernel _ZN2at6native29vectorized_elementwise_kernelILi2ENS0_11FillFunctorIbEESt5arrayIPcLm1EEEEviT0_T1_
		.amdhsa_group_segment_fixed_size 1024
		.amdhsa_private_segment_fixed_size 0
		.amdhsa_kernarg_size 16
		.amdhsa_user_sgpr_count 8
		.amdhsa_user_sgpr_private_segment_buffer 1
		.amdhsa_user_sgpr_dispatch_ptr 1
		.amdhsa_user_sgpr_queue_ptr 0
		.amdhsa_user_sgpr_kernarg_segment_ptr 1
		.amdhsa_user_sgpr_dispatch_id 0
		.amdhsa_user_sgpr_flat_scratch_init 0
		.amdhsa_user_sgpr_private_segment_size 0
		.amdhsa_uses_dynamic_stack 0
		.amdhsa_system_sgpr_private_segment_wavefront_offset 0
		.amdhsa_system_sgpr_workgroup_id_x 1
		.amdhsa_system_sgpr_workgroup_id_y 0
		.amdhsa_system_sgpr_workgroup_id_z 0
		.amdhsa_system_sgpr_workgroup_info 0
		.amdhsa_system_vgpr_workitem_id 2
		.amdhsa_next_free_vgpr 9
		.amdhsa_next_free_sgpr 13
		.amdhsa_reserve_vcc 1
		.amdhsa_reserve_flat_scratch 0
		.amdhsa_float_round_mode_32 0
		.amdhsa_float_round_mode_16_64 0
		.amdhsa_float_denorm_mode_32 3
		.amdhsa_float_denorm_mode_16_64 3
		.amdhsa_dx10_clamp 1
		.amdhsa_ieee_mode 1
		.amdhsa_fp16_overflow 0
		.amdhsa_exception_fp_ieee_invalid_op 0
		.amdhsa_exception_fp_denorm_src 0
		.amdhsa_exception_fp_ieee_div_zero 0
		.amdhsa_exception_fp_ieee_overflow 0
		.amdhsa_exception_fp_ieee_underflow 0
		.amdhsa_exception_fp_ieee_inexact 0
		.amdhsa_exception_int_div_zero 0
	.end_amdhsa_kernel
	.section	.text._ZN2at6native29vectorized_elementwise_kernelILi2ENS0_11FillFunctorIbEESt5arrayIPcLm1EEEEviT0_T1_,"axG",@progbits,_ZN2at6native29vectorized_elementwise_kernelILi2ENS0_11FillFunctorIbEESt5arrayIPcLm1EEEEviT0_T1_,comdat
.Lfunc_end91:
	.size	_ZN2at6native29vectorized_elementwise_kernelILi2ENS0_11FillFunctorIbEESt5arrayIPcLm1EEEEviT0_T1_, .Lfunc_end91-_ZN2at6native29vectorized_elementwise_kernelILi2ENS0_11FillFunctorIbEESt5arrayIPcLm1EEEEviT0_T1_
                                        ; -- End function
	.set _ZN2at6native29vectorized_elementwise_kernelILi2ENS0_11FillFunctorIbEESt5arrayIPcLm1EEEEviT0_T1_.num_vgpr, 9
	.set _ZN2at6native29vectorized_elementwise_kernelILi2ENS0_11FillFunctorIbEESt5arrayIPcLm1EEEEviT0_T1_.num_agpr, 0
	.set _ZN2at6native29vectorized_elementwise_kernelILi2ENS0_11FillFunctorIbEESt5arrayIPcLm1EEEEviT0_T1_.numbered_sgpr, 13
	.set _ZN2at6native29vectorized_elementwise_kernelILi2ENS0_11FillFunctorIbEESt5arrayIPcLm1EEEEviT0_T1_.num_named_barrier, 0
	.set _ZN2at6native29vectorized_elementwise_kernelILi2ENS0_11FillFunctorIbEESt5arrayIPcLm1EEEEviT0_T1_.private_seg_size, 0
	.set _ZN2at6native29vectorized_elementwise_kernelILi2ENS0_11FillFunctorIbEESt5arrayIPcLm1EEEEviT0_T1_.uses_vcc, 1
	.set _ZN2at6native29vectorized_elementwise_kernelILi2ENS0_11FillFunctorIbEESt5arrayIPcLm1EEEEviT0_T1_.uses_flat_scratch, 0
	.set _ZN2at6native29vectorized_elementwise_kernelILi2ENS0_11FillFunctorIbEESt5arrayIPcLm1EEEEviT0_T1_.has_dyn_sized_stack, 0
	.set _ZN2at6native29vectorized_elementwise_kernelILi2ENS0_11FillFunctorIbEESt5arrayIPcLm1EEEEviT0_T1_.has_recursion, 0
	.set _ZN2at6native29vectorized_elementwise_kernelILi2ENS0_11FillFunctorIbEESt5arrayIPcLm1EEEEviT0_T1_.has_indirect_call, 0
	.section	.AMDGPU.csdata,"",@progbits
; Kernel info:
; codeLenInByte = 1684
; TotalNumSgprs: 17
; NumVgprs: 9
; ScratchSize: 0
; MemoryBound: 0
; FloatMode: 240
; IeeeMode: 1
; LDSByteSize: 1024 bytes/workgroup (compile time only)
; SGPRBlocks: 2
; VGPRBlocks: 2
; NumSGPRsForWavesPerEU: 17
; NumVGPRsForWavesPerEU: 9
; Occupancy: 10
; WaveLimiterHint : 1
; COMPUTE_PGM_RSRC2:SCRATCH_EN: 0
; COMPUTE_PGM_RSRC2:USER_SGPR: 8
; COMPUTE_PGM_RSRC2:TRAP_HANDLER: 0
; COMPUTE_PGM_RSRC2:TGID_X_EN: 1
; COMPUTE_PGM_RSRC2:TGID_Y_EN: 0
; COMPUTE_PGM_RSRC2:TGID_Z_EN: 0
; COMPUTE_PGM_RSRC2:TIDIG_COMP_CNT: 2
	.section	.text._ZN2at6native27unrolled_elementwise_kernelINS0_11FillFunctorIbEESt5arrayIPcLm1EELi4E23TrivialOffsetCalculatorILi0EjES7_ILi1EjENS0_6memory15LoadWithoutCastENSA_16StoreWithoutCastEEEviT_T0_T2_T3_T4_T5_,"axG",@progbits,_ZN2at6native27unrolled_elementwise_kernelINS0_11FillFunctorIbEESt5arrayIPcLm1EELi4E23TrivialOffsetCalculatorILi0EjES7_ILi1EjENS0_6memory15LoadWithoutCastENSA_16StoreWithoutCastEEEviT_T0_T2_T3_T4_T5_,comdat
	.protected	_ZN2at6native27unrolled_elementwise_kernelINS0_11FillFunctorIbEESt5arrayIPcLm1EELi4E23TrivialOffsetCalculatorILi0EjES7_ILi1EjENS0_6memory15LoadWithoutCastENSA_16StoreWithoutCastEEEviT_T0_T2_T3_T4_T5_ ; -- Begin function _ZN2at6native27unrolled_elementwise_kernelINS0_11FillFunctorIbEESt5arrayIPcLm1EELi4E23TrivialOffsetCalculatorILi0EjES7_ILi1EjENS0_6memory15LoadWithoutCastENSA_16StoreWithoutCastEEEviT_T0_T2_T3_T4_T5_
	.globl	_ZN2at6native27unrolled_elementwise_kernelINS0_11FillFunctorIbEESt5arrayIPcLm1EELi4E23TrivialOffsetCalculatorILi0EjES7_ILi1EjENS0_6memory15LoadWithoutCastENSA_16StoreWithoutCastEEEviT_T0_T2_T3_T4_T5_
	.p2align	8
	.type	_ZN2at6native27unrolled_elementwise_kernelINS0_11FillFunctorIbEESt5arrayIPcLm1EELi4E23TrivialOffsetCalculatorILi0EjES7_ILi1EjENS0_6memory15LoadWithoutCastENSA_16StoreWithoutCastEEEviT_T0_T2_T3_T4_T5_,@function
_ZN2at6native27unrolled_elementwise_kernelINS0_11FillFunctorIbEESt5arrayIPcLm1EELi4E23TrivialOffsetCalculatorILi0EjES7_ILi1EjENS0_6memory15LoadWithoutCastENSA_16StoreWithoutCastEEEviT_T0_T2_T3_T4_T5_: ; @_ZN2at6native27unrolled_elementwise_kernelINS0_11FillFunctorIbEESt5arrayIPcLm1EELi4E23TrivialOffsetCalculatorILi0EjES7_ILi1EjENS0_6memory15LoadWithoutCastENSA_16StoreWithoutCastEEEviT_T0_T2_T3_T4_T5_
; %bb.0:
	s_load_dwordx2 s[10:11], s[4:5], 0x4
	s_load_dwordx4 s[0:3], s[6:7], 0x0
	s_mov_b32 s6, 0xffff
	s_waitcnt lgkmcnt(0)
	s_lshr_b32 s4, s10, 16
	s_mul_i32 s4, s4, s11
	v_mul_lo_u32 v3, s4, v0
	v_mul_u32_u24_e32 v1, s11, v1
	s_and_b32 s1, s1, 1
	s_lshl_b32 s4, s8, 10
	v_add3_u32 v1, v3, v1, v2
	v_mov_b32_e32 v2, s1
	ds_write_b8 v1, v2
	ds_read_u8 v2, v1
	s_sub_i32 s5, s0, s4
	v_cmp_gt_i32_e32 vcc, s5, v0
	s_waitcnt lgkmcnt(0)
	v_and_b32_e32 v3, 1, v2
	ds_write_b8 v1, v3 offset:256
	v_and_b32_e32 v1, 0xffff, v3
	v_cndmask_b32_e32 v1, 0, v1, vcc
	v_lshlrev_b16_e32 v4, 8, v3
	v_or_b32_e32 v2, 0x100, v0
	v_or_b32_e32 v4, v1, v4
	v_and_b32_e32 v4, 0xffff, v4
	v_cmp_gt_i32_e64 s[0:1], s5, v2
	v_cndmask_b32_e64 v1, v1, v4, s[0:1]
	s_mov_b32 s0, 0xc0c0304
	v_or_b32_e32 v4, 0x200, v0
	v_perm_b32 v5, v3, v1, s0
	v_lshl_or_b32 v5, v5, 16, v1
	v_cmp_gt_i32_e64 s[0:1], s5, v4
	v_cndmask_b32_e64 v1, v1, v5, s[0:1]
	s_mov_b32 s0, 0xc0c0006
	v_perm_b32 v3, v1, v3, s0
	v_or_b32_e32 v4, 0x300, v0
	v_lshlrev_b32_e32 v3, 16, v3
	v_and_or_b32 v3, v1, s6, v3
	v_cmp_gt_i32_e64 s[0:1], s5, v4
	v_cndmask_b32_e64 v1, v1, v3, s[0:1]
	s_and_saveexec_b64 s[0:1], vcc
	s_cbranch_execnz .LBB92_5
; %bb.1:
	s_or_b64 exec, exec, s[0:1]
	v_cmp_gt_i32_e32 vcc, s5, v0
	s_and_saveexec_b64 s[0:1], vcc
	s_cbranch_execnz .LBB92_6
.LBB92_2:
	s_or_b64 exec, exec, s[0:1]
	v_cmp_gt_i32_e32 vcc, s5, v0
	s_and_saveexec_b64 s[0:1], vcc
	s_cbranch_execnz .LBB92_7
.LBB92_3:
	s_or_b64 exec, exec, s[0:1]
	v_cmp_gt_i32_e32 vcc, s5, v0
	s_and_saveexec_b64 s[0:1], vcc
	s_cbranch_execnz .LBB92_8
.LBB92_4:
	s_endpgm
.LBB92_5:
	v_or_b32_e32 v0, s4, v0
	global_store_byte v0, v1, s[2:3]
	v_mov_b32_e32 v0, v2
	s_or_b64 exec, exec, s[0:1]
	v_cmp_gt_i32_e32 vcc, s5, v0
	s_and_saveexec_b64 s[0:1], vcc
	s_cbranch_execz .LBB92_2
.LBB92_6:
	v_add_u32_e32 v2, 0x100, v0
	v_add_u32_e32 v0, s4, v0
	v_lshrrev_b32_e32 v3, 8, v1
	global_store_byte v0, v3, s[2:3]
	v_mov_b32_e32 v0, v2
	s_or_b64 exec, exec, s[0:1]
	v_cmp_gt_i32_e32 vcc, s5, v0
	s_and_saveexec_b64 s[0:1], vcc
	s_cbranch_execz .LBB92_3
.LBB92_7:
	v_add_u32_e32 v2, 0x100, v0
	v_add_u32_e32 v0, s4, v0
	global_store_byte_d16_hi v0, v1, s[2:3]
	v_mov_b32_e32 v0, v2
	s_or_b64 exec, exec, s[0:1]
	v_cmp_gt_i32_e32 vcc, s5, v0
	s_and_saveexec_b64 s[0:1], vcc
	s_cbranch_execz .LBB92_4
.LBB92_8:
	v_add_u32_e32 v0, s4, v0
	v_lshrrev_b32_e32 v1, 24, v1
	global_store_byte v0, v1, s[2:3]
	s_endpgm
	.section	.rodata,"a",@progbits
	.p2align	6, 0x0
	.amdhsa_kernel _ZN2at6native27unrolled_elementwise_kernelINS0_11FillFunctorIbEESt5arrayIPcLm1EELi4E23TrivialOffsetCalculatorILi0EjES7_ILi1EjENS0_6memory15LoadWithoutCastENSA_16StoreWithoutCastEEEviT_T0_T2_T3_T4_T5_
		.amdhsa_group_segment_fixed_size 512
		.amdhsa_private_segment_fixed_size 0
		.amdhsa_kernarg_size 20
		.amdhsa_user_sgpr_count 8
		.amdhsa_user_sgpr_private_segment_buffer 1
		.amdhsa_user_sgpr_dispatch_ptr 1
		.amdhsa_user_sgpr_queue_ptr 0
		.amdhsa_user_sgpr_kernarg_segment_ptr 1
		.amdhsa_user_sgpr_dispatch_id 0
		.amdhsa_user_sgpr_flat_scratch_init 0
		.amdhsa_user_sgpr_private_segment_size 0
		.amdhsa_uses_dynamic_stack 0
		.amdhsa_system_sgpr_private_segment_wavefront_offset 0
		.amdhsa_system_sgpr_workgroup_id_x 1
		.amdhsa_system_sgpr_workgroup_id_y 0
		.amdhsa_system_sgpr_workgroup_id_z 0
		.amdhsa_system_sgpr_workgroup_info 0
		.amdhsa_system_vgpr_workitem_id 2
		.amdhsa_next_free_vgpr 6
		.amdhsa_next_free_sgpr 12
		.amdhsa_reserve_vcc 1
		.amdhsa_reserve_flat_scratch 0
		.amdhsa_float_round_mode_32 0
		.amdhsa_float_round_mode_16_64 0
		.amdhsa_float_denorm_mode_32 3
		.amdhsa_float_denorm_mode_16_64 3
		.amdhsa_dx10_clamp 1
		.amdhsa_ieee_mode 1
		.amdhsa_fp16_overflow 0
		.amdhsa_exception_fp_ieee_invalid_op 0
		.amdhsa_exception_fp_denorm_src 0
		.amdhsa_exception_fp_ieee_div_zero 0
		.amdhsa_exception_fp_ieee_overflow 0
		.amdhsa_exception_fp_ieee_underflow 0
		.amdhsa_exception_fp_ieee_inexact 0
		.amdhsa_exception_int_div_zero 0
	.end_amdhsa_kernel
	.section	.text._ZN2at6native27unrolled_elementwise_kernelINS0_11FillFunctorIbEESt5arrayIPcLm1EELi4E23TrivialOffsetCalculatorILi0EjES7_ILi1EjENS0_6memory15LoadWithoutCastENSA_16StoreWithoutCastEEEviT_T0_T2_T3_T4_T5_,"axG",@progbits,_ZN2at6native27unrolled_elementwise_kernelINS0_11FillFunctorIbEESt5arrayIPcLm1EELi4E23TrivialOffsetCalculatorILi0EjES7_ILi1EjENS0_6memory15LoadWithoutCastENSA_16StoreWithoutCastEEEviT_T0_T2_T3_T4_T5_,comdat
.Lfunc_end92:
	.size	_ZN2at6native27unrolled_elementwise_kernelINS0_11FillFunctorIbEESt5arrayIPcLm1EELi4E23TrivialOffsetCalculatorILi0EjES7_ILi1EjENS0_6memory15LoadWithoutCastENSA_16StoreWithoutCastEEEviT_T0_T2_T3_T4_T5_, .Lfunc_end92-_ZN2at6native27unrolled_elementwise_kernelINS0_11FillFunctorIbEESt5arrayIPcLm1EELi4E23TrivialOffsetCalculatorILi0EjES7_ILi1EjENS0_6memory15LoadWithoutCastENSA_16StoreWithoutCastEEEviT_T0_T2_T3_T4_T5_
                                        ; -- End function
	.set _ZN2at6native27unrolled_elementwise_kernelINS0_11FillFunctorIbEESt5arrayIPcLm1EELi4E23TrivialOffsetCalculatorILi0EjES7_ILi1EjENS0_6memory15LoadWithoutCastENSA_16StoreWithoutCastEEEviT_T0_T2_T3_T4_T5_.num_vgpr, 6
	.set _ZN2at6native27unrolled_elementwise_kernelINS0_11FillFunctorIbEESt5arrayIPcLm1EELi4E23TrivialOffsetCalculatorILi0EjES7_ILi1EjENS0_6memory15LoadWithoutCastENSA_16StoreWithoutCastEEEviT_T0_T2_T3_T4_T5_.num_agpr, 0
	.set _ZN2at6native27unrolled_elementwise_kernelINS0_11FillFunctorIbEESt5arrayIPcLm1EELi4E23TrivialOffsetCalculatorILi0EjES7_ILi1EjENS0_6memory15LoadWithoutCastENSA_16StoreWithoutCastEEEviT_T0_T2_T3_T4_T5_.numbered_sgpr, 12
	.set _ZN2at6native27unrolled_elementwise_kernelINS0_11FillFunctorIbEESt5arrayIPcLm1EELi4E23TrivialOffsetCalculatorILi0EjES7_ILi1EjENS0_6memory15LoadWithoutCastENSA_16StoreWithoutCastEEEviT_T0_T2_T3_T4_T5_.num_named_barrier, 0
	.set _ZN2at6native27unrolled_elementwise_kernelINS0_11FillFunctorIbEESt5arrayIPcLm1EELi4E23TrivialOffsetCalculatorILi0EjES7_ILi1EjENS0_6memory15LoadWithoutCastENSA_16StoreWithoutCastEEEviT_T0_T2_T3_T4_T5_.private_seg_size, 0
	.set _ZN2at6native27unrolled_elementwise_kernelINS0_11FillFunctorIbEESt5arrayIPcLm1EELi4E23TrivialOffsetCalculatorILi0EjES7_ILi1EjENS0_6memory15LoadWithoutCastENSA_16StoreWithoutCastEEEviT_T0_T2_T3_T4_T5_.uses_vcc, 1
	.set _ZN2at6native27unrolled_elementwise_kernelINS0_11FillFunctorIbEESt5arrayIPcLm1EELi4E23TrivialOffsetCalculatorILi0EjES7_ILi1EjENS0_6memory15LoadWithoutCastENSA_16StoreWithoutCastEEEviT_T0_T2_T3_T4_T5_.uses_flat_scratch, 0
	.set _ZN2at6native27unrolled_elementwise_kernelINS0_11FillFunctorIbEESt5arrayIPcLm1EELi4E23TrivialOffsetCalculatorILi0EjES7_ILi1EjENS0_6memory15LoadWithoutCastENSA_16StoreWithoutCastEEEviT_T0_T2_T3_T4_T5_.has_dyn_sized_stack, 0
	.set _ZN2at6native27unrolled_elementwise_kernelINS0_11FillFunctorIbEESt5arrayIPcLm1EELi4E23TrivialOffsetCalculatorILi0EjES7_ILi1EjENS0_6memory15LoadWithoutCastENSA_16StoreWithoutCastEEEviT_T0_T2_T3_T4_T5_.has_recursion, 0
	.set _ZN2at6native27unrolled_elementwise_kernelINS0_11FillFunctorIbEESt5arrayIPcLm1EELi4E23TrivialOffsetCalculatorILi0EjES7_ILi1EjENS0_6memory15LoadWithoutCastENSA_16StoreWithoutCastEEEviT_T0_T2_T3_T4_T5_.has_indirect_call, 0
	.section	.AMDGPU.csdata,"",@progbits
; Kernel info:
; codeLenInByte = 456
; TotalNumSgprs: 16
; NumVgprs: 6
; ScratchSize: 0
; MemoryBound: 0
; FloatMode: 240
; IeeeMode: 1
; LDSByteSize: 512 bytes/workgroup (compile time only)
; SGPRBlocks: 1
; VGPRBlocks: 1
; NumSGPRsForWavesPerEU: 16
; NumVGPRsForWavesPerEU: 6
; Occupancy: 10
; WaveLimiterHint : 0
; COMPUTE_PGM_RSRC2:SCRATCH_EN: 0
; COMPUTE_PGM_RSRC2:USER_SGPR: 8
; COMPUTE_PGM_RSRC2:TRAP_HANDLER: 0
; COMPUTE_PGM_RSRC2:TGID_X_EN: 1
; COMPUTE_PGM_RSRC2:TGID_Y_EN: 0
; COMPUTE_PGM_RSRC2:TGID_Z_EN: 0
; COMPUTE_PGM_RSRC2:TIDIG_COMP_CNT: 2
	.section	.text._ZN2at6native32elementwise_kernel_manual_unrollILi128ELi8EZNS0_22gpu_kernel_impl_nocastINS0_11FillFunctorIbEEEEvRNS_18TensorIteratorBaseERKT_EUlibE_EEviT1_,"axG",@progbits,_ZN2at6native32elementwise_kernel_manual_unrollILi128ELi8EZNS0_22gpu_kernel_impl_nocastINS0_11FillFunctorIbEEEEvRNS_18TensorIteratorBaseERKT_EUlibE_EEviT1_,comdat
	.protected	_ZN2at6native32elementwise_kernel_manual_unrollILi128ELi8EZNS0_22gpu_kernel_impl_nocastINS0_11FillFunctorIbEEEEvRNS_18TensorIteratorBaseERKT_EUlibE_EEviT1_ ; -- Begin function _ZN2at6native32elementwise_kernel_manual_unrollILi128ELi8EZNS0_22gpu_kernel_impl_nocastINS0_11FillFunctorIbEEEEvRNS_18TensorIteratorBaseERKT_EUlibE_EEviT1_
	.globl	_ZN2at6native32elementwise_kernel_manual_unrollILi128ELi8EZNS0_22gpu_kernel_impl_nocastINS0_11FillFunctorIbEEEEvRNS_18TensorIteratorBaseERKT_EUlibE_EEviT1_
	.p2align	8
	.type	_ZN2at6native32elementwise_kernel_manual_unrollILi128ELi8EZNS0_22gpu_kernel_impl_nocastINS0_11FillFunctorIbEEEEvRNS_18TensorIteratorBaseERKT_EUlibE_EEviT1_,@function
_ZN2at6native32elementwise_kernel_manual_unrollILi128ELi8EZNS0_22gpu_kernel_impl_nocastINS0_11FillFunctorIbEEEEvRNS_18TensorIteratorBaseERKT_EUlibE_EEviT1_: ; @_ZN2at6native32elementwise_kernel_manual_unrollILi128ELi8EZNS0_22gpu_kernel_impl_nocastINS0_11FillFunctorIbEEEEvRNS_18TensorIteratorBaseERKT_EUlibE_EEviT1_
; %bb.0:
	s_load_dword s48, s[4:5], 0x0
	s_load_dword s33, s[4:5], 0x8
	s_add_u32 s20, s4, 8
	s_addc_u32 s21, s5, 0
	v_lshl_or_b32 v7, s6, 10, v0
	v_or_b32_e32 v9, 0x380, v7
	s_waitcnt lgkmcnt(0)
	s_add_i32 s46, s33, -1
	s_cmp_gt_u32 s46, 1
	v_cmp_le_i32_e32 vcc, s48, v9
	s_cselect_b64 s[22:23], -1, 0
	s_and_saveexec_b64 s[0:1], vcc
	s_xor_b64 s[24:25], exec, s[0:1]
	s_cbranch_execz .LBB93_7
; %bb.1:
	s_load_dwordx4 s[8:11], s[20:21], 0x4
	s_load_dwordx2 s[30:31], s[20:21], 0x14
	s_load_dwordx2 s[28:29], s[20:21], 0xc4
	;; [unrolled: 1-line block ×3, first 2 shown]
	s_load_dword s47, s[20:21], 0x110
	s_cmp_lg_u32 s33, 0
	s_cselect_b64 s[38:39], -1, 0
	s_add_u32 s36, s20, 0xc4
	s_addc_u32 s37, s21, 0
	s_min_u32 s49, s46, 15
	s_cmp_gt_u32 s33, 1
	s_cselect_b64 s[34:35], -1, 0
	v_cmp_gt_i32_e32 vcc, s48, v7
	s_and_saveexec_b64 s[40:41], vcc
	s_cbranch_execz .LBB93_14
; %bb.2:
	s_andn2_b64 vcc, exec, s[22:23]
	s_cbranch_vccnz .LBB93_21
; %bb.3:
	s_andn2_b64 vcc, exec, s[38:39]
	s_cbranch_vccnz .LBB93_129
; %bb.4:
	s_add_i32 s51, s49, 1
	s_cmp_eq_u32 s46, 2
	s_cbranch_scc1 .LBB93_131
; %bb.5:
	s_and_b32 s50, s51, 28
	s_mov_b32 s52, 0
	v_mov_b32_e32 v0, 0
	s_mov_b64 s[42:43], s[20:21]
	s_mov_b64 s[44:45], s[36:37]
	v_mov_b32_e32 v1, v7
.LBB93_6:                               ; =>This Inner Loop Header: Depth=1
	s_load_dwordx8 s[0:7], s[42:43], 0x4
	s_load_dwordx4 s[12:15], s[42:43], 0x24
	s_load_dwordx4 s[16:19], s[44:45], 0x0
	s_add_u32 s42, s42, 48
	s_addc_u32 s43, s43, 0
	s_waitcnt lgkmcnt(0)
	v_mul_hi_u32 v2, s1, v1
	s_add_i32 s52, s52, 4
	s_add_u32 s44, s44, 16
	s_addc_u32 s45, s45, 0
	v_add_u32_e32 v2, v1, v2
	v_lshrrev_b32_e32 v2, s2, v2
	v_mul_lo_u32 v3, v2, s0
	v_mul_hi_u32 v4, s4, v2
	s_cmp_lg_u32 s50, s52
	v_sub_u32_e32 v1, v1, v3
	v_add_u32_e32 v3, v2, v4
	v_lshrrev_b32_e32 v3, s5, v3
	v_mul_lo_u32 v4, v1, s16
	v_mul_hi_u32 v1, s7, v3
	v_mul_lo_u32 v6, v3, s3
	v_add_u32_e32 v1, v3, v1
	v_lshrrev_b32_e32 v5, s12, v1
	v_mul_hi_u32 v1, s14, v5
	v_sub_u32_e32 v2, v2, v6
	v_mul_lo_u32 v6, v5, s6
	v_mul_lo_u32 v2, v2, s17
	v_add_u32_e32 v1, v5, v1
	v_lshrrev_b32_e32 v1, s15, v1
	v_mul_lo_u32 v8, v1, s13
	v_sub_u32_e32 v3, v3, v6
	v_mul_lo_u32 v3, v3, s18
	v_add3_u32 v0, v4, v0, v2
	v_sub_u32_e32 v5, v5, v8
	v_mul_lo_u32 v5, v5, s19
	v_add3_u32 v0, v3, v0, v5
	s_cbranch_scc1 .LBB93_6
	s_branch .LBB93_132
.LBB93_7:
	s_andn2_saveexec_b64 s[0:1], s[24:25]
	s_cbranch_execz .LBB93_221
.LBB93_8:
	v_cndmask_b32_e64 v0, 0, 1, s[22:23]
	v_cmp_ne_u32_e64 s[0:1], 1, v0
	s_andn2_b64 vcc, exec, s[22:23]
	s_cbranch_vccnz .LBB93_20
; %bb.9:
	s_cmp_lg_u32 s33, 0
	s_mov_b32 s24, 0
	s_cbranch_scc0 .LBB93_23
; %bb.10:
	s_min_u32 s25, s46, 15
	s_add_i32 s25, s25, 1
	s_cmp_eq_u32 s46, 2
	s_cbranch_scc1 .LBB93_24
; %bb.11:
	s_and_b32 s24, s25, 28
	s_add_u32 s2, s20, 0xc4
	s_addc_u32 s3, s21, 0
	s_waitcnt lgkmcnt(0)
	s_mov_b32 s26, 0
	v_mov_b32_e32 v0, 0
	s_mov_b64 s[22:23], s[20:21]
	v_mov_b32_e32 v1, v7
.LBB93_12:                              ; =>This Inner Loop Header: Depth=1
	s_load_dwordx8 s[4:11], s[22:23], 0x4
	s_load_dwordx4 s[12:15], s[22:23], 0x24
	s_load_dwordx4 s[16:19], s[2:3], 0x0
	s_add_u32 s22, s22, 48
	s_addc_u32 s23, s23, 0
	s_waitcnt lgkmcnt(0)
	v_mul_hi_u32 v2, s5, v1
	s_add_i32 s26, s26, 4
	s_add_u32 s2, s2, 16
	s_addc_u32 s3, s3, 0
	v_add_u32_e32 v2, v1, v2
	v_lshrrev_b32_e32 v2, s6, v2
	v_mul_lo_u32 v3, v2, s4
	v_mul_hi_u32 v4, s8, v2
	s_cmp_lg_u32 s24, s26
	v_sub_u32_e32 v1, v1, v3
	v_add_u32_e32 v3, v2, v4
	v_lshrrev_b32_e32 v3, s9, v3
	v_mul_lo_u32 v4, v1, s16
	v_mul_hi_u32 v1, s11, v3
	v_mul_lo_u32 v6, v3, s7
	v_add_u32_e32 v1, v3, v1
	v_lshrrev_b32_e32 v5, s12, v1
	v_mul_hi_u32 v1, s14, v5
	v_sub_u32_e32 v2, v2, v6
	v_mul_lo_u32 v6, v5, s10
	v_mul_lo_u32 v2, v2, s17
	v_add_u32_e32 v1, v5, v1
	v_lshrrev_b32_e32 v1, s15, v1
	v_mul_lo_u32 v8, v1, s13
	v_sub_u32_e32 v3, v3, v6
	v_mul_lo_u32 v3, v3, s18
	v_add3_u32 v0, v4, v0, v2
	v_sub_u32_e32 v5, v5, v8
	v_mul_lo_u32 v5, v5, s19
	v_add3_u32 v0, v3, v0, v5
	s_cbranch_scc1 .LBB93_12
; %bb.13:
	s_and_b32 s6, s25, 3
	s_cmp_eq_u32 s6, 0
	s_cbranch_scc0 .LBB93_25
	s_branch .LBB93_27
.LBB93_14:
	s_or_b64 exec, exec, s[40:41]
	v_cmp_gt_i32_e32 vcc, s48, v7
	s_and_saveexec_b64 s[40:41], vcc
	s_cbranch_execz .LBB93_139
.LBB93_15:
	s_andn2_b64 vcc, exec, s[22:23]
	s_cbranch_vccnz .LBB93_22
; %bb.16:
	s_andn2_b64 vcc, exec, s[38:39]
	s_cbranch_vccnz .LBB93_130
; %bb.17:
	s_add_i32 s51, s49, 1
	s_cmp_eq_u32 s46, 2
	s_cbranch_scc1 .LBB93_147
; %bb.18:
	s_and_b32 s50, s51, 28
	s_mov_b32 s52, 0
	v_mov_b32_e32 v0, 0
	s_mov_b64 s[42:43], s[20:21]
	s_mov_b64 s[44:45], s[36:37]
	v_mov_b32_e32 v1, v7
.LBB93_19:                              ; =>This Inner Loop Header: Depth=1
	s_load_dwordx8 s[0:7], s[42:43], 0x4
	s_load_dwordx4 s[12:15], s[42:43], 0x24
	s_load_dwordx4 s[16:19], s[44:45], 0x0
	s_add_u32 s42, s42, 48
	s_addc_u32 s43, s43, 0
	s_waitcnt lgkmcnt(0)
	v_mul_hi_u32 v2, s1, v1
	s_add_i32 s52, s52, 4
	s_add_u32 s44, s44, 16
	s_addc_u32 s45, s45, 0
	v_add_u32_e32 v2, v1, v2
	v_lshrrev_b32_e32 v2, s2, v2
	v_mul_lo_u32 v3, v2, s0
	v_mul_hi_u32 v4, s4, v2
	s_cmp_eq_u32 s50, s52
	v_sub_u32_e32 v1, v1, v3
	v_add_u32_e32 v3, v2, v4
	v_lshrrev_b32_e32 v3, s5, v3
	v_mul_lo_u32 v4, v1, s16
	v_mul_hi_u32 v1, s7, v3
	v_mul_lo_u32 v6, v3, s3
	v_add_u32_e32 v1, v3, v1
	v_lshrrev_b32_e32 v5, s12, v1
	v_mul_hi_u32 v1, s14, v5
	v_sub_u32_e32 v2, v2, v6
	v_mul_lo_u32 v6, v5, s6
	v_mul_lo_u32 v2, v2, s17
	v_add_u32_e32 v1, v5, v1
	v_lshrrev_b32_e32 v1, s15, v1
	v_mul_lo_u32 v8, v1, s13
	v_sub_u32_e32 v3, v3, v6
	v_mul_lo_u32 v3, v3, s18
	v_add3_u32 v0, v4, v0, v2
	v_sub_u32_e32 v5, v5, v8
	v_mul_lo_u32 v5, v5, s19
	v_add3_u32 v0, v3, v0, v5
	s_cbranch_scc0 .LBB93_19
	s_branch .LBB93_148
.LBB93_20:
                                        ; implicit-def: $vgpr0
	s_branch .LBB93_28
.LBB93_21:
                                        ; implicit-def: $vgpr0
	s_branch .LBB93_136
.LBB93_22:
                                        ; implicit-def: $vgpr0
	s_branch .LBB93_152
.LBB93_23:
	v_mov_b32_e32 v0, 0
	s_branch .LBB93_27
.LBB93_24:
	v_mov_b32_e32 v0, 0
	v_mov_b32_e32 v1, v7
	s_and_b32 s6, s25, 3
	s_cmp_eq_u32 s6, 0
	s_cbranch_scc1 .LBB93_27
.LBB93_25:
	s_lshl_b32 s2, s24, 2
	s_add_u32 s2, s20, s2
	s_addc_u32 s3, s21, 0
	s_add_u32 s2, s2, 0xc4
	s_addc_u32 s3, s3, 0
	s_mul_i32 s4, s24, 12
	s_add_u32 s4, s20, s4
	s_addc_u32 s5, s21, 0
.LBB93_26:                              ; =>This Inner Loop Header: Depth=1
	s_waitcnt lgkmcnt(0)
	s_load_dwordx2 s[8:9], s[4:5], 0x4
	s_load_dword s7, s[4:5], 0xc
	s_add_u32 s4, s4, 12
	s_addc_u32 s5, s5, 0
	s_waitcnt lgkmcnt(0)
	v_mul_hi_u32 v2, s9, v1
	s_load_dword s9, s[2:3], 0x0
	s_add_u32 s2, s2, 4
	s_addc_u32 s3, s3, 0
	v_add_u32_e32 v2, v1, v2
	v_lshrrev_b32_e32 v2, s7, v2
	v_mul_lo_u32 v3, v2, s8
	s_add_i32 s6, s6, -1
	s_cmp_lg_u32 s6, 0
	v_sub_u32_e32 v1, v1, v3
	s_waitcnt lgkmcnt(0)
	v_mad_u64_u32 v[0:1], s[8:9], v1, s9, v[0:1]
	v_mov_b32_e32 v1, v2
	s_cbranch_scc1 .LBB93_26
.LBB93_27:
	s_cbranch_execnz .LBB93_30
.LBB93_28:
	s_load_dwordx4 s[4:7], s[20:21], 0x4
	s_load_dword s2, s[20:21], 0xc4
	s_cmp_lt_u32 s33, 2
	s_waitcnt lgkmcnt(0)
	v_mul_hi_u32 v0, s5, v7
	v_add_u32_e32 v0, v7, v0
	v_lshrrev_b32_e32 v1, s6, v0
	v_mul_lo_u32 v0, v1, s4
	v_sub_u32_e32 v0, v7, v0
	v_mul_lo_u32 v0, v0, s2
	s_cbranch_scc1 .LBB93_30
; %bb.29:
	s_load_dwordx4 s[4:7], s[20:21], 0x10
	s_load_dword s2, s[20:21], 0xc8
	s_waitcnt lgkmcnt(0)
	v_mul_hi_u32 v2, s5, v1
	v_add_u32_e32 v2, v1, v2
	v_lshrrev_b32_e32 v2, s6, v2
	v_mul_lo_u32 v2, v2, s4
	v_sub_u32_e32 v1, v1, v2
	v_mad_u64_u32 v[0:1], s[2:3], v1, s2, v[0:1]
.LBB93_30:
	s_and_b64 vcc, exec, s[0:1]
	v_add_u32_e32 v3, 0x80, v7
	s_cbranch_vccnz .LBB93_36
; %bb.31:
	s_cmp_lg_u32 s33, 0
	s_mov_b32 s24, 0
	s_cbranch_scc0 .LBB93_37
; %bb.32:
	s_min_u32 s25, s46, 15
	s_add_i32 s25, s25, 1
	s_cmp_eq_u32 s46, 2
	s_cbranch_scc1 .LBB93_38
; %bb.33:
	s_and_b32 s24, s25, 28
	s_add_u32 s2, s20, 0xc4
	s_addc_u32 s3, s21, 0
	s_waitcnt lgkmcnt(0)
	s_mov_b32 s26, 0
	v_mov_b32_e32 v1, 0
	s_mov_b64 s[22:23], s[20:21]
	v_mov_b32_e32 v2, v3
.LBB93_34:                              ; =>This Inner Loop Header: Depth=1
	s_load_dwordx8 s[4:11], s[22:23], 0x4
	s_load_dwordx4 s[12:15], s[22:23], 0x24
	s_load_dwordx4 s[16:19], s[2:3], 0x0
	s_add_u32 s22, s22, 48
	s_addc_u32 s23, s23, 0
	s_waitcnt lgkmcnt(0)
	v_mul_hi_u32 v4, s5, v2
	s_add_i32 s26, s26, 4
	s_add_u32 s2, s2, 16
	s_addc_u32 s3, s3, 0
	v_add_u32_e32 v4, v2, v4
	v_lshrrev_b32_e32 v4, s6, v4
	v_mul_lo_u32 v5, v4, s4
	v_mul_hi_u32 v6, s8, v4
	s_cmp_lg_u32 s24, s26
	v_sub_u32_e32 v2, v2, v5
	v_add_u32_e32 v5, v4, v6
	v_lshrrev_b32_e32 v5, s9, v5
	v_mul_lo_u32 v6, v2, s16
	v_mul_hi_u32 v2, s11, v5
	v_mul_lo_u32 v10, v5, s7
	v_add_u32_e32 v2, v5, v2
	v_lshrrev_b32_e32 v8, s12, v2
	v_mul_hi_u32 v2, s14, v8
	v_sub_u32_e32 v4, v4, v10
	v_mul_lo_u32 v10, v8, s10
	v_mul_lo_u32 v4, v4, s17
	v_add_u32_e32 v2, v8, v2
	v_lshrrev_b32_e32 v2, s15, v2
	v_mul_lo_u32 v11, v2, s13
	v_sub_u32_e32 v5, v5, v10
	v_mul_lo_u32 v5, v5, s18
	v_add3_u32 v1, v6, v1, v4
	v_sub_u32_e32 v8, v8, v11
	v_mul_lo_u32 v8, v8, s19
	v_add3_u32 v1, v5, v1, v8
	s_cbranch_scc1 .LBB93_34
; %bb.35:
	s_and_b32 s6, s25, 3
	s_cmp_eq_u32 s6, 0
	s_cbranch_scc0 .LBB93_39
	s_branch .LBB93_41
.LBB93_36:
                                        ; implicit-def: $vgpr1
	s_branch .LBB93_42
.LBB93_37:
	v_mov_b32_e32 v1, 0
	s_branch .LBB93_41
.LBB93_38:
	v_mov_b32_e32 v1, 0
	v_mov_b32_e32 v2, v3
	s_and_b32 s6, s25, 3
	s_cmp_eq_u32 s6, 0
	s_cbranch_scc1 .LBB93_41
.LBB93_39:
	s_lshl_b32 s2, s24, 2
	s_add_u32 s2, s20, s2
	s_addc_u32 s3, s21, 0
	s_add_u32 s2, s2, 0xc4
	s_addc_u32 s3, s3, 0
	s_mul_i32 s4, s24, 12
	s_add_u32 s4, s20, s4
	s_addc_u32 s5, s21, 0
.LBB93_40:                              ; =>This Inner Loop Header: Depth=1
	s_waitcnt lgkmcnt(0)
	s_load_dwordx2 s[8:9], s[4:5], 0x4
	s_load_dword s7, s[4:5], 0xc
	s_add_u32 s4, s4, 12
	s_addc_u32 s5, s5, 0
	s_waitcnt lgkmcnt(0)
	v_mul_hi_u32 v4, s9, v2
	s_load_dword s9, s[2:3], 0x0
	s_add_u32 s2, s2, 4
	s_addc_u32 s3, s3, 0
	v_add_u32_e32 v4, v2, v4
	v_lshrrev_b32_e32 v4, s7, v4
	v_mul_lo_u32 v5, v4, s8
	s_add_i32 s6, s6, -1
	s_cmp_lg_u32 s6, 0
	v_sub_u32_e32 v2, v2, v5
	s_waitcnt lgkmcnt(0)
	v_mad_u64_u32 v[1:2], s[8:9], v2, s9, v[1:2]
	v_mov_b32_e32 v2, v4
	s_cbranch_scc1 .LBB93_40
.LBB93_41:
	s_cbranch_execnz .LBB93_44
.LBB93_42:
	s_load_dwordx4 s[4:7], s[20:21], 0x4
	s_load_dword s2, s[20:21], 0xc4
	s_cmp_lt_u32 s33, 2
	s_waitcnt lgkmcnt(0)
	v_mul_hi_u32 v1, s5, v3
	v_add_u32_e32 v1, v3, v1
	v_lshrrev_b32_e32 v2, s6, v1
	v_mul_lo_u32 v1, v2, s4
	v_sub_u32_e32 v1, v3, v1
	v_mul_lo_u32 v1, v1, s2
	s_cbranch_scc1 .LBB93_44
; %bb.43:
	s_load_dwordx4 s[4:7], s[20:21], 0x10
	s_load_dword s2, s[20:21], 0xc8
	s_waitcnt lgkmcnt(0)
	v_mul_hi_u32 v3, s5, v2
	v_add_u32_e32 v3, v2, v3
	v_lshrrev_b32_e32 v3, s6, v3
	v_mul_lo_u32 v3, v3, s4
	v_sub_u32_e32 v2, v2, v3
	v_mad_u64_u32 v[1:2], s[2:3], v2, s2, v[1:2]
.LBB93_44:
	s_and_b64 vcc, exec, s[0:1]
	v_add_u32_e32 v4, 0x100, v7
	s_cbranch_vccnz .LBB93_50
; %bb.45:
	s_cmp_lg_u32 s33, 0
	s_mov_b32 s24, 0
	s_cbranch_scc0 .LBB93_51
; %bb.46:
	s_min_u32 s25, s46, 15
	s_add_i32 s25, s25, 1
	s_cmp_eq_u32 s46, 2
	s_cbranch_scc1 .LBB93_52
; %bb.47:
	s_and_b32 s24, s25, 28
	s_add_u32 s2, s20, 0xc4
	s_addc_u32 s3, s21, 0
	s_waitcnt lgkmcnt(0)
	s_mov_b32 s26, 0
	v_mov_b32_e32 v2, 0
	s_mov_b64 s[22:23], s[20:21]
	v_mov_b32_e32 v3, v4
.LBB93_48:                              ; =>This Inner Loop Header: Depth=1
	s_load_dwordx8 s[4:11], s[22:23], 0x4
	s_load_dwordx4 s[12:15], s[22:23], 0x24
	s_load_dwordx4 s[16:19], s[2:3], 0x0
	s_add_u32 s22, s22, 48
	s_addc_u32 s23, s23, 0
	s_waitcnt lgkmcnt(0)
	v_mul_hi_u32 v5, s5, v3
	s_add_i32 s26, s26, 4
	s_add_u32 s2, s2, 16
	s_addc_u32 s3, s3, 0
	v_add_u32_e32 v5, v3, v5
	v_lshrrev_b32_e32 v5, s6, v5
	v_mul_lo_u32 v6, v5, s4
	v_mul_hi_u32 v8, s8, v5
	s_cmp_lg_u32 s24, s26
	v_sub_u32_e32 v3, v3, v6
	v_add_u32_e32 v6, v5, v8
	v_lshrrev_b32_e32 v6, s9, v6
	v_mul_lo_u32 v8, v3, s16
	v_mul_hi_u32 v3, s11, v6
	v_mul_lo_u32 v11, v6, s7
	v_add_u32_e32 v3, v6, v3
	v_lshrrev_b32_e32 v10, s12, v3
	v_mul_hi_u32 v3, s14, v10
	v_sub_u32_e32 v5, v5, v11
	v_mul_lo_u32 v11, v10, s10
	v_mul_lo_u32 v5, v5, s17
	v_add_u32_e32 v3, v10, v3
	v_lshrrev_b32_e32 v3, s15, v3
	v_mul_lo_u32 v12, v3, s13
	v_sub_u32_e32 v6, v6, v11
	v_mul_lo_u32 v6, v6, s18
	v_add3_u32 v2, v8, v2, v5
	v_sub_u32_e32 v10, v10, v12
	v_mul_lo_u32 v10, v10, s19
	v_add3_u32 v2, v6, v2, v10
	s_cbranch_scc1 .LBB93_48
; %bb.49:
	s_and_b32 s6, s25, 3
	s_cmp_eq_u32 s6, 0
	s_cbranch_scc0 .LBB93_53
	s_branch .LBB93_55
.LBB93_50:
                                        ; implicit-def: $vgpr2
	s_branch .LBB93_56
.LBB93_51:
	v_mov_b32_e32 v2, 0
	s_branch .LBB93_55
.LBB93_52:
	v_mov_b32_e32 v2, 0
	v_mov_b32_e32 v3, v4
	s_and_b32 s6, s25, 3
	s_cmp_eq_u32 s6, 0
	s_cbranch_scc1 .LBB93_55
.LBB93_53:
	s_lshl_b32 s2, s24, 2
	s_add_u32 s2, s20, s2
	s_addc_u32 s3, s21, 0
	s_add_u32 s2, s2, 0xc4
	s_addc_u32 s3, s3, 0
	s_mul_i32 s4, s24, 12
	s_add_u32 s4, s20, s4
	s_addc_u32 s5, s21, 0
.LBB93_54:                              ; =>This Inner Loop Header: Depth=1
	s_waitcnt lgkmcnt(0)
	s_load_dwordx2 s[8:9], s[4:5], 0x4
	s_load_dword s7, s[4:5], 0xc
	s_add_u32 s4, s4, 12
	s_addc_u32 s5, s5, 0
	s_waitcnt lgkmcnt(0)
	v_mul_hi_u32 v5, s9, v3
	s_load_dword s9, s[2:3], 0x0
	s_add_u32 s2, s2, 4
	s_addc_u32 s3, s3, 0
	v_add_u32_e32 v5, v3, v5
	v_lshrrev_b32_e32 v5, s7, v5
	v_mul_lo_u32 v6, v5, s8
	s_add_i32 s6, s6, -1
	s_cmp_lg_u32 s6, 0
	v_sub_u32_e32 v3, v3, v6
	s_waitcnt lgkmcnt(0)
	v_mad_u64_u32 v[2:3], s[8:9], v3, s9, v[2:3]
	v_mov_b32_e32 v3, v5
	s_cbranch_scc1 .LBB93_54
.LBB93_55:
	s_cbranch_execnz .LBB93_58
.LBB93_56:
	s_load_dwordx4 s[4:7], s[20:21], 0x4
	s_load_dword s2, s[20:21], 0xc4
	s_cmp_lt_u32 s33, 2
	s_waitcnt lgkmcnt(0)
	v_mul_hi_u32 v2, s5, v4
	v_add_u32_e32 v2, v4, v2
	v_lshrrev_b32_e32 v3, s6, v2
	v_mul_lo_u32 v2, v3, s4
	v_sub_u32_e32 v2, v4, v2
	v_mul_lo_u32 v2, v2, s2
	s_cbranch_scc1 .LBB93_58
; %bb.57:
	s_load_dwordx4 s[4:7], s[20:21], 0x10
	s_load_dword s2, s[20:21], 0xc8
	s_waitcnt lgkmcnt(0)
	v_mul_hi_u32 v4, s5, v3
	v_add_u32_e32 v4, v3, v4
	v_lshrrev_b32_e32 v4, s6, v4
	v_mul_lo_u32 v4, v4, s4
	v_sub_u32_e32 v3, v3, v4
	v_mad_u64_u32 v[2:3], s[2:3], v3, s2, v[2:3]
.LBB93_58:
	s_and_b64 vcc, exec, s[0:1]
	v_add_u32_e32 v5, 0x180, v7
	s_cbranch_vccnz .LBB93_64
; %bb.59:
	s_cmp_lg_u32 s33, 0
	s_mov_b32 s24, 0
	s_cbranch_scc0 .LBB93_65
; %bb.60:
	s_min_u32 s25, s46, 15
	s_add_i32 s25, s25, 1
	s_cmp_eq_u32 s46, 2
	s_cbranch_scc1 .LBB93_66
; %bb.61:
	s_and_b32 s24, s25, 28
	s_add_u32 s2, s20, 0xc4
	s_addc_u32 s3, s21, 0
	s_waitcnt lgkmcnt(0)
	s_mov_b32 s26, 0
	v_mov_b32_e32 v3, 0
	s_mov_b64 s[22:23], s[20:21]
	v_mov_b32_e32 v4, v5
.LBB93_62:                              ; =>This Inner Loop Header: Depth=1
	s_load_dwordx8 s[4:11], s[22:23], 0x4
	s_load_dwordx4 s[12:15], s[22:23], 0x24
	s_load_dwordx4 s[16:19], s[2:3], 0x0
	s_add_u32 s22, s22, 48
	s_addc_u32 s23, s23, 0
	s_waitcnt lgkmcnt(0)
	v_mul_hi_u32 v6, s5, v4
	s_add_i32 s26, s26, 4
	s_add_u32 s2, s2, 16
	s_addc_u32 s3, s3, 0
	v_add_u32_e32 v6, v4, v6
	v_lshrrev_b32_e32 v6, s6, v6
	v_mul_lo_u32 v8, v6, s4
	v_mul_hi_u32 v10, s8, v6
	s_cmp_lg_u32 s24, s26
	v_sub_u32_e32 v4, v4, v8
	v_add_u32_e32 v8, v6, v10
	v_lshrrev_b32_e32 v8, s9, v8
	v_mul_lo_u32 v10, v4, s16
	v_mul_hi_u32 v4, s11, v8
	v_mul_lo_u32 v12, v8, s7
	v_add_u32_e32 v4, v8, v4
	v_lshrrev_b32_e32 v11, s12, v4
	v_mul_hi_u32 v4, s14, v11
	v_sub_u32_e32 v6, v6, v12
	v_mul_lo_u32 v12, v11, s10
	v_mul_lo_u32 v6, v6, s17
	v_add_u32_e32 v4, v11, v4
	v_lshrrev_b32_e32 v4, s15, v4
	v_mul_lo_u32 v13, v4, s13
	v_sub_u32_e32 v8, v8, v12
	v_mul_lo_u32 v8, v8, s18
	v_add3_u32 v3, v10, v3, v6
	v_sub_u32_e32 v11, v11, v13
	v_mul_lo_u32 v11, v11, s19
	v_add3_u32 v3, v8, v3, v11
	s_cbranch_scc1 .LBB93_62
; %bb.63:
	s_and_b32 s6, s25, 3
	s_cmp_eq_u32 s6, 0
	s_cbranch_scc0 .LBB93_67
	s_branch .LBB93_69
.LBB93_64:
                                        ; implicit-def: $vgpr3
	s_branch .LBB93_70
.LBB93_65:
	v_mov_b32_e32 v3, 0
	s_branch .LBB93_69
.LBB93_66:
	v_mov_b32_e32 v3, 0
	v_mov_b32_e32 v4, v5
	s_and_b32 s6, s25, 3
	s_cmp_eq_u32 s6, 0
	s_cbranch_scc1 .LBB93_69
.LBB93_67:
	s_lshl_b32 s2, s24, 2
	s_add_u32 s2, s20, s2
	s_addc_u32 s3, s21, 0
	s_add_u32 s2, s2, 0xc4
	s_addc_u32 s3, s3, 0
	s_mul_i32 s4, s24, 12
	s_add_u32 s4, s20, s4
	s_addc_u32 s5, s21, 0
.LBB93_68:                              ; =>This Inner Loop Header: Depth=1
	s_waitcnt lgkmcnt(0)
	s_load_dwordx2 s[8:9], s[4:5], 0x4
	s_load_dword s7, s[4:5], 0xc
	s_add_u32 s4, s4, 12
	s_addc_u32 s5, s5, 0
	s_waitcnt lgkmcnt(0)
	v_mul_hi_u32 v6, s9, v4
	s_load_dword s9, s[2:3], 0x0
	s_add_u32 s2, s2, 4
	s_addc_u32 s3, s3, 0
	v_add_u32_e32 v6, v4, v6
	v_lshrrev_b32_e32 v6, s7, v6
	v_mul_lo_u32 v8, v6, s8
	s_add_i32 s6, s6, -1
	s_cmp_lg_u32 s6, 0
	v_sub_u32_e32 v4, v4, v8
	s_waitcnt lgkmcnt(0)
	v_mad_u64_u32 v[3:4], s[8:9], v4, s9, v[3:4]
	v_mov_b32_e32 v4, v6
	s_cbranch_scc1 .LBB93_68
.LBB93_69:
	s_cbranch_execnz .LBB93_72
.LBB93_70:
	s_load_dwordx4 s[4:7], s[20:21], 0x4
	s_load_dword s2, s[20:21], 0xc4
	s_cmp_lt_u32 s33, 2
	s_waitcnt lgkmcnt(0)
	v_mul_hi_u32 v3, s5, v5
	v_add_u32_e32 v3, v5, v3
	v_lshrrev_b32_e32 v4, s6, v3
	v_mul_lo_u32 v3, v4, s4
	v_sub_u32_e32 v3, v5, v3
	v_mul_lo_u32 v3, v3, s2
	s_cbranch_scc1 .LBB93_72
; %bb.71:
	s_load_dwordx4 s[4:7], s[20:21], 0x10
	s_load_dword s2, s[20:21], 0xc8
	s_waitcnt lgkmcnt(0)
	v_mul_hi_u32 v5, s5, v4
	v_add_u32_e32 v5, v4, v5
	v_lshrrev_b32_e32 v5, s6, v5
	v_mul_lo_u32 v5, v5, s4
	v_sub_u32_e32 v4, v4, v5
	v_mad_u64_u32 v[3:4], s[2:3], v4, s2, v[3:4]
.LBB93_72:
	s_and_b64 vcc, exec, s[0:1]
	v_add_u32_e32 v6, 0x200, v7
	s_cbranch_vccnz .LBB93_78
; %bb.73:
	s_cmp_lg_u32 s33, 0
	s_mov_b32 s24, 0
	s_cbranch_scc0 .LBB93_79
; %bb.74:
	s_min_u32 s25, s46, 15
	s_add_i32 s25, s25, 1
	s_cmp_eq_u32 s46, 2
	s_cbranch_scc1 .LBB93_80
; %bb.75:
	s_and_b32 s24, s25, 28
	s_add_u32 s2, s20, 0xc4
	s_addc_u32 s3, s21, 0
	s_waitcnt lgkmcnt(0)
	s_mov_b32 s26, 0
	v_mov_b32_e32 v4, 0
	s_mov_b64 s[22:23], s[20:21]
	v_mov_b32_e32 v5, v6
.LBB93_76:                              ; =>This Inner Loop Header: Depth=1
	s_load_dwordx8 s[4:11], s[22:23], 0x4
	s_load_dwordx4 s[12:15], s[22:23], 0x24
	s_load_dwordx4 s[16:19], s[2:3], 0x0
	s_add_u32 s22, s22, 48
	s_addc_u32 s23, s23, 0
	s_waitcnt lgkmcnt(0)
	v_mul_hi_u32 v8, s5, v5
	s_add_i32 s26, s26, 4
	s_add_u32 s2, s2, 16
	s_addc_u32 s3, s3, 0
	v_add_u32_e32 v8, v5, v8
	v_lshrrev_b32_e32 v8, s6, v8
	v_mul_lo_u32 v10, v8, s4
	v_mul_hi_u32 v11, s8, v8
	s_cmp_lg_u32 s24, s26
	v_sub_u32_e32 v5, v5, v10
	v_add_u32_e32 v10, v8, v11
	v_lshrrev_b32_e32 v10, s9, v10
	v_mul_lo_u32 v11, v5, s16
	v_mul_hi_u32 v5, s11, v10
	v_mul_lo_u32 v13, v10, s7
	v_add_u32_e32 v5, v10, v5
	v_lshrrev_b32_e32 v12, s12, v5
	v_mul_hi_u32 v5, s14, v12
	v_sub_u32_e32 v8, v8, v13
	v_mul_lo_u32 v13, v12, s10
	v_mul_lo_u32 v8, v8, s17
	v_add_u32_e32 v5, v12, v5
	v_lshrrev_b32_e32 v5, s15, v5
	v_mul_lo_u32 v14, v5, s13
	v_sub_u32_e32 v10, v10, v13
	v_mul_lo_u32 v10, v10, s18
	v_add3_u32 v4, v11, v4, v8
	v_sub_u32_e32 v12, v12, v14
	v_mul_lo_u32 v12, v12, s19
	v_add3_u32 v4, v10, v4, v12
	s_cbranch_scc1 .LBB93_76
; %bb.77:
	s_and_b32 s6, s25, 3
	s_cmp_eq_u32 s6, 0
	s_cbranch_scc0 .LBB93_81
	s_branch .LBB93_83
.LBB93_78:
                                        ; implicit-def: $vgpr4
	s_branch .LBB93_84
.LBB93_79:
	v_mov_b32_e32 v4, 0
	s_branch .LBB93_83
.LBB93_80:
	v_mov_b32_e32 v4, 0
	v_mov_b32_e32 v5, v6
	s_and_b32 s6, s25, 3
	s_cmp_eq_u32 s6, 0
	s_cbranch_scc1 .LBB93_83
.LBB93_81:
	s_lshl_b32 s2, s24, 2
	s_add_u32 s2, s20, s2
	s_addc_u32 s3, s21, 0
	s_add_u32 s2, s2, 0xc4
	s_addc_u32 s3, s3, 0
	s_mul_i32 s4, s24, 12
	s_add_u32 s4, s20, s4
	s_addc_u32 s5, s21, 0
.LBB93_82:                              ; =>This Inner Loop Header: Depth=1
	s_waitcnt lgkmcnt(0)
	s_load_dwordx2 s[8:9], s[4:5], 0x4
	s_load_dword s7, s[4:5], 0xc
	s_add_u32 s4, s4, 12
	s_addc_u32 s5, s5, 0
	s_waitcnt lgkmcnt(0)
	v_mul_hi_u32 v8, s9, v5
	s_load_dword s9, s[2:3], 0x0
	s_add_u32 s2, s2, 4
	s_addc_u32 s3, s3, 0
	v_add_u32_e32 v8, v5, v8
	v_lshrrev_b32_e32 v8, s7, v8
	v_mul_lo_u32 v10, v8, s8
	s_add_i32 s6, s6, -1
	s_cmp_lg_u32 s6, 0
	v_sub_u32_e32 v5, v5, v10
	s_waitcnt lgkmcnt(0)
	v_mad_u64_u32 v[4:5], s[8:9], v5, s9, v[4:5]
	v_mov_b32_e32 v5, v8
	s_cbranch_scc1 .LBB93_82
.LBB93_83:
	s_cbranch_execnz .LBB93_86
.LBB93_84:
	s_load_dwordx4 s[4:7], s[20:21], 0x4
	s_load_dword s2, s[20:21], 0xc4
	s_cmp_lt_u32 s33, 2
	s_waitcnt lgkmcnt(0)
	v_mul_hi_u32 v4, s5, v6
	v_add_u32_e32 v4, v6, v4
	v_lshrrev_b32_e32 v5, s6, v4
	v_mul_lo_u32 v4, v5, s4
	v_sub_u32_e32 v4, v6, v4
	v_mul_lo_u32 v4, v4, s2
	s_cbranch_scc1 .LBB93_86
; %bb.85:
	s_load_dwordx4 s[4:7], s[20:21], 0x10
	s_load_dword s2, s[20:21], 0xc8
	s_waitcnt lgkmcnt(0)
	v_mul_hi_u32 v6, s5, v5
	v_add_u32_e32 v6, v5, v6
	v_lshrrev_b32_e32 v6, s6, v6
	v_mul_lo_u32 v6, v6, s4
	v_sub_u32_e32 v5, v5, v6
	v_mad_u64_u32 v[4:5], s[2:3], v5, s2, v[4:5]
.LBB93_86:
	s_and_b64 vcc, exec, s[0:1]
	v_add_u32_e32 v8, 0x280, v7
	s_cbranch_vccnz .LBB93_92
; %bb.87:
	s_cmp_lg_u32 s33, 0
	s_mov_b32 s24, 0
	s_cbranch_scc0 .LBB93_93
; %bb.88:
	s_min_u32 s25, s46, 15
	s_add_i32 s25, s25, 1
	s_cmp_eq_u32 s46, 2
	s_cbranch_scc1 .LBB93_94
; %bb.89:
	s_and_b32 s24, s25, 28
	s_add_u32 s2, s20, 0xc4
	s_addc_u32 s3, s21, 0
	s_waitcnt lgkmcnt(0)
	s_mov_b32 s26, 0
	v_mov_b32_e32 v5, 0
	s_mov_b64 s[22:23], s[20:21]
	v_mov_b32_e32 v6, v8
.LBB93_90:                              ; =>This Inner Loop Header: Depth=1
	s_load_dwordx8 s[4:11], s[22:23], 0x4
	s_load_dwordx4 s[12:15], s[22:23], 0x24
	s_load_dwordx4 s[16:19], s[2:3], 0x0
	s_add_u32 s22, s22, 48
	s_addc_u32 s23, s23, 0
	s_waitcnt lgkmcnt(0)
	v_mul_hi_u32 v10, s5, v6
	s_add_i32 s26, s26, 4
	s_add_u32 s2, s2, 16
	s_addc_u32 s3, s3, 0
	v_add_u32_e32 v10, v6, v10
	v_lshrrev_b32_e32 v10, s6, v10
	v_mul_lo_u32 v11, v10, s4
	v_mul_hi_u32 v12, s8, v10
	s_cmp_lg_u32 s24, s26
	v_sub_u32_e32 v6, v6, v11
	v_add_u32_e32 v11, v10, v12
	v_lshrrev_b32_e32 v11, s9, v11
	v_mul_lo_u32 v12, v6, s16
	v_mul_hi_u32 v6, s11, v11
	v_mul_lo_u32 v14, v11, s7
	v_add_u32_e32 v6, v11, v6
	v_lshrrev_b32_e32 v13, s12, v6
	v_mul_hi_u32 v6, s14, v13
	v_sub_u32_e32 v10, v10, v14
	v_mul_lo_u32 v14, v13, s10
	v_mul_lo_u32 v10, v10, s17
	v_add_u32_e32 v6, v13, v6
	v_lshrrev_b32_e32 v6, s15, v6
	v_mul_lo_u32 v15, v6, s13
	v_sub_u32_e32 v11, v11, v14
	v_mul_lo_u32 v11, v11, s18
	v_add3_u32 v5, v12, v5, v10
	v_sub_u32_e32 v13, v13, v15
	v_mul_lo_u32 v13, v13, s19
	v_add3_u32 v5, v11, v5, v13
	s_cbranch_scc1 .LBB93_90
; %bb.91:
	s_and_b32 s6, s25, 3
	s_cmp_eq_u32 s6, 0
	s_cbranch_scc0 .LBB93_95
	s_branch .LBB93_97
.LBB93_92:
                                        ; implicit-def: $vgpr5
	s_branch .LBB93_98
.LBB93_93:
	v_mov_b32_e32 v5, 0
	s_branch .LBB93_97
.LBB93_94:
	v_mov_b32_e32 v5, 0
	v_mov_b32_e32 v6, v8
	s_and_b32 s6, s25, 3
	s_cmp_eq_u32 s6, 0
	s_cbranch_scc1 .LBB93_97
.LBB93_95:
	s_lshl_b32 s2, s24, 2
	s_add_u32 s2, s20, s2
	s_addc_u32 s3, s21, 0
	s_add_u32 s2, s2, 0xc4
	s_addc_u32 s3, s3, 0
	s_mul_i32 s4, s24, 12
	s_add_u32 s4, s20, s4
	s_addc_u32 s5, s21, 0
.LBB93_96:                              ; =>This Inner Loop Header: Depth=1
	s_waitcnt lgkmcnt(0)
	s_load_dwordx2 s[8:9], s[4:5], 0x4
	s_load_dword s7, s[4:5], 0xc
	s_add_u32 s4, s4, 12
	s_addc_u32 s5, s5, 0
	s_waitcnt lgkmcnt(0)
	v_mul_hi_u32 v10, s9, v6
	s_load_dword s9, s[2:3], 0x0
	s_add_u32 s2, s2, 4
	s_addc_u32 s3, s3, 0
	v_add_u32_e32 v10, v6, v10
	v_lshrrev_b32_e32 v10, s7, v10
	v_mul_lo_u32 v11, v10, s8
	s_add_i32 s6, s6, -1
	s_cmp_lg_u32 s6, 0
	v_sub_u32_e32 v6, v6, v11
	s_waitcnt lgkmcnt(0)
	v_mad_u64_u32 v[5:6], s[8:9], v6, s9, v[5:6]
	v_mov_b32_e32 v6, v10
	s_cbranch_scc1 .LBB93_96
.LBB93_97:
	s_cbranch_execnz .LBB93_100
.LBB93_98:
	s_load_dwordx4 s[4:7], s[20:21], 0x4
	s_load_dword s2, s[20:21], 0xc4
	s_cmp_lt_u32 s33, 2
	s_waitcnt lgkmcnt(0)
	v_mul_hi_u32 v5, s5, v8
	v_add_u32_e32 v5, v8, v5
	v_lshrrev_b32_e32 v6, s6, v5
	v_mul_lo_u32 v5, v6, s4
	v_sub_u32_e32 v5, v8, v5
	v_mul_lo_u32 v5, v5, s2
	s_cbranch_scc1 .LBB93_100
; %bb.99:
	s_load_dwordx4 s[4:7], s[20:21], 0x10
	s_load_dword s2, s[20:21], 0xc8
	s_waitcnt lgkmcnt(0)
	v_mul_hi_u32 v8, s5, v6
	v_add_u32_e32 v8, v6, v8
	v_lshrrev_b32_e32 v8, s6, v8
	v_mul_lo_u32 v8, v8, s4
	v_sub_u32_e32 v6, v6, v8
	v_mad_u64_u32 v[5:6], s[2:3], v6, s2, v[5:6]
.LBB93_100:
	s_and_b64 vcc, exec, s[0:1]
	v_add_u32_e32 v8, 0x300, v7
	s_cbranch_vccnz .LBB93_106
; %bb.101:
	s_cmp_lg_u32 s33, 0
	s_mov_b32 s24, 0
	s_cbranch_scc0 .LBB93_107
; %bb.102:
	s_min_u32 s25, s46, 15
	s_add_i32 s25, s25, 1
	s_cmp_eq_u32 s46, 2
	s_cbranch_scc1 .LBB93_108
; %bb.103:
	s_and_b32 s24, s25, 28
	s_add_u32 s2, s20, 0xc4
	s_addc_u32 s3, s21, 0
	s_waitcnt lgkmcnt(0)
	s_mov_b32 s26, 0
	v_mov_b32_e32 v6, 0
	s_mov_b64 s[22:23], s[20:21]
	v_mov_b32_e32 v7, v8
.LBB93_104:                             ; =>This Inner Loop Header: Depth=1
	s_load_dwordx8 s[4:11], s[22:23], 0x4
	s_load_dwordx4 s[12:15], s[22:23], 0x24
	s_load_dwordx4 s[16:19], s[2:3], 0x0
	s_add_u32 s22, s22, 48
	s_addc_u32 s23, s23, 0
	s_waitcnt lgkmcnt(0)
	v_mul_hi_u32 v10, s5, v7
	s_add_i32 s26, s26, 4
	s_add_u32 s2, s2, 16
	s_addc_u32 s3, s3, 0
	v_add_u32_e32 v10, v7, v10
	v_lshrrev_b32_e32 v10, s6, v10
	v_mul_lo_u32 v11, v10, s4
	v_mul_hi_u32 v12, s8, v10
	s_cmp_lg_u32 s24, s26
	v_sub_u32_e32 v7, v7, v11
	v_add_u32_e32 v11, v10, v12
	v_lshrrev_b32_e32 v11, s9, v11
	v_mul_lo_u32 v12, v7, s16
	v_mul_hi_u32 v7, s11, v11
	v_mul_lo_u32 v14, v11, s7
	v_add_u32_e32 v7, v11, v7
	v_lshrrev_b32_e32 v13, s12, v7
	v_mul_hi_u32 v7, s14, v13
	v_sub_u32_e32 v10, v10, v14
	v_mul_lo_u32 v14, v13, s10
	v_mul_lo_u32 v10, v10, s17
	v_add_u32_e32 v7, v13, v7
	v_lshrrev_b32_e32 v7, s15, v7
	v_mul_lo_u32 v15, v7, s13
	v_sub_u32_e32 v11, v11, v14
	v_mul_lo_u32 v11, v11, s18
	v_add3_u32 v6, v12, v6, v10
	v_sub_u32_e32 v13, v13, v15
	v_mul_lo_u32 v13, v13, s19
	v_add3_u32 v6, v11, v6, v13
	s_cbranch_scc1 .LBB93_104
; %bb.105:
	s_and_b32 s6, s25, 3
	s_cmp_eq_u32 s6, 0
	s_cbranch_scc0 .LBB93_109
	s_branch .LBB93_111
.LBB93_106:
                                        ; implicit-def: $vgpr6
	s_branch .LBB93_112
.LBB93_107:
	v_mov_b32_e32 v6, 0
	s_branch .LBB93_111
.LBB93_108:
	v_mov_b32_e32 v6, 0
	v_mov_b32_e32 v7, v8
	s_and_b32 s6, s25, 3
	s_cmp_eq_u32 s6, 0
	s_cbranch_scc1 .LBB93_111
.LBB93_109:
	s_lshl_b32 s2, s24, 2
	s_add_u32 s2, s20, s2
	s_addc_u32 s3, s21, 0
	s_add_u32 s2, s2, 0xc4
	s_addc_u32 s3, s3, 0
	s_mul_i32 s4, s24, 12
	s_add_u32 s4, s20, s4
	s_addc_u32 s5, s21, 0
.LBB93_110:                             ; =>This Inner Loop Header: Depth=1
	s_waitcnt lgkmcnt(0)
	s_load_dwordx2 s[8:9], s[4:5], 0x4
	s_load_dword s7, s[4:5], 0xc
	s_add_u32 s4, s4, 12
	s_addc_u32 s5, s5, 0
	s_waitcnt lgkmcnt(0)
	v_mul_hi_u32 v10, s9, v7
	s_load_dword s9, s[2:3], 0x0
	s_add_u32 s2, s2, 4
	s_addc_u32 s3, s3, 0
	v_add_u32_e32 v10, v7, v10
	v_lshrrev_b32_e32 v10, s7, v10
	v_mul_lo_u32 v11, v10, s8
	s_add_i32 s6, s6, -1
	s_cmp_lg_u32 s6, 0
	v_sub_u32_e32 v7, v7, v11
	s_waitcnt lgkmcnt(0)
	v_mad_u64_u32 v[6:7], s[8:9], v7, s9, v[6:7]
	v_mov_b32_e32 v7, v10
	s_cbranch_scc1 .LBB93_110
.LBB93_111:
	s_cbranch_execnz .LBB93_114
.LBB93_112:
	s_load_dwordx4 s[4:7], s[20:21], 0x4
	s_load_dword s2, s[20:21], 0xc4
	s_cmp_lt_u32 s33, 2
	s_waitcnt lgkmcnt(0)
	v_mul_hi_u32 v6, s5, v8
	v_add_u32_e32 v6, v8, v6
	v_lshrrev_b32_e32 v7, s6, v6
	v_mul_lo_u32 v6, v7, s4
	v_sub_u32_e32 v6, v8, v6
	v_mul_lo_u32 v6, v6, s2
	s_cbranch_scc1 .LBB93_114
; %bb.113:
	s_load_dwordx4 s[4:7], s[20:21], 0x10
	s_load_dword s2, s[20:21], 0xc8
	s_waitcnt lgkmcnt(0)
	v_mul_hi_u32 v8, s5, v7
	v_add_u32_e32 v8, v7, v8
	v_lshrrev_b32_e32 v8, s6, v8
	v_mul_lo_u32 v8, v8, s4
	v_sub_u32_e32 v7, v7, v8
	v_mad_u64_u32 v[6:7], s[2:3], v7, s2, v[6:7]
.LBB93_114:
	s_and_b64 vcc, exec, s[0:1]
	s_cbranch_vccnz .LBB93_120
; %bb.115:
	s_cmp_lg_u32 s33, 0
	s_mov_b32 s22, 0
	s_cbranch_scc0 .LBB93_121
; %bb.116:
	s_min_u32 s23, s46, 15
	s_add_i32 s23, s23, 1
	s_cmp_eq_u32 s46, 2
	s_cbranch_scc1 .LBB93_122
; %bb.117:
	s_and_b32 s22, s23, 28
	s_add_u32 s16, s20, 0xc4
	s_addc_u32 s17, s21, 0
	s_mov_b32 s24, 0
	v_mov_b32_e32 v7, 0
	s_mov_b64 s[18:19], s[20:21]
	v_mov_b32_e32 v8, v9
.LBB93_118:                             ; =>This Inner Loop Header: Depth=1
	s_load_dwordx8 s[0:7], s[18:19], 0x4
	s_waitcnt lgkmcnt(0)
	s_load_dwordx4 s[8:11], s[18:19], 0x24
	s_load_dwordx4 s[12:15], s[16:17], 0x0
	s_add_u32 s18, s18, 48
	s_addc_u32 s19, s19, 0
	v_mul_hi_u32 v10, s1, v8
	s_add_i32 s24, s24, 4
	s_add_u32 s16, s16, 16
	s_addc_u32 s17, s17, 0
	v_add_u32_e32 v10, v8, v10
	v_lshrrev_b32_e32 v10, s2, v10
	v_mul_lo_u32 v11, v10, s0
	v_mul_hi_u32 v12, s4, v10
	s_cmp_lg_u32 s22, s24
	v_sub_u32_e32 v8, v8, v11
	v_add_u32_e32 v11, v10, v12
	v_lshrrev_b32_e32 v11, s5, v11
	s_waitcnt lgkmcnt(0)
	v_mul_lo_u32 v12, v8, s12
	v_mul_hi_u32 v8, s7, v11
	v_mul_lo_u32 v14, v11, s3
	v_add_u32_e32 v8, v11, v8
	v_lshrrev_b32_e32 v13, s8, v8
	v_mul_hi_u32 v8, s10, v13
	v_sub_u32_e32 v10, v10, v14
	v_mul_lo_u32 v14, v13, s6
	v_mul_lo_u32 v10, v10, s13
	v_add_u32_e32 v8, v13, v8
	v_lshrrev_b32_e32 v8, s11, v8
	v_mul_lo_u32 v15, v8, s9
	v_sub_u32_e32 v11, v11, v14
	v_mul_lo_u32 v11, v11, s14
	v_add3_u32 v7, v12, v7, v10
	v_sub_u32_e32 v13, v13, v15
	v_mul_lo_u32 v13, v13, s15
	v_add3_u32 v7, v11, v7, v13
	s_cbranch_scc1 .LBB93_118
; %bb.119:
	s_and_b32 s4, s23, 3
	s_cmp_eq_u32 s4, 0
	s_cbranch_scc0 .LBB93_123
	s_branch .LBB93_125
.LBB93_120:
                                        ; implicit-def: $vgpr7
	s_branch .LBB93_126
.LBB93_121:
	v_mov_b32_e32 v7, 0
	s_branch .LBB93_125
.LBB93_122:
	v_mov_b32_e32 v7, 0
	v_mov_b32_e32 v8, v9
	s_and_b32 s4, s23, 3
	s_cmp_eq_u32 s4, 0
	s_cbranch_scc1 .LBB93_125
.LBB93_123:
	s_lshl_b32 s0, s22, 2
	s_add_u32 s0, s20, s0
	s_addc_u32 s1, s21, 0
	s_add_u32 s0, s0, 0xc4
	s_addc_u32 s1, s1, 0
	s_mul_i32 s2, s22, 12
	s_add_u32 s2, s20, s2
	s_addc_u32 s3, s21, 0
.LBB93_124:                             ; =>This Inner Loop Header: Depth=1
	s_load_dwordx2 s[6:7], s[2:3], 0x4
	s_load_dword s5, s[2:3], 0xc
	s_add_u32 s2, s2, 12
	s_addc_u32 s3, s3, 0
	s_waitcnt lgkmcnt(0)
	v_mul_hi_u32 v10, s7, v8
	s_load_dword s7, s[0:1], 0x0
	s_add_u32 s0, s0, 4
	s_addc_u32 s1, s1, 0
	v_add_u32_e32 v10, v8, v10
	v_lshrrev_b32_e32 v10, s5, v10
	v_mul_lo_u32 v11, v10, s6
	s_add_i32 s4, s4, -1
	s_cmp_lg_u32 s4, 0
	v_sub_u32_e32 v8, v8, v11
	s_waitcnt lgkmcnt(0)
	v_mad_u64_u32 v[7:8], s[6:7], v8, s7, v[7:8]
	v_mov_b32_e32 v8, v10
	s_cbranch_scc1 .LBB93_124
.LBB93_125:
	s_cbranch_execnz .LBB93_128
.LBB93_126:
	s_load_dwordx4 s[0:3], s[20:21], 0x4
	s_waitcnt lgkmcnt(0)
	s_load_dword s3, s[20:21], 0xc4
	s_cmp_lt_u32 s33, 2
	v_mul_hi_u32 v7, s1, v9
	v_add_u32_e32 v7, v9, v7
	v_lshrrev_b32_e32 v8, s2, v7
	v_mul_lo_u32 v7, v8, s0
	v_sub_u32_e32 v7, v9, v7
	s_waitcnt lgkmcnt(0)
	v_mul_lo_u32 v7, v7, s3
	s_cbranch_scc1 .LBB93_128
; %bb.127:
	s_load_dwordx4 s[0:3], s[20:21], 0x10
	s_waitcnt lgkmcnt(0)
	s_load_dword s3, s[20:21], 0xc8
	v_mul_hi_u32 v9, s1, v8
	v_add_u32_e32 v9, v8, v9
	v_lshrrev_b32_e32 v9, s2, v9
	v_mul_lo_u32 v9, v9, s0
	v_sub_u32_e32 v8, v8, v9
	s_waitcnt lgkmcnt(0)
	v_mad_u64_u32 v[7:8], s[0:1], v8, s3, v[7:8]
.LBB93_128:
	s_load_dword s2, s[20:21], 0x110
	s_load_dwordx2 s[0:1], s[20:21], 0x108
	s_waitcnt lgkmcnt(0)
	v_mov_b32_e32 v8, s2
	s_nop 0
	global_store_byte v0, v8, s[0:1]
	global_store_byte v1, v8, s[0:1]
	global_store_byte v2, v8, s[0:1]
	global_store_byte v3, v8, s[0:1]
	global_store_byte v4, v8, s[0:1]
	global_store_byte v5, v8, s[0:1]
	global_store_byte v6, v8, s[0:1]
	global_store_byte v7, v8, s[0:1]
	s_endpgm
.LBB93_129:
	v_mov_b32_e32 v0, 0
	s_branch .LBB93_135
.LBB93_130:
	v_mov_b32_e32 v0, 0
	s_branch .LBB93_151
.LBB93_131:
	v_mov_b32_e32 v0, 0
	s_mov_b32 s50, 0
	v_mov_b32_e32 v1, v7
.LBB93_132:
	s_and_b32 s4, s51, 3
	s_cmp_eq_u32 s4, 0
	s_cbranch_scc1 .LBB93_135
; %bb.133:
	s_lshl_b32 s0, s50, 2
	s_add_u32 s0, s20, s0
	s_addc_u32 s1, s21, 0
	s_add_u32 s0, s0, 0xc4
	s_addc_u32 s1, s1, 0
	s_mul_i32 s2, s50, 12
	s_add_u32 s2, s20, s2
	s_addc_u32 s3, s21, 0
.LBB93_134:                             ; =>This Inner Loop Header: Depth=1
	s_load_dwordx2 s[6:7], s[2:3], 0x4
	s_load_dword s5, s[2:3], 0xc
	s_add_u32 s2, s2, 12
	s_addc_u32 s3, s3, 0
	s_waitcnt lgkmcnt(0)
	v_mul_hi_u32 v2, s7, v1
	s_load_dword s7, s[0:1], 0x0
	s_add_u32 s0, s0, 4
	s_addc_u32 s1, s1, 0
	v_add_u32_e32 v2, v1, v2
	v_lshrrev_b32_e32 v2, s5, v2
	v_mul_lo_u32 v3, v2, s6
	s_add_i32 s4, s4, -1
	s_cmp_lg_u32 s4, 0
	v_sub_u32_e32 v1, v1, v3
	s_waitcnt lgkmcnt(0)
	v_mad_u64_u32 v[0:1], s[6:7], v1, s7, v[0:1]
	v_mov_b32_e32 v1, v2
	s_cbranch_scc1 .LBB93_134
.LBB93_135:
	s_cbranch_execnz .LBB93_138
.LBB93_136:
	s_waitcnt lgkmcnt(0)
	v_mul_hi_u32 v0, s9, v7
	s_andn2_b64 vcc, exec, s[34:35]
	v_add_u32_e32 v0, v7, v0
	v_lshrrev_b32_e32 v1, s10, v0
	v_mul_lo_u32 v0, v1, s8
	v_sub_u32_e32 v0, v7, v0
	v_mul_lo_u32 v0, v0, s28
	s_cbranch_vccnz .LBB93_138
; %bb.137:
	v_mul_hi_u32 v2, s30, v1
	v_add_u32_e32 v2, v1, v2
	v_lshrrev_b32_e32 v2, s31, v2
	v_mul_lo_u32 v2, v2, s11
	v_sub_u32_e32 v1, v1, v2
	v_mad_u64_u32 v[0:1], s[0:1], v1, s29, v[0:1]
.LBB93_138:
	s_waitcnt lgkmcnt(0)
	v_mov_b32_e32 v1, s47
	v_add_u32_e32 v7, 0x80, v7
	global_store_byte v0, v1, s[26:27]
	s_or_b64 exec, exec, s[40:41]
	v_cmp_gt_i32_e32 vcc, s48, v7
	s_and_saveexec_b64 s[40:41], vcc
	s_cbranch_execnz .LBB93_15
.LBB93_139:
	s_or_b64 exec, exec, s[40:41]
	v_cmp_gt_i32_e32 vcc, s48, v7
	s_and_saveexec_b64 s[40:41], vcc
	s_cbranch_execz .LBB93_155
.LBB93_140:
	s_andn2_b64 vcc, exec, s[22:23]
	s_cbranch_vccnz .LBB93_145
; %bb.141:
	s_andn2_b64 vcc, exec, s[38:39]
	s_cbranch_vccnz .LBB93_146
; %bb.142:
	s_add_i32 s51, s49, 1
	s_cmp_eq_u32 s46, 2
	s_cbranch_scc1 .LBB93_163
; %bb.143:
	s_and_b32 s50, s51, 28
	s_mov_b32 s52, 0
	v_mov_b32_e32 v0, 0
	s_mov_b64 s[42:43], s[20:21]
	s_mov_b64 s[44:45], s[36:37]
	v_mov_b32_e32 v1, v7
.LBB93_144:                             ; =>This Inner Loop Header: Depth=1
	s_load_dwordx8 s[0:7], s[42:43], 0x4
	s_load_dwordx4 s[12:15], s[42:43], 0x24
	s_load_dwordx4 s[16:19], s[44:45], 0x0
	s_add_u32 s42, s42, 48
	s_addc_u32 s43, s43, 0
	s_waitcnt lgkmcnt(0)
	v_mul_hi_u32 v2, s1, v1
	s_add_i32 s52, s52, 4
	s_add_u32 s44, s44, 16
	s_addc_u32 s45, s45, 0
	v_add_u32_e32 v2, v1, v2
	v_lshrrev_b32_e32 v2, s2, v2
	v_mul_lo_u32 v3, v2, s0
	v_mul_hi_u32 v4, s4, v2
	s_cmp_eq_u32 s50, s52
	v_sub_u32_e32 v1, v1, v3
	v_add_u32_e32 v3, v2, v4
	v_lshrrev_b32_e32 v3, s5, v3
	v_mul_lo_u32 v4, v1, s16
	v_mul_hi_u32 v1, s7, v3
	v_mul_lo_u32 v6, v3, s3
	v_add_u32_e32 v1, v3, v1
	v_lshrrev_b32_e32 v5, s12, v1
	v_mul_hi_u32 v1, s14, v5
	v_sub_u32_e32 v2, v2, v6
	v_mul_lo_u32 v6, v5, s6
	v_mul_lo_u32 v2, v2, s17
	v_add_u32_e32 v1, v5, v1
	v_lshrrev_b32_e32 v1, s15, v1
	v_mul_lo_u32 v8, v1, s13
	v_sub_u32_e32 v3, v3, v6
	v_mul_lo_u32 v3, v3, s18
	v_add3_u32 v0, v4, v0, v2
	v_sub_u32_e32 v5, v5, v8
	v_mul_lo_u32 v5, v5, s19
	v_add3_u32 v0, v3, v0, v5
	s_cbranch_scc0 .LBB93_144
	s_branch .LBB93_164
.LBB93_145:
                                        ; implicit-def: $vgpr0
	s_branch .LBB93_168
.LBB93_146:
	v_mov_b32_e32 v0, 0
	s_branch .LBB93_167
.LBB93_147:
	v_mov_b32_e32 v0, 0
	s_mov_b32 s50, 0
	v_mov_b32_e32 v1, v7
.LBB93_148:
	s_and_b32 s4, s51, 3
	s_cmp_eq_u32 s4, 0
	s_cbranch_scc1 .LBB93_151
; %bb.149:
	s_lshl_b32 s0, s50, 2
	s_add_u32 s0, s20, s0
	s_addc_u32 s1, s21, 0
	s_add_u32 s0, s0, 0xc4
	s_addc_u32 s1, s1, 0
	s_mul_i32 s2, s50, 12
	s_add_u32 s2, s20, s2
	s_addc_u32 s3, s21, 0
.LBB93_150:                             ; =>This Inner Loop Header: Depth=1
	s_load_dwordx2 s[6:7], s[2:3], 0x4
	s_load_dword s5, s[2:3], 0xc
	s_add_u32 s2, s2, 12
	s_addc_u32 s3, s3, 0
	s_waitcnt lgkmcnt(0)
	v_mul_hi_u32 v2, s7, v1
	s_load_dword s7, s[0:1], 0x0
	s_add_u32 s0, s0, 4
	s_addc_u32 s1, s1, 0
	v_add_u32_e32 v2, v1, v2
	v_lshrrev_b32_e32 v2, s5, v2
	v_mul_lo_u32 v3, v2, s6
	s_add_i32 s4, s4, -1
	s_cmp_lg_u32 s4, 0
	v_sub_u32_e32 v1, v1, v3
	s_waitcnt lgkmcnt(0)
	v_mad_u64_u32 v[0:1], s[6:7], v1, s7, v[0:1]
	v_mov_b32_e32 v1, v2
	s_cbranch_scc1 .LBB93_150
.LBB93_151:
	s_cbranch_execnz .LBB93_154
.LBB93_152:
	s_waitcnt lgkmcnt(0)
	v_mul_hi_u32 v0, s9, v7
	s_andn2_b64 vcc, exec, s[34:35]
	v_add_u32_e32 v0, v7, v0
	v_lshrrev_b32_e32 v1, s10, v0
	v_mul_lo_u32 v0, v1, s8
	v_sub_u32_e32 v0, v7, v0
	v_mul_lo_u32 v0, v0, s28
	s_cbranch_vccnz .LBB93_154
; %bb.153:
	v_mul_hi_u32 v2, s30, v1
	v_add_u32_e32 v2, v1, v2
	v_lshrrev_b32_e32 v2, s31, v2
	v_mul_lo_u32 v2, v2, s11
	v_sub_u32_e32 v1, v1, v2
	v_mad_u64_u32 v[0:1], s[0:1], v1, s29, v[0:1]
.LBB93_154:
	s_waitcnt lgkmcnt(0)
	v_mov_b32_e32 v1, s47
	v_add_u32_e32 v7, 0x80, v7
	global_store_byte v0, v1, s[26:27]
	s_or_b64 exec, exec, s[40:41]
	v_cmp_gt_i32_e32 vcc, s48, v7
	s_and_saveexec_b64 s[40:41], vcc
	s_cbranch_execnz .LBB93_140
.LBB93_155:
	s_or_b64 exec, exec, s[40:41]
	v_cmp_gt_i32_e32 vcc, s48, v7
	s_and_saveexec_b64 s[40:41], vcc
	s_cbranch_execz .LBB93_171
.LBB93_156:
	s_andn2_b64 vcc, exec, s[22:23]
	s_cbranch_vccnz .LBB93_161
; %bb.157:
	s_andn2_b64 vcc, exec, s[38:39]
	s_cbranch_vccnz .LBB93_162
; %bb.158:
	s_add_i32 s51, s49, 1
	s_cmp_eq_u32 s46, 2
	s_cbranch_scc1 .LBB93_179
; %bb.159:
	s_and_b32 s50, s51, 28
	s_mov_b32 s52, 0
	v_mov_b32_e32 v0, 0
	s_mov_b64 s[42:43], s[20:21]
	s_mov_b64 s[44:45], s[36:37]
	v_mov_b32_e32 v1, v7
.LBB93_160:                             ; =>This Inner Loop Header: Depth=1
	s_load_dwordx8 s[0:7], s[42:43], 0x4
	s_load_dwordx4 s[12:15], s[42:43], 0x24
	s_load_dwordx4 s[16:19], s[44:45], 0x0
	s_add_u32 s42, s42, 48
	s_addc_u32 s43, s43, 0
	s_waitcnt lgkmcnt(0)
	v_mul_hi_u32 v2, s1, v1
	s_add_i32 s52, s52, 4
	s_add_u32 s44, s44, 16
	s_addc_u32 s45, s45, 0
	v_add_u32_e32 v2, v1, v2
	v_lshrrev_b32_e32 v2, s2, v2
	v_mul_lo_u32 v3, v2, s0
	v_mul_hi_u32 v4, s4, v2
	s_cmp_eq_u32 s50, s52
	v_sub_u32_e32 v1, v1, v3
	v_add_u32_e32 v3, v2, v4
	v_lshrrev_b32_e32 v3, s5, v3
	v_mul_lo_u32 v4, v1, s16
	v_mul_hi_u32 v1, s7, v3
	v_mul_lo_u32 v6, v3, s3
	v_add_u32_e32 v1, v3, v1
	v_lshrrev_b32_e32 v5, s12, v1
	v_mul_hi_u32 v1, s14, v5
	v_sub_u32_e32 v2, v2, v6
	v_mul_lo_u32 v6, v5, s6
	v_mul_lo_u32 v2, v2, s17
	v_add_u32_e32 v1, v5, v1
	v_lshrrev_b32_e32 v1, s15, v1
	v_mul_lo_u32 v8, v1, s13
	v_sub_u32_e32 v3, v3, v6
	v_mul_lo_u32 v3, v3, s18
	v_add3_u32 v0, v4, v0, v2
	v_sub_u32_e32 v5, v5, v8
	v_mul_lo_u32 v5, v5, s19
	v_add3_u32 v0, v3, v0, v5
	s_cbranch_scc0 .LBB93_160
	s_branch .LBB93_180
.LBB93_161:
                                        ; implicit-def: $vgpr0
	s_branch .LBB93_184
.LBB93_162:
	v_mov_b32_e32 v0, 0
	s_branch .LBB93_183
.LBB93_163:
	v_mov_b32_e32 v0, 0
	s_mov_b32 s50, 0
	v_mov_b32_e32 v1, v7
.LBB93_164:
	s_and_b32 s4, s51, 3
	s_cmp_eq_u32 s4, 0
	s_cbranch_scc1 .LBB93_167
; %bb.165:
	s_lshl_b32 s0, s50, 2
	s_add_u32 s0, s20, s0
	s_addc_u32 s1, s21, 0
	s_add_u32 s0, s0, 0xc4
	s_addc_u32 s1, s1, 0
	s_mul_i32 s2, s50, 12
	s_add_u32 s2, s20, s2
	s_addc_u32 s3, s21, 0
.LBB93_166:                             ; =>This Inner Loop Header: Depth=1
	s_load_dwordx2 s[6:7], s[2:3], 0x4
	s_load_dword s5, s[2:3], 0xc
	s_add_u32 s2, s2, 12
	s_addc_u32 s3, s3, 0
	s_waitcnt lgkmcnt(0)
	v_mul_hi_u32 v2, s7, v1
	s_load_dword s7, s[0:1], 0x0
	s_add_u32 s0, s0, 4
	s_addc_u32 s1, s1, 0
	v_add_u32_e32 v2, v1, v2
	v_lshrrev_b32_e32 v2, s5, v2
	v_mul_lo_u32 v3, v2, s6
	s_add_i32 s4, s4, -1
	s_cmp_lg_u32 s4, 0
	v_sub_u32_e32 v1, v1, v3
	s_waitcnt lgkmcnt(0)
	v_mad_u64_u32 v[0:1], s[6:7], v1, s7, v[0:1]
	v_mov_b32_e32 v1, v2
	s_cbranch_scc1 .LBB93_166
.LBB93_167:
	s_cbranch_execnz .LBB93_170
.LBB93_168:
	s_waitcnt lgkmcnt(0)
	v_mul_hi_u32 v0, s9, v7
	s_andn2_b64 vcc, exec, s[34:35]
	v_add_u32_e32 v0, v7, v0
	v_lshrrev_b32_e32 v1, s10, v0
	v_mul_lo_u32 v0, v1, s8
	v_sub_u32_e32 v0, v7, v0
	v_mul_lo_u32 v0, v0, s28
	s_cbranch_vccnz .LBB93_170
; %bb.169:
	v_mul_hi_u32 v2, s30, v1
	v_add_u32_e32 v2, v1, v2
	v_lshrrev_b32_e32 v2, s31, v2
	v_mul_lo_u32 v2, v2, s11
	v_sub_u32_e32 v1, v1, v2
	v_mad_u64_u32 v[0:1], s[0:1], v1, s29, v[0:1]
.LBB93_170:
	s_waitcnt lgkmcnt(0)
	v_mov_b32_e32 v1, s47
	v_add_u32_e32 v7, 0x80, v7
	global_store_byte v0, v1, s[26:27]
	s_or_b64 exec, exec, s[40:41]
	v_cmp_gt_i32_e32 vcc, s48, v7
	s_and_saveexec_b64 s[40:41], vcc
	s_cbranch_execnz .LBB93_156
.LBB93_171:
	s_or_b64 exec, exec, s[40:41]
	v_cmp_gt_i32_e32 vcc, s48, v7
	s_and_saveexec_b64 s[40:41], vcc
	s_cbranch_execz .LBB93_187
.LBB93_172:
	s_andn2_b64 vcc, exec, s[22:23]
	s_cbranch_vccnz .LBB93_177
; %bb.173:
	s_andn2_b64 vcc, exec, s[38:39]
	s_cbranch_vccnz .LBB93_178
; %bb.174:
	s_add_i32 s51, s49, 1
	s_cmp_eq_u32 s46, 2
	s_cbranch_scc1 .LBB93_195
; %bb.175:
	s_and_b32 s50, s51, 28
	s_mov_b32 s52, 0
	v_mov_b32_e32 v0, 0
	s_mov_b64 s[42:43], s[20:21]
	s_mov_b64 s[44:45], s[36:37]
	v_mov_b32_e32 v1, v7
.LBB93_176:                             ; =>This Inner Loop Header: Depth=1
	s_load_dwordx8 s[0:7], s[42:43], 0x4
	s_load_dwordx4 s[12:15], s[42:43], 0x24
	s_load_dwordx4 s[16:19], s[44:45], 0x0
	s_add_u32 s42, s42, 48
	s_addc_u32 s43, s43, 0
	s_waitcnt lgkmcnt(0)
	v_mul_hi_u32 v2, s1, v1
	s_add_i32 s52, s52, 4
	s_add_u32 s44, s44, 16
	s_addc_u32 s45, s45, 0
	v_add_u32_e32 v2, v1, v2
	v_lshrrev_b32_e32 v2, s2, v2
	v_mul_lo_u32 v3, v2, s0
	v_mul_hi_u32 v4, s4, v2
	s_cmp_eq_u32 s50, s52
	v_sub_u32_e32 v1, v1, v3
	v_add_u32_e32 v3, v2, v4
	v_lshrrev_b32_e32 v3, s5, v3
	v_mul_lo_u32 v4, v1, s16
	v_mul_hi_u32 v1, s7, v3
	v_mul_lo_u32 v6, v3, s3
	v_add_u32_e32 v1, v3, v1
	v_lshrrev_b32_e32 v5, s12, v1
	v_mul_hi_u32 v1, s14, v5
	v_sub_u32_e32 v2, v2, v6
	v_mul_lo_u32 v6, v5, s6
	v_mul_lo_u32 v2, v2, s17
	v_add_u32_e32 v1, v5, v1
	v_lshrrev_b32_e32 v1, s15, v1
	v_mul_lo_u32 v8, v1, s13
	v_sub_u32_e32 v3, v3, v6
	v_mul_lo_u32 v3, v3, s18
	v_add3_u32 v0, v4, v0, v2
	v_sub_u32_e32 v5, v5, v8
	v_mul_lo_u32 v5, v5, s19
	v_add3_u32 v0, v3, v0, v5
	s_cbranch_scc0 .LBB93_176
	s_branch .LBB93_196
.LBB93_177:
                                        ; implicit-def: $vgpr0
	s_branch .LBB93_200
.LBB93_178:
	v_mov_b32_e32 v0, 0
	s_branch .LBB93_199
.LBB93_179:
	v_mov_b32_e32 v0, 0
	s_mov_b32 s50, 0
	v_mov_b32_e32 v1, v7
.LBB93_180:
	s_and_b32 s4, s51, 3
	s_cmp_eq_u32 s4, 0
	s_cbranch_scc1 .LBB93_183
; %bb.181:
	s_lshl_b32 s0, s50, 2
	s_add_u32 s0, s20, s0
	s_addc_u32 s1, s21, 0
	s_add_u32 s0, s0, 0xc4
	s_addc_u32 s1, s1, 0
	s_mul_i32 s2, s50, 12
	s_add_u32 s2, s20, s2
	s_addc_u32 s3, s21, 0
.LBB93_182:                             ; =>This Inner Loop Header: Depth=1
	s_load_dwordx2 s[6:7], s[2:3], 0x4
	s_load_dword s5, s[2:3], 0xc
	s_add_u32 s2, s2, 12
	s_addc_u32 s3, s3, 0
	s_waitcnt lgkmcnt(0)
	v_mul_hi_u32 v2, s7, v1
	s_load_dword s7, s[0:1], 0x0
	s_add_u32 s0, s0, 4
	s_addc_u32 s1, s1, 0
	v_add_u32_e32 v2, v1, v2
	v_lshrrev_b32_e32 v2, s5, v2
	v_mul_lo_u32 v3, v2, s6
	s_add_i32 s4, s4, -1
	s_cmp_lg_u32 s4, 0
	v_sub_u32_e32 v1, v1, v3
	s_waitcnt lgkmcnt(0)
	v_mad_u64_u32 v[0:1], s[6:7], v1, s7, v[0:1]
	v_mov_b32_e32 v1, v2
	s_cbranch_scc1 .LBB93_182
.LBB93_183:
	s_cbranch_execnz .LBB93_186
.LBB93_184:
	s_waitcnt lgkmcnt(0)
	v_mul_hi_u32 v0, s9, v7
	s_andn2_b64 vcc, exec, s[34:35]
	v_add_u32_e32 v0, v7, v0
	v_lshrrev_b32_e32 v1, s10, v0
	v_mul_lo_u32 v0, v1, s8
	v_sub_u32_e32 v0, v7, v0
	v_mul_lo_u32 v0, v0, s28
	s_cbranch_vccnz .LBB93_186
; %bb.185:
	v_mul_hi_u32 v2, s30, v1
	v_add_u32_e32 v2, v1, v2
	v_lshrrev_b32_e32 v2, s31, v2
	v_mul_lo_u32 v2, v2, s11
	v_sub_u32_e32 v1, v1, v2
	v_mad_u64_u32 v[0:1], s[0:1], v1, s29, v[0:1]
.LBB93_186:
	s_waitcnt lgkmcnt(0)
	v_mov_b32_e32 v1, s47
	v_add_u32_e32 v7, 0x80, v7
	global_store_byte v0, v1, s[26:27]
	s_or_b64 exec, exec, s[40:41]
	v_cmp_gt_i32_e32 vcc, s48, v7
	s_and_saveexec_b64 s[40:41], vcc
	s_cbranch_execnz .LBB93_172
.LBB93_187:
	s_or_b64 exec, exec, s[40:41]
	v_cmp_gt_i32_e32 vcc, s48, v7
	s_and_saveexec_b64 s[40:41], vcc
	s_cbranch_execz .LBB93_203
.LBB93_188:
	s_andn2_b64 vcc, exec, s[22:23]
	s_cbranch_vccnz .LBB93_193
; %bb.189:
	s_andn2_b64 vcc, exec, s[38:39]
	s_cbranch_vccnz .LBB93_194
; %bb.190:
	s_add_i32 s51, s49, 1
	s_cmp_eq_u32 s46, 2
	s_cbranch_scc1 .LBB93_211
; %bb.191:
	s_and_b32 s50, s51, 28
	s_mov_b32 s52, 0
	v_mov_b32_e32 v0, 0
	s_mov_b64 s[42:43], s[20:21]
	s_mov_b64 s[44:45], s[36:37]
	v_mov_b32_e32 v1, v7
.LBB93_192:                             ; =>This Inner Loop Header: Depth=1
	s_load_dwordx8 s[0:7], s[42:43], 0x4
	s_load_dwordx4 s[12:15], s[42:43], 0x24
	s_load_dwordx4 s[16:19], s[44:45], 0x0
	s_add_u32 s42, s42, 48
	s_addc_u32 s43, s43, 0
	s_waitcnt lgkmcnt(0)
	v_mul_hi_u32 v2, s1, v1
	s_add_i32 s52, s52, 4
	s_add_u32 s44, s44, 16
	s_addc_u32 s45, s45, 0
	v_add_u32_e32 v2, v1, v2
	v_lshrrev_b32_e32 v2, s2, v2
	v_mul_lo_u32 v3, v2, s0
	v_mul_hi_u32 v4, s4, v2
	s_cmp_eq_u32 s50, s52
	v_sub_u32_e32 v1, v1, v3
	v_add_u32_e32 v3, v2, v4
	v_lshrrev_b32_e32 v3, s5, v3
	v_mul_lo_u32 v4, v1, s16
	v_mul_hi_u32 v1, s7, v3
	v_mul_lo_u32 v6, v3, s3
	v_add_u32_e32 v1, v3, v1
	v_lshrrev_b32_e32 v5, s12, v1
	v_mul_hi_u32 v1, s14, v5
	v_sub_u32_e32 v2, v2, v6
	v_mul_lo_u32 v6, v5, s6
	v_mul_lo_u32 v2, v2, s17
	v_add_u32_e32 v1, v5, v1
	v_lshrrev_b32_e32 v1, s15, v1
	v_mul_lo_u32 v8, v1, s13
	v_sub_u32_e32 v3, v3, v6
	v_mul_lo_u32 v3, v3, s18
	v_add3_u32 v0, v4, v0, v2
	v_sub_u32_e32 v5, v5, v8
	v_mul_lo_u32 v5, v5, s19
	v_add3_u32 v0, v3, v0, v5
	s_cbranch_scc0 .LBB93_192
	s_branch .LBB93_212
.LBB93_193:
                                        ; implicit-def: $vgpr0
	s_branch .LBB93_216
.LBB93_194:
	v_mov_b32_e32 v0, 0
	s_branch .LBB93_215
.LBB93_195:
	v_mov_b32_e32 v0, 0
	s_mov_b32 s50, 0
	v_mov_b32_e32 v1, v7
.LBB93_196:
	s_and_b32 s4, s51, 3
	s_cmp_eq_u32 s4, 0
	s_cbranch_scc1 .LBB93_199
; %bb.197:
	s_lshl_b32 s0, s50, 2
	s_add_u32 s0, s20, s0
	s_addc_u32 s1, s21, 0
	s_add_u32 s0, s0, 0xc4
	s_addc_u32 s1, s1, 0
	s_mul_i32 s2, s50, 12
	s_add_u32 s2, s20, s2
	s_addc_u32 s3, s21, 0
.LBB93_198:                             ; =>This Inner Loop Header: Depth=1
	s_load_dwordx2 s[6:7], s[2:3], 0x4
	s_load_dword s5, s[2:3], 0xc
	s_add_u32 s2, s2, 12
	s_addc_u32 s3, s3, 0
	s_waitcnt lgkmcnt(0)
	v_mul_hi_u32 v2, s7, v1
	s_load_dword s7, s[0:1], 0x0
	s_add_u32 s0, s0, 4
	s_addc_u32 s1, s1, 0
	v_add_u32_e32 v2, v1, v2
	v_lshrrev_b32_e32 v2, s5, v2
	v_mul_lo_u32 v3, v2, s6
	s_add_i32 s4, s4, -1
	s_cmp_lg_u32 s4, 0
	v_sub_u32_e32 v1, v1, v3
	s_waitcnt lgkmcnt(0)
	v_mad_u64_u32 v[0:1], s[6:7], v1, s7, v[0:1]
	v_mov_b32_e32 v1, v2
	s_cbranch_scc1 .LBB93_198
.LBB93_199:
	s_cbranch_execnz .LBB93_202
.LBB93_200:
	s_waitcnt lgkmcnt(0)
	v_mul_hi_u32 v0, s9, v7
	s_andn2_b64 vcc, exec, s[34:35]
	v_add_u32_e32 v0, v7, v0
	v_lshrrev_b32_e32 v1, s10, v0
	v_mul_lo_u32 v0, v1, s8
	v_sub_u32_e32 v0, v7, v0
	v_mul_lo_u32 v0, v0, s28
	s_cbranch_vccnz .LBB93_202
; %bb.201:
	v_mul_hi_u32 v2, s30, v1
	v_add_u32_e32 v2, v1, v2
	v_lshrrev_b32_e32 v2, s31, v2
	v_mul_lo_u32 v2, v2, s11
	v_sub_u32_e32 v1, v1, v2
	v_mad_u64_u32 v[0:1], s[0:1], v1, s29, v[0:1]
.LBB93_202:
	s_waitcnt lgkmcnt(0)
	v_mov_b32_e32 v1, s47
	v_add_u32_e32 v7, 0x80, v7
	global_store_byte v0, v1, s[26:27]
	s_or_b64 exec, exec, s[40:41]
	v_cmp_gt_i32_e32 vcc, s48, v7
	s_and_saveexec_b64 s[40:41], vcc
	s_cbranch_execnz .LBB93_188
.LBB93_203:
	s_or_b64 exec, exec, s[40:41]
	v_cmp_gt_i32_e32 vcc, s48, v7
	s_and_saveexec_b64 s[40:41], vcc
	s_cbranch_execz .LBB93_219
.LBB93_204:
	s_andn2_b64 vcc, exec, s[22:23]
	s_cbranch_vccnz .LBB93_209
; %bb.205:
	s_andn2_b64 vcc, exec, s[38:39]
	s_cbranch_vccnz .LBB93_210
; %bb.206:
	s_add_i32 s51, s49, 1
	s_cmp_eq_u32 s46, 2
	s_cbranch_scc1 .LBB93_222
; %bb.207:
	s_and_b32 s50, s51, 28
	s_mov_b32 s52, 0
	v_mov_b32_e32 v0, 0
	s_mov_b64 s[42:43], s[20:21]
	s_mov_b64 s[44:45], s[36:37]
	v_mov_b32_e32 v1, v7
.LBB93_208:                             ; =>This Inner Loop Header: Depth=1
	s_load_dwordx8 s[0:7], s[42:43], 0x4
	s_load_dwordx4 s[12:15], s[42:43], 0x24
	s_load_dwordx4 s[16:19], s[44:45], 0x0
	s_add_u32 s42, s42, 48
	s_addc_u32 s43, s43, 0
	s_waitcnt lgkmcnt(0)
	v_mul_hi_u32 v2, s1, v1
	s_add_i32 s52, s52, 4
	s_add_u32 s44, s44, 16
	s_addc_u32 s45, s45, 0
	v_add_u32_e32 v2, v1, v2
	v_lshrrev_b32_e32 v2, s2, v2
	v_mul_lo_u32 v3, v2, s0
	v_mul_hi_u32 v4, s4, v2
	s_cmp_eq_u32 s50, s52
	v_sub_u32_e32 v1, v1, v3
	v_add_u32_e32 v3, v2, v4
	v_lshrrev_b32_e32 v3, s5, v3
	v_mul_lo_u32 v4, v1, s16
	v_mul_hi_u32 v1, s7, v3
	v_mul_lo_u32 v6, v3, s3
	v_add_u32_e32 v1, v3, v1
	v_lshrrev_b32_e32 v5, s12, v1
	v_mul_hi_u32 v1, s14, v5
	v_sub_u32_e32 v2, v2, v6
	v_mul_lo_u32 v6, v5, s6
	v_mul_lo_u32 v2, v2, s17
	v_add_u32_e32 v1, v5, v1
	v_lshrrev_b32_e32 v1, s15, v1
	v_mul_lo_u32 v8, v1, s13
	v_sub_u32_e32 v3, v3, v6
	v_mul_lo_u32 v3, v3, s18
	v_add3_u32 v0, v4, v0, v2
	v_sub_u32_e32 v5, v5, v8
	v_mul_lo_u32 v5, v5, s19
	v_add3_u32 v0, v3, v0, v5
	s_cbranch_scc0 .LBB93_208
	s_branch .LBB93_223
.LBB93_209:
                                        ; implicit-def: $vgpr0
	s_branch .LBB93_227
.LBB93_210:
	v_mov_b32_e32 v0, 0
	s_branch .LBB93_226
.LBB93_211:
	v_mov_b32_e32 v0, 0
	s_mov_b32 s50, 0
	v_mov_b32_e32 v1, v7
.LBB93_212:
	s_and_b32 s4, s51, 3
	s_cmp_eq_u32 s4, 0
	s_cbranch_scc1 .LBB93_215
; %bb.213:
	s_lshl_b32 s0, s50, 2
	s_add_u32 s0, s20, s0
	s_addc_u32 s1, s21, 0
	s_add_u32 s0, s0, 0xc4
	s_addc_u32 s1, s1, 0
	s_mul_i32 s2, s50, 12
	s_add_u32 s2, s20, s2
	s_addc_u32 s3, s21, 0
.LBB93_214:                             ; =>This Inner Loop Header: Depth=1
	s_load_dwordx2 s[6:7], s[2:3], 0x4
	s_load_dword s5, s[2:3], 0xc
	s_add_u32 s2, s2, 12
	s_addc_u32 s3, s3, 0
	s_waitcnt lgkmcnt(0)
	v_mul_hi_u32 v2, s7, v1
	s_load_dword s7, s[0:1], 0x0
	s_add_u32 s0, s0, 4
	s_addc_u32 s1, s1, 0
	v_add_u32_e32 v2, v1, v2
	v_lshrrev_b32_e32 v2, s5, v2
	v_mul_lo_u32 v3, v2, s6
	s_add_i32 s4, s4, -1
	s_cmp_lg_u32 s4, 0
	v_sub_u32_e32 v1, v1, v3
	s_waitcnt lgkmcnt(0)
	v_mad_u64_u32 v[0:1], s[6:7], v1, s7, v[0:1]
	v_mov_b32_e32 v1, v2
	s_cbranch_scc1 .LBB93_214
.LBB93_215:
	s_cbranch_execnz .LBB93_218
.LBB93_216:
	s_waitcnt lgkmcnt(0)
	v_mul_hi_u32 v0, s9, v7
	s_andn2_b64 vcc, exec, s[34:35]
	v_add_u32_e32 v0, v7, v0
	v_lshrrev_b32_e32 v1, s10, v0
	v_mul_lo_u32 v0, v1, s8
	v_sub_u32_e32 v0, v7, v0
	v_mul_lo_u32 v0, v0, s28
	s_cbranch_vccnz .LBB93_218
; %bb.217:
	v_mul_hi_u32 v2, s30, v1
	v_add_u32_e32 v2, v1, v2
	v_lshrrev_b32_e32 v2, s31, v2
	v_mul_lo_u32 v2, v2, s11
	v_sub_u32_e32 v1, v1, v2
	v_mad_u64_u32 v[0:1], s[0:1], v1, s29, v[0:1]
.LBB93_218:
	s_waitcnt lgkmcnt(0)
	v_mov_b32_e32 v1, s47
	v_add_u32_e32 v7, 0x80, v7
	global_store_byte v0, v1, s[26:27]
	s_or_b64 exec, exec, s[40:41]
	v_cmp_gt_i32_e32 vcc, s48, v7
	s_and_saveexec_b64 s[40:41], vcc
	s_cbranch_execnz .LBB93_204
.LBB93_219:
	s_or_b64 exec, exec, s[40:41]
	v_cmp_gt_i32_e32 vcc, s48, v7
	s_and_saveexec_b64 s[40:41], vcc
	s_cbranch_execnz .LBB93_230
.LBB93_220:
	s_or_b64 exec, exec, s[40:41]
                                        ; implicit-def: $vgpr9
                                        ; implicit-def: $vgpr7
	s_andn2_saveexec_b64 s[0:1], s[24:25]
	s_cbranch_execnz .LBB93_8
.LBB93_221:
	s_endpgm
.LBB93_222:
	v_mov_b32_e32 v0, 0
	s_mov_b32 s50, 0
	v_mov_b32_e32 v1, v7
.LBB93_223:
	s_and_b32 s4, s51, 3
	s_cmp_eq_u32 s4, 0
	s_cbranch_scc1 .LBB93_226
; %bb.224:
	s_lshl_b32 s0, s50, 2
	s_add_u32 s0, s20, s0
	s_addc_u32 s1, s21, 0
	s_add_u32 s0, s0, 0xc4
	s_addc_u32 s1, s1, 0
	s_mul_i32 s2, s50, 12
	s_add_u32 s2, s20, s2
	s_addc_u32 s3, s21, 0
.LBB93_225:                             ; =>This Inner Loop Header: Depth=1
	s_load_dwordx2 s[6:7], s[2:3], 0x4
	s_load_dword s5, s[2:3], 0xc
	s_add_u32 s2, s2, 12
	s_addc_u32 s3, s3, 0
	s_waitcnt lgkmcnt(0)
	v_mul_hi_u32 v2, s7, v1
	s_load_dword s7, s[0:1], 0x0
	s_add_u32 s0, s0, 4
	s_addc_u32 s1, s1, 0
	v_add_u32_e32 v2, v1, v2
	v_lshrrev_b32_e32 v2, s5, v2
	v_mul_lo_u32 v3, v2, s6
	s_add_i32 s4, s4, -1
	s_cmp_lg_u32 s4, 0
	v_sub_u32_e32 v1, v1, v3
	s_waitcnt lgkmcnt(0)
	v_mad_u64_u32 v[0:1], s[6:7], v1, s7, v[0:1]
	v_mov_b32_e32 v1, v2
	s_cbranch_scc1 .LBB93_225
.LBB93_226:
	s_cbranch_execnz .LBB93_229
.LBB93_227:
	s_waitcnt lgkmcnt(0)
	v_mul_hi_u32 v0, s9, v7
	s_andn2_b64 vcc, exec, s[34:35]
	v_add_u32_e32 v0, v7, v0
	v_lshrrev_b32_e32 v1, s10, v0
	v_mul_lo_u32 v0, v1, s8
	v_sub_u32_e32 v0, v7, v0
	v_mul_lo_u32 v0, v0, s28
	s_cbranch_vccnz .LBB93_229
; %bb.228:
	v_mul_hi_u32 v2, s30, v1
	v_add_u32_e32 v2, v1, v2
	v_lshrrev_b32_e32 v2, s31, v2
	v_mul_lo_u32 v2, v2, s11
	v_sub_u32_e32 v1, v1, v2
	v_mad_u64_u32 v[0:1], s[0:1], v1, s29, v[0:1]
.LBB93_229:
	s_waitcnt lgkmcnt(0)
	v_mov_b32_e32 v1, s47
	v_add_u32_e32 v7, 0x80, v7
	global_store_byte v0, v1, s[26:27]
	s_or_b64 exec, exec, s[40:41]
	v_cmp_gt_i32_e32 vcc, s48, v7
	s_and_saveexec_b64 s[40:41], vcc
	s_cbranch_execz .LBB93_220
.LBB93_230:
	s_andn2_b64 vcc, exec, s[22:23]
	s_cbranch_vccnz .LBB93_235
; %bb.231:
	s_andn2_b64 vcc, exec, s[38:39]
	s_cbranch_vccnz .LBB93_236
; %bb.232:
	s_add_i32 s49, s49, 1
	s_cmp_eq_u32 s46, 2
	s_cbranch_scc1 .LBB93_237
; %bb.233:
	s_and_b32 s42, s49, 28
	s_mov_b32 s43, 0
	v_mov_b32_e32 v0, 0
	s_mov_b64 s[38:39], s[20:21]
	v_mov_b32_e32 v1, v7
.LBB93_234:                             ; =>This Inner Loop Header: Depth=1
	s_load_dwordx8 s[0:7], s[38:39], 0x4
	s_load_dwordx4 s[12:15], s[38:39], 0x24
	s_load_dwordx4 s[16:19], s[36:37], 0x0
	s_add_u32 s38, s38, 48
	s_addc_u32 s39, s39, 0
	s_waitcnt lgkmcnt(0)
	v_mul_hi_u32 v2, s1, v1
	s_add_i32 s43, s43, 4
	s_add_u32 s36, s36, 16
	s_addc_u32 s37, s37, 0
	v_add_u32_e32 v2, v1, v2
	v_lshrrev_b32_e32 v2, s2, v2
	v_mul_lo_u32 v3, v2, s0
	v_mul_hi_u32 v4, s4, v2
	s_cmp_eq_u32 s42, s43
	v_sub_u32_e32 v1, v1, v3
	v_add_u32_e32 v3, v2, v4
	v_lshrrev_b32_e32 v3, s5, v3
	v_mul_lo_u32 v4, v1, s16
	v_mul_hi_u32 v1, s7, v3
	v_mul_lo_u32 v6, v3, s3
	v_add_u32_e32 v1, v3, v1
	v_lshrrev_b32_e32 v5, s12, v1
	v_mul_hi_u32 v1, s14, v5
	v_sub_u32_e32 v2, v2, v6
	v_mul_lo_u32 v6, v5, s6
	v_mul_lo_u32 v2, v2, s17
	v_add_u32_e32 v1, v5, v1
	v_lshrrev_b32_e32 v1, s15, v1
	v_mul_lo_u32 v8, v1, s13
	v_sub_u32_e32 v3, v3, v6
	v_mul_lo_u32 v3, v3, s18
	v_add3_u32 v0, v4, v0, v2
	v_sub_u32_e32 v5, v5, v8
	v_mul_lo_u32 v5, v5, s19
	v_add3_u32 v0, v3, v0, v5
	s_cbranch_scc0 .LBB93_234
	s_branch .LBB93_238
.LBB93_235:
                                        ; implicit-def: $vgpr0
	s_branch .LBB93_242
.LBB93_236:
	v_mov_b32_e32 v0, 0
	s_branch .LBB93_241
.LBB93_237:
	v_mov_b32_e32 v0, 0
	s_mov_b32 s42, 0
	v_mov_b32_e32 v1, v7
.LBB93_238:
	s_and_b32 s4, s49, 3
	s_cmp_eq_u32 s4, 0
	s_cbranch_scc1 .LBB93_241
; %bb.239:
	s_lshl_b32 s0, s42, 2
	s_add_u32 s0, s20, s0
	s_addc_u32 s1, s21, 0
	s_add_u32 s0, s0, 0xc4
	s_addc_u32 s1, s1, 0
	s_mul_i32 s2, s42, 12
	s_add_u32 s2, s20, s2
	s_addc_u32 s3, s21, 0
.LBB93_240:                             ; =>This Inner Loop Header: Depth=1
	s_load_dwordx2 s[6:7], s[2:3], 0x4
	s_load_dword s5, s[2:3], 0xc
	s_add_u32 s2, s2, 12
	s_addc_u32 s3, s3, 0
	s_waitcnt lgkmcnt(0)
	v_mul_hi_u32 v2, s7, v1
	s_load_dword s7, s[0:1], 0x0
	s_add_u32 s0, s0, 4
	s_addc_u32 s1, s1, 0
	v_add_u32_e32 v2, v1, v2
	v_lshrrev_b32_e32 v2, s5, v2
	v_mul_lo_u32 v3, v2, s6
	s_add_i32 s4, s4, -1
	s_cmp_lg_u32 s4, 0
	v_sub_u32_e32 v1, v1, v3
	s_waitcnt lgkmcnt(0)
	v_mad_u64_u32 v[0:1], s[6:7], v1, s7, v[0:1]
	v_mov_b32_e32 v1, v2
	s_cbranch_scc1 .LBB93_240
.LBB93_241:
	s_cbranch_execnz .LBB93_244
.LBB93_242:
	s_waitcnt lgkmcnt(0)
	v_mul_hi_u32 v0, s9, v7
	s_andn2_b64 vcc, exec, s[34:35]
	v_add_u32_e32 v0, v7, v0
	v_lshrrev_b32_e32 v1, s10, v0
	v_mul_lo_u32 v0, v1, s8
	v_sub_u32_e32 v0, v7, v0
	v_mul_lo_u32 v0, v0, s28
	s_cbranch_vccnz .LBB93_244
; %bb.243:
	v_mul_hi_u32 v2, s30, v1
	v_add_u32_e32 v2, v1, v2
	v_lshrrev_b32_e32 v2, s31, v2
	v_mul_lo_u32 v2, v2, s11
	v_sub_u32_e32 v1, v1, v2
	v_mad_u64_u32 v[0:1], s[0:1], v1, s29, v[0:1]
.LBB93_244:
	s_waitcnt lgkmcnt(0)
	v_mov_b32_e32 v1, s47
	global_store_byte v0, v1, s[26:27]
	s_or_b64 exec, exec, s[40:41]
                                        ; implicit-def: $vgpr9
                                        ; implicit-def: $vgpr7
	s_andn2_saveexec_b64 s[0:1], s[24:25]
	s_cbranch_execz .LBB93_221
	s_branch .LBB93_8
	.section	.rodata,"a",@progbits
	.p2align	6, 0x0
	.amdhsa_kernel _ZN2at6native32elementwise_kernel_manual_unrollILi128ELi8EZNS0_22gpu_kernel_impl_nocastINS0_11FillFunctorIbEEEEvRNS_18TensorIteratorBaseERKT_EUlibE_EEviT1_
		.amdhsa_group_segment_fixed_size 0
		.amdhsa_private_segment_fixed_size 0
		.amdhsa_kernarg_size 288
		.amdhsa_user_sgpr_count 6
		.amdhsa_user_sgpr_private_segment_buffer 1
		.amdhsa_user_sgpr_dispatch_ptr 0
		.amdhsa_user_sgpr_queue_ptr 0
		.amdhsa_user_sgpr_kernarg_segment_ptr 1
		.amdhsa_user_sgpr_dispatch_id 0
		.amdhsa_user_sgpr_flat_scratch_init 0
		.amdhsa_user_sgpr_private_segment_size 0
		.amdhsa_uses_dynamic_stack 0
		.amdhsa_system_sgpr_private_segment_wavefront_offset 0
		.amdhsa_system_sgpr_workgroup_id_x 1
		.amdhsa_system_sgpr_workgroup_id_y 0
		.amdhsa_system_sgpr_workgroup_id_z 0
		.amdhsa_system_sgpr_workgroup_info 0
		.amdhsa_system_vgpr_workitem_id 0
		.amdhsa_next_free_vgpr 16
		.amdhsa_next_free_sgpr 53
		.amdhsa_reserve_vcc 1
		.amdhsa_reserve_flat_scratch 0
		.amdhsa_float_round_mode_32 0
		.amdhsa_float_round_mode_16_64 0
		.amdhsa_float_denorm_mode_32 3
		.amdhsa_float_denorm_mode_16_64 3
		.amdhsa_dx10_clamp 1
		.amdhsa_ieee_mode 1
		.amdhsa_fp16_overflow 0
		.amdhsa_exception_fp_ieee_invalid_op 0
		.amdhsa_exception_fp_denorm_src 0
		.amdhsa_exception_fp_ieee_div_zero 0
		.amdhsa_exception_fp_ieee_overflow 0
		.amdhsa_exception_fp_ieee_underflow 0
		.amdhsa_exception_fp_ieee_inexact 0
		.amdhsa_exception_int_div_zero 0
	.end_amdhsa_kernel
	.section	.text._ZN2at6native32elementwise_kernel_manual_unrollILi128ELi8EZNS0_22gpu_kernel_impl_nocastINS0_11FillFunctorIbEEEEvRNS_18TensorIteratorBaseERKT_EUlibE_EEviT1_,"axG",@progbits,_ZN2at6native32elementwise_kernel_manual_unrollILi128ELi8EZNS0_22gpu_kernel_impl_nocastINS0_11FillFunctorIbEEEEvRNS_18TensorIteratorBaseERKT_EUlibE_EEviT1_,comdat
.Lfunc_end93:
	.size	_ZN2at6native32elementwise_kernel_manual_unrollILi128ELi8EZNS0_22gpu_kernel_impl_nocastINS0_11FillFunctorIbEEEEvRNS_18TensorIteratorBaseERKT_EUlibE_EEviT1_, .Lfunc_end93-_ZN2at6native32elementwise_kernel_manual_unrollILi128ELi8EZNS0_22gpu_kernel_impl_nocastINS0_11FillFunctorIbEEEEvRNS_18TensorIteratorBaseERKT_EUlibE_EEviT1_
                                        ; -- End function
	.set _ZN2at6native32elementwise_kernel_manual_unrollILi128ELi8EZNS0_22gpu_kernel_impl_nocastINS0_11FillFunctorIbEEEEvRNS_18TensorIteratorBaseERKT_EUlibE_EEviT1_.num_vgpr, 16
	.set _ZN2at6native32elementwise_kernel_manual_unrollILi128ELi8EZNS0_22gpu_kernel_impl_nocastINS0_11FillFunctorIbEEEEvRNS_18TensorIteratorBaseERKT_EUlibE_EEviT1_.num_agpr, 0
	.set _ZN2at6native32elementwise_kernel_manual_unrollILi128ELi8EZNS0_22gpu_kernel_impl_nocastINS0_11FillFunctorIbEEEEvRNS_18TensorIteratorBaseERKT_EUlibE_EEviT1_.numbered_sgpr, 53
	.set _ZN2at6native32elementwise_kernel_manual_unrollILi128ELi8EZNS0_22gpu_kernel_impl_nocastINS0_11FillFunctorIbEEEEvRNS_18TensorIteratorBaseERKT_EUlibE_EEviT1_.num_named_barrier, 0
	.set _ZN2at6native32elementwise_kernel_manual_unrollILi128ELi8EZNS0_22gpu_kernel_impl_nocastINS0_11FillFunctorIbEEEEvRNS_18TensorIteratorBaseERKT_EUlibE_EEviT1_.private_seg_size, 0
	.set _ZN2at6native32elementwise_kernel_manual_unrollILi128ELi8EZNS0_22gpu_kernel_impl_nocastINS0_11FillFunctorIbEEEEvRNS_18TensorIteratorBaseERKT_EUlibE_EEviT1_.uses_vcc, 1
	.set _ZN2at6native32elementwise_kernel_manual_unrollILi128ELi8EZNS0_22gpu_kernel_impl_nocastINS0_11FillFunctorIbEEEEvRNS_18TensorIteratorBaseERKT_EUlibE_EEviT1_.uses_flat_scratch, 0
	.set _ZN2at6native32elementwise_kernel_manual_unrollILi128ELi8EZNS0_22gpu_kernel_impl_nocastINS0_11FillFunctorIbEEEEvRNS_18TensorIteratorBaseERKT_EUlibE_EEviT1_.has_dyn_sized_stack, 0
	.set _ZN2at6native32elementwise_kernel_manual_unrollILi128ELi8EZNS0_22gpu_kernel_impl_nocastINS0_11FillFunctorIbEEEEvRNS_18TensorIteratorBaseERKT_EUlibE_EEviT1_.has_recursion, 0
	.set _ZN2at6native32elementwise_kernel_manual_unrollILi128ELi8EZNS0_22gpu_kernel_impl_nocastINS0_11FillFunctorIbEEEEvRNS_18TensorIteratorBaseERKT_EUlibE_EEviT1_.has_indirect_call, 0
	.section	.AMDGPU.csdata,"",@progbits
; Kernel info:
; codeLenInByte = 9820
; TotalNumSgprs: 57
; NumVgprs: 16
; ScratchSize: 0
; MemoryBound: 0
; FloatMode: 240
; IeeeMode: 1
; LDSByteSize: 0 bytes/workgroup (compile time only)
; SGPRBlocks: 7
; VGPRBlocks: 3
; NumSGPRsForWavesPerEU: 57
; NumVGPRsForWavesPerEU: 16
; Occupancy: 10
; WaveLimiterHint : 1
; COMPUTE_PGM_RSRC2:SCRATCH_EN: 0
; COMPUTE_PGM_RSRC2:USER_SGPR: 6
; COMPUTE_PGM_RSRC2:TRAP_HANDLER: 0
; COMPUTE_PGM_RSRC2:TGID_X_EN: 1
; COMPUTE_PGM_RSRC2:TGID_Y_EN: 0
; COMPUTE_PGM_RSRC2:TGID_Z_EN: 0
; COMPUTE_PGM_RSRC2:TIDIG_COMP_CNT: 0
	.section	.text._ZN2at6native32elementwise_kernel_manual_unrollILi128ELi4EZNS0_15gpu_kernel_implINS0_11FillFunctorIbEEEEvRNS_18TensorIteratorBaseERKT_EUlibE_EEviT1_,"axG",@progbits,_ZN2at6native32elementwise_kernel_manual_unrollILi128ELi4EZNS0_15gpu_kernel_implINS0_11FillFunctorIbEEEEvRNS_18TensorIteratorBaseERKT_EUlibE_EEviT1_,comdat
	.protected	_ZN2at6native32elementwise_kernel_manual_unrollILi128ELi4EZNS0_15gpu_kernel_implINS0_11FillFunctorIbEEEEvRNS_18TensorIteratorBaseERKT_EUlibE_EEviT1_ ; -- Begin function _ZN2at6native32elementwise_kernel_manual_unrollILi128ELi4EZNS0_15gpu_kernel_implINS0_11FillFunctorIbEEEEvRNS_18TensorIteratorBaseERKT_EUlibE_EEviT1_
	.globl	_ZN2at6native32elementwise_kernel_manual_unrollILi128ELi4EZNS0_15gpu_kernel_implINS0_11FillFunctorIbEEEEvRNS_18TensorIteratorBaseERKT_EUlibE_EEviT1_
	.p2align	8
	.type	_ZN2at6native32elementwise_kernel_manual_unrollILi128ELi4EZNS0_15gpu_kernel_implINS0_11FillFunctorIbEEEEvRNS_18TensorIteratorBaseERKT_EUlibE_EEviT1_,@function
_ZN2at6native32elementwise_kernel_manual_unrollILi128ELi4EZNS0_15gpu_kernel_implINS0_11FillFunctorIbEEEEvRNS_18TensorIteratorBaseERKT_EUlibE_EEviT1_: ; @_ZN2at6native32elementwise_kernel_manual_unrollILi128ELi4EZNS0_15gpu_kernel_implINS0_11FillFunctorIbEEEEvRNS_18TensorIteratorBaseERKT_EUlibE_EEviT1_
; %bb.0:
	s_load_dwordx4 s[20:23], s[4:5], 0x8
	s_load_dword s50, s[4:5], 0x0
	v_lshl_or_b32 v21, s6, 9, v0
	v_or_b32_e32 v0, 0x180, v21
	s_mov_b64 s[18:19], 0
	s_waitcnt lgkmcnt(0)
	s_bfe_u32 s33, s23, 0x80008
	v_cmp_le_i32_e32 vcc, s50, v0
	s_mov_b64 s[2:3], 0
	s_and_saveexec_b64 s[0:1], vcc
	s_xor_b64 s[24:25], exec, s[0:1]
	s_cbranch_execz .LBB94_404
; %bb.1:
	s_and_b32 s26, s23, 0xff
	s_bitcmp1_b32 s23, 0
	s_cselect_b64 s[34:35], -1, 0
	v_cndmask_b32_e64 v4, 0, 1.0, s[34:35]
	v_and_b32_e32 v1, 0x400000, v4
	v_lshrrev_b32_e32 v0, 23, v4
	v_cmp_ne_u32_e32 vcc, 0, v1
	v_and_b32_e32 v1, 0x3fffff, v4
	s_movk_i32 s0, 0xff
	v_or_b32_e32 v1, v0, v1
	v_cmp_eq_u32_e64 s[16:17], s0, v0
	v_cmp_ne_u32_e64 s[0:1], 0, v1
	s_and_b64 s[0:1], vcc, s[0:1]
	v_cndmask_b32_e64 v1, 0, 1, s[0:1]
	s_mov_b32 s0, 0x43800000
	v_cmp_gt_u32_e64 s[14:15], s0, v4
	s_mov_b32 s0, 0x3bffffff
	v_add_f32_e32 v19, 0x46000000, v4
	v_add_u32_e32 v20, v0, v1
	v_cmp_lt_u32_e64 s[12:13], s0, v4
	v_bfe_u32 v0, v4, 20, 1
	v_readfirstlane_b32 s0, v19
	s_mov_b32 s2, 0x47800000
	v_add_u32_e32 v0, v4, v0
	s_and_b32 s0, s0, 0xff
	v_cmp_gt_u32_e64 s[10:11], s2, v4
	s_mov_b32 s2, 0x37ffffff
	v_add_f32_e32 v16, 0x42800000, v4
	v_add_u32_e32 v1, 0x487ffff, v0
	s_cmp_lg_u32 s0, 0
	v_cmp_lt_u32_e64 s[8:9], s2, v4
	v_readfirstlane_b32 s2, v16
	v_lshrrev_b32_e32 v18, 20, v1
	s_cselect_b64 s[30:31], -1, 0
	v_bfe_u32 v1, v4, 21, 1
	s_and_b32 s2, s2, 0xff
	v_add_u32_e32 v1, v4, v1
	s_cmp_lg_u32 s2, 0
	s_mov_b32 s2, 0x43efffff
	v_add_u32_e32 v2, 0x88fffff, v1
	v_cmp_lt_u32_e64 s[4:5], s2, v4
	s_mov_b32 s2, 0x3c800000
	v_add_u32_e32 v0, 0x407ffff, v0
	v_lshrrev_b32_e32 v15, 21, v2
	v_cmp_gt_u32_e64 s[6:7], s2, v4
	v_lshrrev_b32_e32 v2, 20, v0
	v_and_b32_e32 v0, 0xff00000, v0
	s_mov_b32 s2, 0x7f00000
	v_mov_b32_e32 v3, 0x7e
	v_cmp_ne_u32_e32 vcc, s2, v0
	v_add_u32_e32 v0, 0x80fffff, v1
	s_mov_b32 s36, 0x7f800000
	v_cndmask_b32_e32 v13, v3, v2, vcc
	v_lshrrev_b32_e32 v10, 21, v0
	v_mov_b32_e32 v0, 0x7f
	v_cmp_lt_u32_e32 vcc, s36, v4
	v_mov_b32_e32 v1, 0x7c
	v_cndmask_b32_e32 v17, v3, v0, vcc
	v_cndmask_b32_e32 v12, v1, v0, vcc
	v_bfe_u32 v0, v4, 16, 1
	v_add_u32_e32 v0, v4, v0
	v_add_u32_e32 v0, 0x7fff, v0
	v_lshrrev_b32_e32 v9, 16, v0
	v_cndmask_b32_e64 v0, 0, 1, s[34:35]
	v_cvt_f64_u32_e32 v[0:1], v0
	v_cvt_f16_f32_e32 v8, v4
	s_mov_b32 s0, 0x477fffff
	s_mov_b32 s2, 0x38800000
	;; [unrolled: 1-line block ×3, first 2 shown]
	v_cmp_lt_u32_e64 s[0:1], s0, v4
	s_cselect_b64 s[28:29], -1, 0
	v_add_f32_e32 v14, 0x46800000, v4
	v_cmp_gt_u32_e64 s[2:3], s2, v4
	v_add_f32_e32 v11, 0x43000000, v4
	v_cmp_gt_i32_e32 vcc, s50, v21
	s_mov_b64 s[38:39], -1
	s_mov_b64 s[40:41], 0
	s_mov_b64 s[34:35], 0
	s_and_saveexec_b64 s[36:37], vcc
	s_cbranch_execz .LBB94_100
; %bb.2:
	v_mul_lo_u32 v2, v21, s22
	v_mov_b32_e32 v3, s21
	s_and_b32 s44, 0xffff, s33
	s_cmp_lt_i32 s44, 11
	v_ashrrev_i32_e32 v5, 31, v2
	v_add_co_u32_e32 v6, vcc, s20, v2
	v_addc_co_u32_e32 v7, vcc, v3, v5, vcc
	s_cbranch_scc1 .LBB94_9
; %bb.3:
	s_cmp_gt_i32 s44, 25
	s_cbranch_scc0 .LBB94_12
; %bb.4:
	s_cmp_gt_i32 s44, 28
	s_cbranch_scc0 .LBB94_13
	;; [unrolled: 3-line block ×4, first 2 shown]
; %bb.7:
	s_mov_b64 s[42:43], 0
	s_mov_b64 s[34:35], -1
	s_cmp_eq_u32 s44, 46
	s_mov_b64 s[38:39], 0
	s_cbranch_scc0 .LBB94_16
; %bb.8:
	global_store_dword v[6:7], v9, off
	s_mov_b64 s[38:39], -1
	s_mov_b64 s[34:35], 0
	s_branch .LBB94_16
.LBB94_9:
	s_mov_b64 s[38:39], 0
	s_cbranch_execnz .LBB94_60
.LBB94_10:
	s_andn2_b64 vcc, exec, s[38:39]
	s_cbranch_vccnz .LBB94_98
.LBB94_11:
	v_add_u32_e32 v21, 0x80, v21
	s_mov_b64 s[38:39], -1
	s_branch .LBB94_99
.LBB94_12:
	s_mov_b64 s[38:39], 0
	s_cbranch_execnz .LBB94_38
	s_branch .LBB94_59
.LBB94_13:
	s_mov_b64 s[42:43], -1
	s_mov_b64 s[38:39], 0
	s_branch .LBB94_24
.LBB94_14:
	s_mov_b64 s[42:43], -1
	s_mov_b64 s[38:39], 0
	s_branch .LBB94_20
.LBB94_15:
	s_mov_b64 s[42:43], -1
	s_mov_b64 s[38:39], 0
.LBB94_16:
	s_and_b64 vcc, exec, s[42:43]
	s_cbranch_vccz .LBB94_19
; %bb.17:
	s_cmp_eq_u32 s44, 44
	s_mov_b64 s[34:35], -1
	s_cbranch_scc0 .LBB94_19
; %bb.18:
	v_mov_b32_e32 v2, 0xffff
	v_cndmask_b32_e64 v2, v20, v2, s[16:17]
	global_store_byte v[6:7], v2, off
	s_mov_b64 s[38:39], -1
	s_mov_b64 s[34:35], 0
.LBB94_19:
	s_mov_b64 s[42:43], 0
.LBB94_20:
	s_and_b64 vcc, exec, s[42:43]
	s_cbranch_vccz .LBB94_23
; %bb.21:
	s_cmp_eq_u32 s44, 29
	s_mov_b64 s[34:35], -1
	s_cbranch_scc0 .LBB94_23
; %bb.22:
	v_mov_b32_e32 v2, s26
	v_mov_b32_e32 v3, s27
	global_store_dwordx2 v[6:7], v[2:3], off
	s_mov_b64 s[38:39], -1
	s_mov_b64 s[34:35], 0
.LBB94_23:
	s_mov_b64 s[42:43], 0
.LBB94_24:
	s_and_b64 vcc, exec, s[42:43]
	s_cbranch_vccz .LBB94_37
; %bb.25:
	s_cmp_lt_i32 s44, 27
	s_mov_b64 s[38:39], -1
	s_cbranch_scc1 .LBB94_31
; %bb.26:
	s_cmp_gt_i32 s44, 27
	s_cbranch_scc0 .LBB94_28
; %bb.27:
	v_mov_b32_e32 v2, s26
	s_mov_b64 s[38:39], 0
	global_store_dword v[6:7], v2, off
.LBB94_28:
	s_andn2_b64 vcc, exec, s[38:39]
	s_cbranch_vccnz .LBB94_30
; %bb.29:
	v_mov_b32_e32 v2, s26
	global_store_short v[6:7], v2, off
.LBB94_30:
	s_mov_b64 s[38:39], 0
.LBB94_31:
	s_andn2_b64 vcc, exec, s[38:39]
	s_cbranch_vccnz .LBB94_36
; %bb.32:
	s_andn2_b64 vcc, exec, s[14:15]
	v_mov_b32_e32 v2, 0x80
	s_cbranch_vccnz .LBB94_35
; %bb.33:
	s_or_b64 s[38:39], s[12:13], s[30:31]
	s_andn2_b64 vcc, exec, s[38:39]
	v_mov_b32_e32 v2, 0
	s_cbranch_vccnz .LBB94_35
; %bb.34:
	v_cndmask_b32_e64 v2, v19, v18, s[12:13]
.LBB94_35:
	global_store_byte v[6:7], v2, off
.LBB94_36:
	s_mov_b64 s[38:39], -1
.LBB94_37:
	s_branch .LBB94_59
.LBB94_38:
	s_cmp_gt_i32 s44, 22
	s_mov_b64 s[42:43], -1
	s_cbranch_scc0 .LBB94_51
; %bb.39:
	s_cmp_lt_i32 s44, 24
	s_mov_b64 s[38:39], -1
	s_cbranch_scc1 .LBB94_48
; %bb.40:
	s_cmp_gt_i32 s44, 24
	s_cbranch_scc0 .LBB94_45
; %bb.41:
	s_andn2_b64 vcc, exec, s[10:11]
	v_mov_b32_e32 v2, 0x80
	s_cbranch_vccnz .LBB94_44
; %bb.42:
	s_or_b64 s[38:39], s[8:9], s[28:29]
	s_andn2_b64 vcc, exec, s[38:39]
	v_mov_b32_e32 v2, 0
	s_cbranch_vccnz .LBB94_44
; %bb.43:
	v_cndmask_b32_e64 v2, v16, v15, s[8:9]
.LBB94_44:
	s_mov_b64 s[38:39], 0
	global_store_byte v[6:7], v2, off
.LBB94_45:
	s_and_b64 vcc, exec, s[38:39]
	s_cbranch_vccz .LBB94_47
; %bb.46:
	v_cndmask_b32_e64 v2, v13, v14, s[6:7]
	v_cndmask_b32_e64 v2, v2, v17, s[4:5]
	global_store_byte v[6:7], v2, off
.LBB94_47:
	s_mov_b64 s[38:39], 0
.LBB94_48:
	s_andn2_b64 vcc, exec, s[38:39]
	s_cbranch_vccnz .LBB94_50
; %bb.49:
	v_cndmask_b32_e64 v2, v10, v11, s[2:3]
	v_cndmask_b32_e64 v2, v2, v12, s[0:1]
	global_store_byte v[6:7], v2, off
.LBB94_50:
	s_mov_b64 s[42:43], 0
	s_mov_b64 s[38:39], -1
.LBB94_51:
	s_andn2_b64 vcc, exec, s[42:43]
	s_cbranch_vccnz .LBB94_59
; %bb.52:
	s_cmp_gt_i32 s44, 14
	s_mov_b64 s[42:43], -1
	s_cbranch_scc0 .LBB94_56
; %bb.53:
	s_cmp_eq_u32 s44, 15
	s_mov_b64 s[34:35], -1
	s_cbranch_scc0 .LBB94_55
; %bb.54:
	global_store_short v[6:7], v9, off
	s_mov_b64 s[38:39], -1
	s_mov_b64 s[34:35], 0
.LBB94_55:
	s_mov_b64 s[42:43], 0
.LBB94_56:
	s_and_b64 vcc, exec, s[42:43]
	s_cbranch_vccz .LBB94_59
; %bb.57:
	s_cmp_eq_u32 s44, 11
	s_mov_b64 s[34:35], -1
	s_cbranch_scc0 .LBB94_59
; %bb.58:
	v_mov_b32_e32 v2, s23
	s_mov_b64 s[38:39], -1
	s_mov_b64 s[34:35], 0
	global_store_byte v[6:7], v2, off
.LBB94_59:
	s_branch .LBB94_10
.LBB94_60:
	s_cmp_lt_i32 s44, 5
	s_mov_b64 s[38:39], -1
	s_cbranch_scc1 .LBB94_81
; %bb.61:
	s_cmp_lt_i32 s44, 8
	s_cbranch_scc1 .LBB94_71
; %bb.62:
	s_cmp_lt_i32 s44, 9
	s_cbranch_scc1 .LBB94_68
; %bb.63:
	s_cmp_gt_i32 s44, 9
	s_cbranch_scc0 .LBB94_65
; %bb.64:
	v_mov_b32_e32 v2, 0
	v_mov_b32_e32 v3, v2
	global_store_dwordx4 v[6:7], v[0:3], off
	s_mov_b64 s[38:39], 0
.LBB94_65:
	s_andn2_b64 vcc, exec, s[38:39]
	s_cbranch_vccnz .LBB94_67
; %bb.66:
	v_mov_b32_e32 v5, 0
	global_store_dwordx2 v[6:7], v[4:5], off
.LBB94_67:
	s_mov_b64 s[38:39], 0
.LBB94_68:
	s_andn2_b64 vcc, exec, s[38:39]
	s_cbranch_vccnz .LBB94_70
; %bb.69:
	global_store_dword v[6:7], v8, off
.LBB94_70:
	s_mov_b64 s[38:39], 0
.LBB94_71:
	s_andn2_b64 vcc, exec, s[38:39]
	s_cbranch_vccnz .LBB94_80
; %bb.72:
	s_cmp_lt_i32 s44, 6
	s_mov_b64 s[38:39], -1
	s_cbranch_scc1 .LBB94_78
; %bb.73:
	s_cmp_gt_i32 s44, 6
	s_cbranch_scc0 .LBB94_75
; %bb.74:
	global_store_dwordx2 v[6:7], v[0:1], off
	s_mov_b64 s[38:39], 0
.LBB94_75:
	s_andn2_b64 vcc, exec, s[38:39]
	s_cbranch_vccnz .LBB94_77
; %bb.76:
	global_store_dword v[6:7], v4, off
.LBB94_77:
	s_mov_b64 s[38:39], 0
.LBB94_78:
	s_andn2_b64 vcc, exec, s[38:39]
	s_cbranch_vccnz .LBB94_80
; %bb.79:
	global_store_short v[6:7], v8, off
.LBB94_80:
	s_mov_b64 s[38:39], 0
.LBB94_81:
	s_andn2_b64 vcc, exec, s[38:39]
	s_cbranch_vccnz .LBB94_97
; %bb.82:
	s_cmp_lt_i32 s44, 2
	s_mov_b64 s[38:39], -1
	s_cbranch_scc1 .LBB94_92
; %bb.83:
	s_cmp_lt_i32 s44, 3
	s_cbranch_scc1 .LBB94_89
; %bb.84:
	s_cmp_gt_i32 s44, 3
	s_cbranch_scc0 .LBB94_86
; %bb.85:
	v_mov_b32_e32 v2, s26
	v_mov_b32_e32 v3, s27
	global_store_dwordx2 v[6:7], v[2:3], off
	s_mov_b64 s[38:39], 0
.LBB94_86:
	s_andn2_b64 vcc, exec, s[38:39]
	s_cbranch_vccnz .LBB94_88
; %bb.87:
	v_mov_b32_e32 v2, s26
	global_store_dword v[6:7], v2, off
.LBB94_88:
	s_mov_b64 s[38:39], 0
.LBB94_89:
	s_andn2_b64 vcc, exec, s[38:39]
	s_cbranch_vccnz .LBB94_91
; %bb.90:
	v_mov_b32_e32 v2, s26
	global_store_short v[6:7], v2, off
.LBB94_91:
	s_mov_b64 s[38:39], 0
.LBB94_92:
	s_andn2_b64 vcc, exec, s[38:39]
	s_cbranch_vccnz .LBB94_97
; %bb.93:
	s_cmp_gt_i32 s44, 0
	s_mov_b64 s[38:39], -1
	s_cbranch_scc0 .LBB94_95
; %bb.94:
	v_mov_b32_e32 v2, s23
	global_store_byte v[6:7], v2, off
	s_mov_b64 s[38:39], 0
.LBB94_95:
	s_andn2_b64 vcc, exec, s[38:39]
	s_cbranch_vccnz .LBB94_97
; %bb.96:
	v_mov_b32_e32 v2, s23
	global_store_byte v[6:7], v2, off
.LBB94_97:
	s_branch .LBB94_11
.LBB94_98:
	s_mov_b64 s[38:39], 0
                                        ; implicit-def: $vgpr21
.LBB94_99:
	s_and_b64 s[34:35], s[34:35], exec
	s_orn2_b64 s[38:39], s[38:39], exec
.LBB94_100:
	s_or_b64 exec, exec, s[36:37]
	s_mov_b64 s[42:43], 0
                                        ; implicit-def: $vgpr6_vgpr7
	s_and_saveexec_b64 s[36:37], s[38:39]
	s_cbranch_execz .LBB94_109
; %bb.101:
	v_cmp_gt_i32_e32 vcc, s50, v21
	s_mov_b64 s[44:45], -1
	s_mov_b64 s[38:39], s[34:35]
	s_and_saveexec_b64 s[40:41], vcc
	s_cbranch_execz .LBB94_204
; %bb.102:
	v_mul_lo_u32 v2, v21, s22
	v_mov_b32_e32 v3, s21
	s_and_b32 s46, 0xffff, s33
	s_cmp_lt_i32 s46, 11
	v_ashrrev_i32_e32 v5, 31, v2
	v_add_co_u32_e32 v6, vcc, s20, v2
	v_addc_co_u32_e32 v7, vcc, v3, v5, vcc
	s_cbranch_scc1 .LBB94_112
; %bb.103:
	s_cmp_gt_i32 s46, 25
	s_cbranch_scc0 .LBB94_115
; %bb.104:
	s_cmp_gt_i32 s46, 28
	s_cbranch_scc0 .LBB94_116
	;; [unrolled: 3-line block ×4, first 2 shown]
; %bb.107:
	s_mov_b64 s[44:45], 0
	s_mov_b64 s[38:39], -1
	s_cmp_eq_u32 s46, 46
	s_cbranch_scc0 .LBB94_119
; %bb.108:
	global_store_dword v[6:7], v9, off
	s_mov_b64 s[42:43], -1
	s_mov_b64 s[38:39], 0
	s_branch .LBB94_119
.LBB94_109:
	s_or_b64 exec, exec, s[36:37]
	s_mov_b64 s[0:1], 0
	s_and_saveexec_b64 s[2:3], s[34:35]
	s_cbranch_execnz .LBB94_364
.LBB94_110:
	s_or_b64 exec, exec, s[2:3]
	s_and_saveexec_b64 s[2:3], s[40:41]
	s_xor_b64 s[2:3], exec, s[2:3]
	s_cbranch_execz .LBB94_365
.LBB94_111:
	v_mov_b32_e32 v2, s23
	global_store_byte v[6:7], v2, off
	s_or_b64 exec, exec, s[2:3]
	s_and_saveexec_b64 s[2:3], s[42:43]
	s_xor_b64 s[2:3], exec, s[2:3]
	s_cbranch_execz .LBB94_403
	s_branch .LBB94_366
.LBB94_112:
	s_mov_b64 s[38:39], s[34:35]
	s_and_b64 vcc, exec, s[44:45]
	s_cbranch_vccnz .LBB94_164
.LBB94_113:
	s_andn2_b64 vcc, exec, s[42:43]
	s_cbranch_vccnz .LBB94_202
.LBB94_114:
	v_add_u32_e32 v21, 0x80, v21
	s_mov_b64 s[42:43], -1
	s_branch .LBB94_203
.LBB94_115:
	s_mov_b64 s[38:39], s[34:35]
	s_branch .LBB94_141
.LBB94_116:
	s_mov_b64 s[38:39], s[34:35]
	s_branch .LBB94_127
.LBB94_117:
	s_mov_b64 s[38:39], s[34:35]
	s_branch .LBB94_123
.LBB94_118:
	s_mov_b64 s[38:39], s[34:35]
.LBB94_119:
	s_and_b64 vcc, exec, s[44:45]
	s_cbranch_vccz .LBB94_122
; %bb.120:
	s_cmp_eq_u32 s46, 44
	s_mov_b64 s[38:39], -1
	s_cbranch_scc0 .LBB94_122
; %bb.121:
	v_mov_b32_e32 v2, 0xffff
	v_cndmask_b32_e64 v2, v20, v2, s[16:17]
	s_mov_b64 s[42:43], -1
	s_mov_b64 s[38:39], 0
	global_store_byte v[6:7], v2, off
.LBB94_122:
	s_mov_b64 s[44:45], 0
.LBB94_123:
	s_and_b64 vcc, exec, s[44:45]
	s_cbranch_vccz .LBB94_126
; %bb.124:
	s_cmp_eq_u32 s46, 29
	s_mov_b64 s[38:39], -1
	s_cbranch_scc0 .LBB94_126
; %bb.125:
	v_mov_b32_e32 v2, s26
	v_mov_b32_e32 v3, s27
	global_store_dwordx2 v[6:7], v[2:3], off
	s_mov_b64 s[42:43], -1
	s_mov_b64 s[38:39], 0
.LBB94_126:
	s_mov_b64 s[44:45], 0
.LBB94_127:
	s_and_b64 vcc, exec, s[44:45]
	s_cbranch_vccz .LBB94_140
; %bb.128:
	s_cmp_lt_i32 s46, 27
	s_mov_b64 s[42:43], -1
	s_cbranch_scc1 .LBB94_134
; %bb.129:
	s_cmp_gt_i32 s46, 27
	s_cbranch_scc0 .LBB94_131
; %bb.130:
	v_mov_b32_e32 v2, s26
	s_mov_b64 s[42:43], 0
	global_store_dword v[6:7], v2, off
.LBB94_131:
	s_andn2_b64 vcc, exec, s[42:43]
	s_cbranch_vccnz .LBB94_133
; %bb.132:
	v_mov_b32_e32 v2, s26
	global_store_short v[6:7], v2, off
.LBB94_133:
	s_mov_b64 s[42:43], 0
.LBB94_134:
	s_andn2_b64 vcc, exec, s[42:43]
	s_cbranch_vccnz .LBB94_139
; %bb.135:
	s_andn2_b64 vcc, exec, s[14:15]
	v_mov_b32_e32 v2, 0x80
	s_cbranch_vccnz .LBB94_138
; %bb.136:
	s_or_b64 s[42:43], s[12:13], s[30:31]
	s_andn2_b64 vcc, exec, s[42:43]
	v_mov_b32_e32 v2, 0
	s_cbranch_vccnz .LBB94_138
; %bb.137:
	v_cndmask_b32_e64 v2, v19, v18, s[12:13]
.LBB94_138:
	global_store_byte v[6:7], v2, off
.LBB94_139:
	s_mov_b64 s[42:43], -1
.LBB94_140:
	s_mov_b64 s[44:45], 0
.LBB94_141:
	s_and_b64 vcc, exec, s[44:45]
	s_cbranch_vccz .LBB94_163
; %bb.142:
	s_cmp_gt_i32 s46, 22
	s_mov_b64 s[44:45], -1
	s_cbranch_scc0 .LBB94_155
; %bb.143:
	s_cmp_lt_i32 s46, 24
	s_mov_b64 s[42:43], -1
	s_cbranch_scc1 .LBB94_152
; %bb.144:
	s_cmp_gt_i32 s46, 24
	s_cbranch_scc0 .LBB94_149
; %bb.145:
	s_andn2_b64 vcc, exec, s[10:11]
	v_mov_b32_e32 v2, 0x80
	s_cbranch_vccnz .LBB94_148
; %bb.146:
	s_or_b64 s[42:43], s[8:9], s[28:29]
	s_andn2_b64 vcc, exec, s[42:43]
	v_mov_b32_e32 v2, 0
	s_cbranch_vccnz .LBB94_148
; %bb.147:
	v_cndmask_b32_e64 v2, v16, v15, s[8:9]
.LBB94_148:
	s_mov_b64 s[42:43], 0
	global_store_byte v[6:7], v2, off
.LBB94_149:
	s_and_b64 vcc, exec, s[42:43]
	s_cbranch_vccz .LBB94_151
; %bb.150:
	v_cndmask_b32_e64 v2, v13, v14, s[6:7]
	v_cndmask_b32_e64 v2, v2, v17, s[4:5]
	global_store_byte v[6:7], v2, off
.LBB94_151:
	s_mov_b64 s[42:43], 0
.LBB94_152:
	s_andn2_b64 vcc, exec, s[42:43]
	s_cbranch_vccnz .LBB94_154
; %bb.153:
	v_cndmask_b32_e64 v2, v10, v11, s[2:3]
	v_cndmask_b32_e64 v2, v2, v12, s[0:1]
	global_store_byte v[6:7], v2, off
.LBB94_154:
	s_mov_b64 s[44:45], 0
	s_mov_b64 s[42:43], -1
.LBB94_155:
	s_andn2_b64 vcc, exec, s[44:45]
	s_cbranch_vccnz .LBB94_163
; %bb.156:
	s_cmp_gt_i32 s46, 14
	s_mov_b64 s[44:45], -1
	s_cbranch_scc0 .LBB94_160
; %bb.157:
	s_cmp_eq_u32 s46, 15
	s_mov_b64 s[38:39], -1
	s_cbranch_scc0 .LBB94_159
; %bb.158:
	global_store_short v[6:7], v9, off
	s_mov_b64 s[42:43], -1
	s_mov_b64 s[38:39], 0
.LBB94_159:
	s_mov_b64 s[44:45], 0
.LBB94_160:
	s_and_b64 vcc, exec, s[44:45]
	s_cbranch_vccz .LBB94_163
; %bb.161:
	s_cmp_eq_u32 s46, 11
	s_mov_b64 s[38:39], -1
	s_cbranch_scc0 .LBB94_163
; %bb.162:
	v_mov_b32_e32 v2, s23
	s_mov_b64 s[42:43], -1
	s_mov_b64 s[38:39], 0
	global_store_byte v[6:7], v2, off
.LBB94_163:
	s_branch .LBB94_113
.LBB94_164:
	s_cmp_lt_i32 s46, 5
	s_mov_b64 s[42:43], -1
	s_cbranch_scc1 .LBB94_185
; %bb.165:
	s_cmp_lt_i32 s46, 8
	s_cbranch_scc1 .LBB94_175
; %bb.166:
	s_cmp_lt_i32 s46, 9
	s_cbranch_scc1 .LBB94_172
; %bb.167:
	s_cmp_gt_i32 s46, 9
	s_cbranch_scc0 .LBB94_169
; %bb.168:
	v_mov_b32_e32 v2, 0
	v_mov_b32_e32 v3, v2
	s_mov_b64 s[42:43], 0
	global_store_dwordx4 v[6:7], v[0:3], off
.LBB94_169:
	s_andn2_b64 vcc, exec, s[42:43]
	s_cbranch_vccnz .LBB94_171
; %bb.170:
	v_mov_b32_e32 v5, 0
	global_store_dwordx2 v[6:7], v[4:5], off
.LBB94_171:
	s_mov_b64 s[42:43], 0
.LBB94_172:
	s_andn2_b64 vcc, exec, s[42:43]
	s_cbranch_vccnz .LBB94_174
; %bb.173:
	global_store_dword v[6:7], v8, off
.LBB94_174:
	s_mov_b64 s[42:43], 0
.LBB94_175:
	s_andn2_b64 vcc, exec, s[42:43]
	s_cbranch_vccnz .LBB94_184
; %bb.176:
	s_cmp_lt_i32 s46, 6
	s_mov_b64 s[42:43], -1
	s_cbranch_scc1 .LBB94_182
; %bb.177:
	s_cmp_gt_i32 s46, 6
	s_cbranch_scc0 .LBB94_179
; %bb.178:
	s_mov_b64 s[42:43], 0
	global_store_dwordx2 v[6:7], v[0:1], off
.LBB94_179:
	s_andn2_b64 vcc, exec, s[42:43]
	s_cbranch_vccnz .LBB94_181
; %bb.180:
	global_store_dword v[6:7], v4, off
.LBB94_181:
	s_mov_b64 s[42:43], 0
.LBB94_182:
	s_andn2_b64 vcc, exec, s[42:43]
	s_cbranch_vccnz .LBB94_184
; %bb.183:
	global_store_short v[6:7], v8, off
.LBB94_184:
	s_mov_b64 s[42:43], 0
.LBB94_185:
	s_andn2_b64 vcc, exec, s[42:43]
	s_cbranch_vccnz .LBB94_201
; %bb.186:
	s_cmp_lt_i32 s46, 2
	s_mov_b64 s[42:43], -1
	s_cbranch_scc1 .LBB94_196
; %bb.187:
	s_cmp_lt_i32 s46, 3
	s_cbranch_scc1 .LBB94_193
; %bb.188:
	s_cmp_gt_i32 s46, 3
	s_cbranch_scc0 .LBB94_190
; %bb.189:
	v_mov_b32_e32 v2, s26
	v_mov_b32_e32 v3, s27
	s_mov_b64 s[42:43], 0
	global_store_dwordx2 v[6:7], v[2:3], off
.LBB94_190:
	s_andn2_b64 vcc, exec, s[42:43]
	s_cbranch_vccnz .LBB94_192
; %bb.191:
	v_mov_b32_e32 v2, s26
	global_store_dword v[6:7], v2, off
.LBB94_192:
	s_mov_b64 s[42:43], 0
.LBB94_193:
	s_andn2_b64 vcc, exec, s[42:43]
	s_cbranch_vccnz .LBB94_195
; %bb.194:
	v_mov_b32_e32 v2, s26
	global_store_short v[6:7], v2, off
.LBB94_195:
	s_mov_b64 s[42:43], 0
.LBB94_196:
	s_andn2_b64 vcc, exec, s[42:43]
	s_cbranch_vccnz .LBB94_201
; %bb.197:
	s_cmp_gt_i32 s46, 0
	s_mov_b64 s[42:43], -1
	s_cbranch_scc0 .LBB94_199
; %bb.198:
	v_mov_b32_e32 v2, s23
	s_mov_b64 s[42:43], 0
	global_store_byte v[6:7], v2, off
.LBB94_199:
	s_andn2_b64 vcc, exec, s[42:43]
	s_cbranch_vccnz .LBB94_201
; %bb.200:
	v_mov_b32_e32 v2, s23
	global_store_byte v[6:7], v2, off
.LBB94_201:
	s_branch .LBB94_114
.LBB94_202:
	s_mov_b64 s[42:43], 0
                                        ; implicit-def: $vgpr21
.LBB94_203:
	s_andn2_b64 s[44:45], s[34:35], exec
	s_and_b64 s[38:39], s[38:39], exec
	s_or_b64 s[38:39], s[44:45], s[38:39]
	s_orn2_b64 s[44:45], s[42:43], exec
.LBB94_204:
	s_or_b64 exec, exec, s[40:41]
	s_mov_b64 s[46:47], 0
	s_mov_b64 s[42:43], 0
                                        ; implicit-def: $vgpr6_vgpr7
	s_and_saveexec_b64 s[40:41], s[44:45]
	s_cbranch_execz .LBB94_363
; %bb.205:
	v_cmp_gt_i32_e32 vcc, s50, v21
	s_mov_b64 s[48:49], -1
	s_mov_b64 s[44:45], s[38:39]
	s_and_saveexec_b64 s[42:43], vcc
	s_cbranch_execz .LBB94_306
; %bb.206:
	v_mul_lo_u32 v2, v21, s22
	v_mov_b32_e32 v3, s21
	s_and_b32 s51, 0xffff, s33
	s_cmp_lt_i32 s51, 11
	v_ashrrev_i32_e32 v5, 31, v2
	v_add_co_u32_e32 v6, vcc, s20, v2
	v_addc_co_u32_e32 v7, vcc, v3, v5, vcc
	s_cbranch_scc1 .LBB94_213
; %bb.207:
	s_cmp_gt_i32 s51, 25
	s_cbranch_scc0 .LBB94_214
; %bb.208:
	s_cmp_gt_i32 s51, 28
	s_cbranch_scc0 .LBB94_215
	;; [unrolled: 3-line block ×4, first 2 shown]
; %bb.211:
	s_mov_b64 s[48:49], 0
	s_mov_b64 s[44:45], -1
	s_cmp_eq_u32 s51, 46
	s_cbranch_scc0 .LBB94_218
; %bb.212:
	global_store_dword v[6:7], v9, off
	s_mov_b64 s[46:47], -1
	s_mov_b64 s[44:45], 0
	s_branch .LBB94_218
.LBB94_213:
	s_mov_b64 s[44:45], s[38:39]
	s_branch .LBB94_263
.LBB94_214:
	s_mov_b64 s[44:45], s[38:39]
	s_branch .LBB94_240
.LBB94_215:
	s_mov_b64 s[44:45], s[38:39]
	s_branch .LBB94_226
.LBB94_216:
	s_mov_b64 s[44:45], s[38:39]
	s_branch .LBB94_222
.LBB94_217:
	s_mov_b64 s[44:45], s[38:39]
.LBB94_218:
	s_and_b64 vcc, exec, s[48:49]
	s_cbranch_vccz .LBB94_221
; %bb.219:
	s_cmp_eq_u32 s51, 44
	s_mov_b64 s[44:45], -1
	s_cbranch_scc0 .LBB94_221
; %bb.220:
	v_mov_b32_e32 v2, 0xffff
	v_cndmask_b32_e64 v2, v20, v2, s[16:17]
	s_mov_b64 s[46:47], -1
	s_mov_b64 s[44:45], 0
	global_store_byte v[6:7], v2, off
.LBB94_221:
	s_mov_b64 s[48:49], 0
.LBB94_222:
	s_and_b64 vcc, exec, s[48:49]
	s_cbranch_vccz .LBB94_225
; %bb.223:
	s_cmp_eq_u32 s51, 29
	s_mov_b64 s[44:45], -1
	s_cbranch_scc0 .LBB94_225
; %bb.224:
	v_mov_b32_e32 v2, s26
	v_mov_b32_e32 v3, s27
	global_store_dwordx2 v[6:7], v[2:3], off
	s_mov_b64 s[46:47], -1
	s_mov_b64 s[44:45], 0
.LBB94_225:
	s_mov_b64 s[48:49], 0
.LBB94_226:
	s_and_b64 vcc, exec, s[48:49]
	s_cbranch_vccz .LBB94_239
; %bb.227:
	s_cmp_lt_i32 s51, 27
	s_mov_b64 s[46:47], -1
	s_cbranch_scc1 .LBB94_233
; %bb.228:
	s_cmp_gt_i32 s51, 27
	s_cbranch_scc0 .LBB94_230
; %bb.229:
	v_mov_b32_e32 v2, s26
	s_mov_b64 s[46:47], 0
	global_store_dword v[6:7], v2, off
.LBB94_230:
	s_andn2_b64 vcc, exec, s[46:47]
	s_cbranch_vccnz .LBB94_232
; %bb.231:
	v_mov_b32_e32 v2, s26
	global_store_short v[6:7], v2, off
.LBB94_232:
	s_mov_b64 s[46:47], 0
.LBB94_233:
	s_andn2_b64 vcc, exec, s[46:47]
	s_cbranch_vccnz .LBB94_238
; %bb.234:
	s_andn2_b64 vcc, exec, s[14:15]
	v_mov_b32_e32 v2, 0x80
	s_cbranch_vccnz .LBB94_237
; %bb.235:
	s_or_b64 s[46:47], s[12:13], s[30:31]
	s_andn2_b64 vcc, exec, s[46:47]
	v_mov_b32_e32 v2, 0
	s_cbranch_vccnz .LBB94_237
; %bb.236:
	v_cndmask_b32_e64 v2, v19, v18, s[12:13]
.LBB94_237:
	global_store_byte v[6:7], v2, off
.LBB94_238:
	s_mov_b64 s[46:47], -1
.LBB94_239:
	s_mov_b64 s[48:49], 0
.LBB94_240:
	s_and_b64 vcc, exec, s[48:49]
	s_cbranch_vccz .LBB94_262
; %bb.241:
	s_cmp_gt_i32 s51, 22
	s_mov_b64 s[48:49], -1
	s_cbranch_scc0 .LBB94_254
; %bb.242:
	s_cmp_lt_i32 s51, 24
	s_mov_b64 s[46:47], -1
	s_cbranch_scc1 .LBB94_251
; %bb.243:
	s_cmp_gt_i32 s51, 24
	s_cbranch_scc0 .LBB94_248
; %bb.244:
	s_andn2_b64 vcc, exec, s[10:11]
	v_mov_b32_e32 v2, 0x80
	s_cbranch_vccnz .LBB94_247
; %bb.245:
	s_or_b64 s[46:47], s[8:9], s[28:29]
	s_andn2_b64 vcc, exec, s[46:47]
	v_mov_b32_e32 v2, 0
	s_cbranch_vccnz .LBB94_247
; %bb.246:
	v_cndmask_b32_e64 v2, v16, v15, s[8:9]
.LBB94_247:
	s_mov_b64 s[46:47], 0
	global_store_byte v[6:7], v2, off
.LBB94_248:
	s_and_b64 vcc, exec, s[46:47]
	s_cbranch_vccz .LBB94_250
; %bb.249:
	v_cndmask_b32_e64 v2, v13, v14, s[6:7]
	v_cndmask_b32_e64 v2, v2, v17, s[4:5]
	global_store_byte v[6:7], v2, off
.LBB94_250:
	s_mov_b64 s[46:47], 0
.LBB94_251:
	s_andn2_b64 vcc, exec, s[46:47]
	s_cbranch_vccnz .LBB94_253
; %bb.252:
	v_cndmask_b32_e64 v2, v10, v11, s[2:3]
	v_cndmask_b32_e64 v2, v2, v12, s[0:1]
	global_store_byte v[6:7], v2, off
.LBB94_253:
	s_mov_b64 s[48:49], 0
	s_mov_b64 s[46:47], -1
.LBB94_254:
	s_andn2_b64 vcc, exec, s[48:49]
	s_cbranch_vccnz .LBB94_262
; %bb.255:
	s_cmp_gt_i32 s51, 14
	s_mov_b64 s[48:49], -1
	s_cbranch_scc0 .LBB94_259
; %bb.256:
	s_cmp_eq_u32 s51, 15
	s_mov_b64 s[44:45], -1
	s_cbranch_scc0 .LBB94_258
; %bb.257:
	global_store_short v[6:7], v9, off
	s_mov_b64 s[46:47], -1
	s_mov_b64 s[44:45], 0
.LBB94_258:
	s_mov_b64 s[48:49], 0
.LBB94_259:
	s_and_b64 vcc, exec, s[48:49]
	s_cbranch_vccz .LBB94_262
; %bb.260:
	s_cmp_eq_u32 s51, 11
	s_mov_b64 s[44:45], -1
	s_cbranch_scc0 .LBB94_262
; %bb.261:
	v_mov_b32_e32 v2, s23
	s_mov_b64 s[46:47], -1
	s_mov_b64 s[44:45], 0
	global_store_byte v[6:7], v2, off
.LBB94_262:
	s_mov_b64 s[48:49], 0
.LBB94_263:
	s_and_b64 vcc, exec, s[48:49]
	s_cbranch_vccz .LBB94_302
; %bb.264:
	s_cmp_lt_i32 s51, 5
	s_mov_b64 s[46:47], -1
	s_cbranch_scc1 .LBB94_285
; %bb.265:
	s_cmp_lt_i32 s51, 8
	s_cbranch_scc1 .LBB94_275
; %bb.266:
	s_cmp_lt_i32 s51, 9
	s_cbranch_scc1 .LBB94_272
; %bb.267:
	s_cmp_gt_i32 s51, 9
	s_cbranch_scc0 .LBB94_269
; %bb.268:
	v_mov_b32_e32 v2, 0
	v_mov_b32_e32 v3, v2
	s_mov_b64 s[46:47], 0
	global_store_dwordx4 v[6:7], v[0:3], off
.LBB94_269:
	s_andn2_b64 vcc, exec, s[46:47]
	s_cbranch_vccnz .LBB94_271
; %bb.270:
	v_mov_b32_e32 v5, 0
	global_store_dwordx2 v[6:7], v[4:5], off
.LBB94_271:
	s_mov_b64 s[46:47], 0
.LBB94_272:
	s_andn2_b64 vcc, exec, s[46:47]
	s_cbranch_vccnz .LBB94_274
; %bb.273:
	global_store_dword v[6:7], v8, off
.LBB94_274:
	s_mov_b64 s[46:47], 0
.LBB94_275:
	s_andn2_b64 vcc, exec, s[46:47]
	s_cbranch_vccnz .LBB94_284
; %bb.276:
	s_cmp_lt_i32 s51, 6
	s_mov_b64 s[46:47], -1
	s_cbranch_scc1 .LBB94_282
; %bb.277:
	s_cmp_gt_i32 s51, 6
	s_cbranch_scc0 .LBB94_279
; %bb.278:
	s_mov_b64 s[46:47], 0
	global_store_dwordx2 v[6:7], v[0:1], off
.LBB94_279:
	s_andn2_b64 vcc, exec, s[46:47]
	s_cbranch_vccnz .LBB94_281
; %bb.280:
	global_store_dword v[6:7], v4, off
.LBB94_281:
	s_mov_b64 s[46:47], 0
.LBB94_282:
	s_andn2_b64 vcc, exec, s[46:47]
	s_cbranch_vccnz .LBB94_284
; %bb.283:
	global_store_short v[6:7], v8, off
.LBB94_284:
	s_mov_b64 s[46:47], 0
.LBB94_285:
	s_andn2_b64 vcc, exec, s[46:47]
	s_cbranch_vccnz .LBB94_301
; %bb.286:
	s_cmp_lt_i32 s51, 2
	s_mov_b64 s[46:47], -1
	s_cbranch_scc1 .LBB94_296
; %bb.287:
	s_cmp_lt_i32 s51, 3
	s_cbranch_scc1 .LBB94_293
; %bb.288:
	s_cmp_gt_i32 s51, 3
	s_cbranch_scc0 .LBB94_290
; %bb.289:
	v_mov_b32_e32 v2, s26
	v_mov_b32_e32 v3, s27
	s_mov_b64 s[46:47], 0
	global_store_dwordx2 v[6:7], v[2:3], off
.LBB94_290:
	s_andn2_b64 vcc, exec, s[46:47]
	s_cbranch_vccnz .LBB94_292
; %bb.291:
	v_mov_b32_e32 v2, s26
	global_store_dword v[6:7], v2, off
.LBB94_292:
	s_mov_b64 s[46:47], 0
.LBB94_293:
	s_andn2_b64 vcc, exec, s[46:47]
	s_cbranch_vccnz .LBB94_295
; %bb.294:
	v_mov_b32_e32 v2, s26
	global_store_short v[6:7], v2, off
.LBB94_295:
	s_mov_b64 s[46:47], 0
.LBB94_296:
	s_andn2_b64 vcc, exec, s[46:47]
	s_cbranch_vccnz .LBB94_301
; %bb.297:
	s_cmp_gt_i32 s51, 0
	s_mov_b64 s[46:47], -1
	s_cbranch_scc0 .LBB94_299
; %bb.298:
	v_mov_b32_e32 v2, s23
	s_mov_b64 s[46:47], 0
	global_store_byte v[6:7], v2, off
.LBB94_299:
	s_andn2_b64 vcc, exec, s[46:47]
	s_cbranch_vccnz .LBB94_301
; %bb.300:
	v_mov_b32_e32 v2, s23
	global_store_byte v[6:7], v2, off
.LBB94_301:
	s_mov_b64 s[46:47], -1
.LBB94_302:
	s_andn2_b64 vcc, exec, s[46:47]
	s_cbranch_vccnz .LBB94_304
; %bb.303:
	v_add_u32_e32 v21, 0x80, v21
	s_mov_b64 s[46:47], -1
	s_branch .LBB94_305
.LBB94_304:
	s_mov_b64 s[46:47], 0
                                        ; implicit-def: $vgpr21
.LBB94_305:
	s_andn2_b64 s[48:49], s[38:39], exec
	s_and_b64 s[44:45], s[44:45], exec
	s_or_b64 s[44:45], s[48:49], s[44:45]
	s_orn2_b64 s[48:49], s[46:47], exec
.LBB94_306:
	s_or_b64 exec, exec, s[42:43]
	s_mov_b64 s[46:47], 0
	s_mov_b64 s[52:53], 0
                                        ; implicit-def: $vgpr6_vgpr7
	s_and_saveexec_b64 s[42:43], s[48:49]
	s_cbranch_execz .LBB94_362
; %bb.307:
	v_cmp_gt_i32_e32 vcc, s50, v21
	s_mov_b64 s[50:51], 0
	s_mov_b64 s[48:49], s[44:45]
                                        ; implicit-def: $vgpr6_vgpr7
	s_and_saveexec_b64 s[46:47], vcc
	s_cbranch_execz .LBB94_361
; %bb.308:
	v_mul_lo_u32 v2, v21, s22
	v_mov_b32_e32 v3, s21
	s_and_b32 s52, 0xffff, s33
	s_cmp_lt_i32 s52, 11
	v_ashrrev_i32_e32 v5, 31, v2
	v_add_co_u32_e32 v6, vcc, s20, v2
	v_addc_co_u32_e32 v7, vcc, v3, v5, vcc
	s_cbranch_scc1 .LBB94_358
; %bb.309:
	s_mov_b64 s[50:51], -1
	s_cmp_gt_i32 s52, 25
	s_mov_b64 s[48:49], s[44:45]
	s_cbranch_scc0 .LBB94_337
; %bb.310:
	s_cmp_gt_i32 s52, 28
	s_mov_b64 s[48:49], s[44:45]
	s_cbranch_scc0 .LBB94_324
; %bb.311:
	;; [unrolled: 4-line block ×4, first 2 shown]
	s_cmp_eq_u32 s52, 46
	s_mov_b64 s[48:49], -1
	s_cbranch_scc0 .LBB94_315
; %bb.314:
	global_store_dword v[6:7], v9, off
	s_mov_b64 s[48:49], 0
.LBB94_315:
	s_mov_b64 s[50:51], 0
.LBB94_316:
	s_and_b64 vcc, exec, s[50:51]
	s_cbranch_vccz .LBB94_319
; %bb.317:
	s_cmp_eq_u32 s52, 44
	s_mov_b64 s[48:49], -1
	s_cbranch_scc0 .LBB94_319
; %bb.318:
	v_mov_b32_e32 v2, 0xffff
	v_cndmask_b32_e64 v2, v20, v2, s[16:17]
	global_store_byte v[6:7], v2, off
	s_mov_b64 s[48:49], 0
.LBB94_319:
	s_mov_b64 s[50:51], 0
.LBB94_320:
	s_and_b64 vcc, exec, s[50:51]
	s_cbranch_vccz .LBB94_323
; %bb.321:
	s_cmp_eq_u32 s52, 29
	s_mov_b64 s[48:49], -1
	s_cbranch_scc0 .LBB94_323
; %bb.322:
	v_mov_b32_e32 v2, s26
	v_mov_b32_e32 v3, s27
	global_store_dwordx2 v[6:7], v[2:3], off
	s_mov_b64 s[48:49], 0
.LBB94_323:
	s_mov_b64 s[50:51], 0
.LBB94_324:
	s_and_b64 vcc, exec, s[50:51]
	s_cbranch_vccz .LBB94_336
; %bb.325:
	s_cmp_lt_i32 s52, 27
	s_mov_b64 s[16:17], -1
	s_cbranch_scc1 .LBB94_331
; %bb.326:
	s_cmp_gt_i32 s52, 27
	s_cbranch_scc0 .LBB94_328
; %bb.327:
	v_mov_b32_e32 v2, s26
	s_mov_b64 s[16:17], 0
	global_store_dword v[6:7], v2, off
.LBB94_328:
	s_andn2_b64 vcc, exec, s[16:17]
	s_cbranch_vccnz .LBB94_330
; %bb.329:
	v_mov_b32_e32 v2, s26
	global_store_short v[6:7], v2, off
.LBB94_330:
	s_mov_b64 s[16:17], 0
.LBB94_331:
	s_andn2_b64 vcc, exec, s[16:17]
	s_cbranch_vccnz .LBB94_336
; %bb.332:
	s_andn2_b64 vcc, exec, s[14:15]
	v_mov_b32_e32 v2, 0x80
	s_cbranch_vccnz .LBB94_335
; %bb.333:
	s_or_b64 s[14:15], s[12:13], s[30:31]
	s_andn2_b64 vcc, exec, s[14:15]
	v_mov_b32_e32 v2, 0
	s_cbranch_vccnz .LBB94_335
; %bb.334:
	v_cndmask_b32_e64 v2, v19, v18, s[12:13]
.LBB94_335:
	global_store_byte v[6:7], v2, off
.LBB94_336:
	s_mov_b64 s[50:51], 0
.LBB94_337:
	s_mov_b64 s[12:13], 0
	s_and_b64 vcc, exec, s[50:51]
	s_cbranch_vccz .LBB94_359
; %bb.338:
	s_cmp_gt_i32 s52, 22
	s_mov_b64 s[14:15], -1
	s_cbranch_scc0 .LBB94_351
; %bb.339:
	s_cmp_lt_i32 s52, 24
	s_cbranch_scc1 .LBB94_348
; %bb.340:
	s_cmp_gt_i32 s52, 24
	s_cbranch_scc0 .LBB94_345
; %bb.341:
	s_andn2_b64 vcc, exec, s[10:11]
	v_mov_b32_e32 v2, 0x80
	s_cbranch_vccnz .LBB94_344
; %bb.342:
	s_or_b64 s[10:11], s[8:9], s[28:29]
	s_andn2_b64 vcc, exec, s[10:11]
	v_mov_b32_e32 v2, 0
	s_cbranch_vccnz .LBB94_344
; %bb.343:
	v_cndmask_b32_e64 v2, v16, v15, s[8:9]
.LBB94_344:
	s_mov_b64 s[14:15], 0
	global_store_byte v[6:7], v2, off
.LBB94_345:
	s_and_b64 vcc, exec, s[14:15]
	s_cbranch_vccz .LBB94_347
; %bb.346:
	v_cndmask_b32_e64 v2, v13, v14, s[6:7]
	v_cndmask_b32_e64 v2, v2, v17, s[4:5]
	global_store_byte v[6:7], v2, off
.LBB94_347:
	s_mov_b64 s[14:15], 0
.LBB94_348:
	s_andn2_b64 vcc, exec, s[14:15]
	s_cbranch_vccnz .LBB94_350
; %bb.349:
	v_cndmask_b32_e64 v2, v10, v11, s[2:3]
	v_cndmask_b32_e64 v2, v2, v12, s[0:1]
	global_store_byte v[6:7], v2, off
.LBB94_350:
	s_mov_b64 s[14:15], 0
.LBB94_351:
	s_andn2_b64 vcc, exec, s[14:15]
	s_mov_b64 s[0:1], 0
	s_cbranch_vccnz .LBB94_360
; %bb.352:
	s_cmp_gt_i32 s52, 14
	s_mov_b64 s[2:3], -1
	s_cbranch_scc0 .LBB94_356
; %bb.353:
	s_cmp_eq_u32 s52, 15
	s_mov_b64 s[48:49], -1
	s_cbranch_scc0 .LBB94_355
; %bb.354:
	global_store_short v[6:7], v9, off
	s_mov_b64 s[48:49], 0
.LBB94_355:
	s_mov_b64 s[2:3], 0
.LBB94_356:
	s_and_b64 vcc, exec, s[2:3]
	s_cbranch_vccz .LBB94_360
; %bb.357:
	s_cmp_lg_u32 s52, 11
	s_cselect_b64 s[2:3], -1, 0
	s_andn2_b64 s[4:5], s[48:49], exec
	s_and_b64 s[2:3], s[2:3], exec
	s_mov_b64 s[0:1], -1
	s_or_b64 s[48:49], s[4:5], s[2:3]
	s_branch .LBB94_360
.LBB94_358:
	s_mov_b64 s[0:1], 0
	s_mov_b64 s[12:13], -1
	s_mov_b64 s[48:49], s[44:45]
	s_branch .LBB94_360
.LBB94_359:
	s_mov_b64 s[0:1], 0
.LBB94_360:
	s_and_b64 s[50:51], s[0:1], exec
	s_andn2_b64 s[0:1], s[44:45], exec
	s_and_b64 s[2:3], s[48:49], exec
	s_and_b64 s[52:53], s[12:13], exec
	s_or_b64 s[48:49], s[0:1], s[2:3]
.LBB94_361:
	s_or_b64 exec, exec, s[46:47]
	s_andn2_b64 s[0:1], s[44:45], exec
	s_and_b64 s[2:3], s[48:49], exec
	s_and_b64 s[52:53], s[52:53], exec
	;; [unrolled: 1-line block ×3, first 2 shown]
	s_or_b64 s[44:45], s[0:1], s[2:3]
.LBB94_362:
	s_or_b64 exec, exec, s[42:43]
	s_andn2_b64 s[0:1], s[38:39], exec
	s_and_b64 s[2:3], s[44:45], exec
	s_and_b64 s[42:43], s[52:53], exec
	;; [unrolled: 1-line block ×3, first 2 shown]
	s_or_b64 s[38:39], s[0:1], s[2:3]
.LBB94_363:
	s_or_b64 exec, exec, s[40:41]
	s_andn2_b64 s[0:1], s[34:35], exec
	s_and_b64 s[2:3], s[38:39], exec
	s_and_b64 s[42:43], s[42:43], exec
	;; [unrolled: 1-line block ×3, first 2 shown]
	s_or_b64 s[34:35], s[0:1], s[2:3]
	s_or_b64 exec, exec, s[36:37]
	s_mov_b64 s[0:1], 0
	s_and_saveexec_b64 s[2:3], s[34:35]
	s_cbranch_execz .LBB94_110
.LBB94_364:
	s_mov_b64 s[0:1], exec
	s_andn2_b64 s[40:41], s[40:41], exec
	s_trap 2
	s_or_b64 exec, exec, s[2:3]
	s_and_saveexec_b64 s[2:3], s[40:41]
	s_xor_b64 s[2:3], exec, s[2:3]
	s_cbranch_execnz .LBB94_111
.LBB94_365:
	s_or_b64 exec, exec, s[2:3]
	s_and_saveexec_b64 s[2:3], s[42:43]
	s_xor_b64 s[2:3], exec, s[2:3]
	s_cbranch_execz .LBB94_403
.LBB94_366:
	s_sext_i32_i16 s6, s33
	s_cmp_lt_i32 s6, 5
	s_mov_b64 s[4:5], -1
	s_cbranch_scc1 .LBB94_387
; %bb.367:
	s_cmp_lt_i32 s6, 8
	s_cbranch_scc1 .LBB94_377
; %bb.368:
	s_cmp_lt_i32 s6, 9
	s_cbranch_scc1 .LBB94_374
; %bb.369:
	s_cmp_gt_i32 s6, 9
	s_cbranch_scc0 .LBB94_371
; %bb.370:
	v_mov_b32_e32 v2, 0
	v_mov_b32_e32 v3, v2
	s_mov_b64 s[4:5], 0
	global_store_dwordx4 v[6:7], v[0:3], off
.LBB94_371:
	s_andn2_b64 vcc, exec, s[4:5]
	s_cbranch_vccnz .LBB94_373
; %bb.372:
	v_mov_b32_e32 v5, 0
	global_store_dwordx2 v[6:7], v[4:5], off
.LBB94_373:
	s_mov_b64 s[4:5], 0
.LBB94_374:
	s_andn2_b64 vcc, exec, s[4:5]
	s_cbranch_vccnz .LBB94_376
; %bb.375:
	global_store_dword v[6:7], v8, off
.LBB94_376:
	s_mov_b64 s[4:5], 0
.LBB94_377:
	s_andn2_b64 vcc, exec, s[4:5]
	s_cbranch_vccnz .LBB94_386
; %bb.378:
	s_sext_i32_i16 s6, s33
	s_cmp_lt_i32 s6, 6
	s_mov_b64 s[4:5], -1
	s_cbranch_scc1 .LBB94_384
; %bb.379:
	s_cmp_gt_i32 s6, 6
	s_cbranch_scc0 .LBB94_381
; %bb.380:
	s_mov_b64 s[4:5], 0
	global_store_dwordx2 v[6:7], v[0:1], off
.LBB94_381:
	s_andn2_b64 vcc, exec, s[4:5]
	s_cbranch_vccnz .LBB94_383
; %bb.382:
	global_store_dword v[6:7], v4, off
.LBB94_383:
	s_mov_b64 s[4:5], 0
.LBB94_384:
	s_andn2_b64 vcc, exec, s[4:5]
	s_cbranch_vccnz .LBB94_386
; %bb.385:
	global_store_short v[6:7], v8, off
.LBB94_386:
	s_mov_b64 s[4:5], 0
.LBB94_387:
	s_andn2_b64 vcc, exec, s[4:5]
	s_cbranch_vccnz .LBB94_403
; %bb.388:
	s_sext_i32_i16 s6, s33
	s_cmp_lt_i32 s6, 2
	s_mov_b64 s[4:5], -1
	s_cbranch_scc1 .LBB94_398
; %bb.389:
	s_cmp_lt_i32 s6, 3
	s_cbranch_scc1 .LBB94_395
; %bb.390:
	s_cmp_gt_i32 s6, 3
	s_cbranch_scc0 .LBB94_392
; %bb.391:
	v_mov_b32_e32 v0, s26
	v_mov_b32_e32 v1, s27
	s_mov_b64 s[4:5], 0
	global_store_dwordx2 v[6:7], v[0:1], off
.LBB94_392:
	s_andn2_b64 vcc, exec, s[4:5]
	s_cbranch_vccnz .LBB94_394
; %bb.393:
	v_mov_b32_e32 v0, s26
	global_store_dword v[6:7], v0, off
.LBB94_394:
	s_mov_b64 s[4:5], 0
.LBB94_395:
	s_andn2_b64 vcc, exec, s[4:5]
	s_cbranch_vccnz .LBB94_397
; %bb.396:
	v_mov_b32_e32 v0, s26
	global_store_short v[6:7], v0, off
.LBB94_397:
	s_mov_b64 s[4:5], 0
.LBB94_398:
	s_andn2_b64 vcc, exec, s[4:5]
	s_cbranch_vccnz .LBB94_403
; %bb.399:
	s_sext_i32_i16 s4, s33
	s_cmp_gt_i32 s4, 0
	s_mov_b64 s[4:5], -1
	s_cbranch_scc0 .LBB94_401
; %bb.400:
	v_mov_b32_e32 v0, s23
	s_mov_b64 s[4:5], 0
	global_store_byte v[6:7], v0, off
.LBB94_401:
	s_andn2_b64 vcc, exec, s[4:5]
	s_cbranch_vccnz .LBB94_403
; %bb.402:
	v_mov_b32_e32 v0, s23
	global_store_byte v[6:7], v0, off
.LBB94_403:
	s_or_b64 exec, exec, s[2:3]
	s_and_b64 s[2:3], s[0:1], exec
                                        ; implicit-def: $vgpr21
.LBB94_404:
	s_or_saveexec_b64 s[4:5], s[24:25]
	s_mov_b64 s[8:9], 0
                                        ; implicit-def: $vgpr0_vgpr1
                                        ; implicit-def: $sgpr0_sgpr1
	s_xor_b64 exec, exec, s[4:5]
	s_cbranch_execz .LBB94_433
; %bb.405:
	v_mul_lo_u32 v2, s22, v21
	s_bitcmp1_b32 s23, 0
	v_mov_b32_e32 v1, s21
	s_cselect_b64 s[0:1], -1, 0
	v_ashrrev_i32_e32 v3, 31, v2
	s_and_b32 s16, 0xffff, s33
	v_add_co_u32_e32 v0, vcc, s20, v2
	s_cmp_lt_i32 s16, 11
	v_addc_co_u32_e32 v1, vcc, v1, v3, vcc
	s_cbranch_scc1 .LBB94_436
; %bb.406:
	s_mov_b64 s[12:13], -1
	s_cmp_gt_i32 s16, 25
	s_mov_b64 s[10:11], 0
	s_mov_b64 s[6:7], 0
	s_cbranch_scc0 .LBB94_446
; %bb.407:
	s_cmp_gt_i32 s16, 28
	s_cbranch_scc0 .LBB94_422
; %bb.408:
	s_cmp_gt_i32 s16, 43
	;; [unrolled: 3-line block ×3, first 2 shown]
	s_cbranch_scc0 .LBB94_412
; %bb.410:
	s_mov_b64 s[6:7], -1
	s_mov_b64 s[12:13], 0
	s_cmp_eq_u32 s16, 46
	s_cbranch_scc0 .LBB94_412
; %bb.411:
	v_cndmask_b32_e64 v3, 0, 1.0, s[0:1]
	v_bfe_u32 v4, v3, 16, 1
	v_add_u32_e32 v3, v3, v4
	v_add_u32_e32 v3, 0x7fff, v3
	v_lshrrev_b32_e32 v3, 16, v3
	global_store_dword v[0:1], v3, off
	s_mov_b64 s[6:7], 0
	s_mov_b64 s[10:11], -1
.LBB94_412:
	s_and_b64 vcc, exec, s[12:13]
	s_cbranch_vccz .LBB94_417
; %bb.413:
	s_cmp_eq_u32 s16, 44
	s_mov_b64 s[6:7], -1
	s_cbranch_scc0 .LBB94_417
; %bb.414:
	v_cndmask_b32_e64 v3, 0, 1.0, s[0:1]
	v_readfirstlane_b32 s7, v3
	s_lshr_b32 s6, s7, 23
	s_cmpk_eq_i32 s6, 0xff
	v_mov_b32_e32 v3, 0xff
	s_cbranch_scc1 .LBB94_416
; %bb.415:
	s_bitcmp1_b32 s7, 22
	s_cselect_b64 s[10:11], -1, 0
	s_and_b32 s7, s7, 0x3fffff
	s_or_b32 s7, s6, s7
	s_cmp_lg_u32 s7, 0
	s_cselect_b64 s[12:13], -1, 0
	s_and_b64 s[10:11], s[10:11], s[12:13]
	v_cndmask_b32_e64 v3, 0, 1, s[10:11]
	v_add_u32_e32 v3, s6, v3
.LBB94_416:
	s_mov_b64 s[6:7], 0
	s_mov_b64 s[10:11], -1
	global_store_byte v[0:1], v3, off
.LBB94_417:
	s_mov_b64 s[12:13], 0
.LBB94_418:
	s_and_b64 vcc, exec, s[12:13]
	s_cbranch_vccz .LBB94_421
; %bb.419:
	s_cmp_eq_u32 s16, 29
	s_mov_b64 s[6:7], -1
	s_cbranch_scc0 .LBB94_421
; %bb.420:
	s_and_b32 s6, s23, 0xff
	v_mov_b32_e32 v3, s6
	v_mov_b32_e32 v4, 0
	global_store_dwordx2 v[0:1], v[3:4], off
	s_mov_b64 s[6:7], 0
	s_mov_b64 s[10:11], -1
.LBB94_421:
	s_mov_b64 s[12:13], 0
.LBB94_422:
	s_and_b64 vcc, exec, s[12:13]
	s_cbranch_vccz .LBB94_445
; %bb.423:
	s_cmp_lt_i32 s16, 27
	s_mov_b64 s[10:11], -1
	s_cbranch_scc1 .LBB94_429
; %bb.424:
	s_cmp_gt_i32 s16, 27
	s_cbranch_scc0 .LBB94_426
; %bb.425:
	s_and_b32 s10, s23, 0xff
	v_mov_b32_e32 v3, s10
	s_mov_b64 s[10:11], 0
	global_store_dword v[0:1], v3, off
.LBB94_426:
	s_andn2_b64 vcc, exec, s[10:11]
	s_cbranch_vccnz .LBB94_428
; %bb.427:
	s_and_b32 s10, s23, 0xff
	v_mov_b32_e32 v3, s10
	global_store_short v[0:1], v3, off
.LBB94_428:
	s_mov_b64 s[10:11], 0
.LBB94_429:
	s_andn2_b64 vcc, exec, s[10:11]
	s_cbranch_vccnz .LBB94_444
; %bb.430:
	v_cndmask_b32_e64 v3, 0, 1.0, s[0:1]
	s_mov_b32 s11, 0x437fffff
	v_cmp_lt_u32_e32 vcc, s11, v3
	v_readfirstlane_b32 s10, v3
	v_mov_b32_e32 v5, 0x80
	s_cbranch_vccnz .LBB94_443
; %bb.431:
	s_cmp_gt_u32 s10, 0x3bffffff
	s_cbranch_scc0 .LBB94_438
; %bb.432:
	s_bfe_u32 s11, s10, 0x10014
	s_add_i32 s10, s10, s11
	s_add_i32 s10, s10, 0x487ffff
	s_lshr_b32 s14, s10, 20
	s_mov_b64 s[12:13], 0
	s_mov_b64 s[10:11], -1
	s_branch .LBB94_439
.LBB94_433:
	s_or_b64 exec, exec, s[4:5]
	s_and_saveexec_b64 s[4:5], s[2:3]
	s_cbranch_execz .LBB94_834
.LBB94_434:
	; divergent unreachable
	s_or_b64 exec, exec, s[4:5]
	s_and_saveexec_b64 s[2:3], s[18:19]
	s_xor_b64 s[2:3], exec, s[2:3]
	s_cbranch_execnz .LBB94_835
.LBB94_435:
	s_or_b64 exec, exec, s[2:3]
	s_and_saveexec_b64 s[2:3], s[8:9]
	s_cbranch_execnz .LBB94_836
	s_branch .LBB94_873
.LBB94_436:
	s_mov_b64 s[10:11], 0
	s_mov_b64 s[6:7], s[2:3]
	s_cbranch_execnz .LBB94_496
.LBB94_437:
	s_andn2_b64 vcc, exec, s[10:11]
	s_cbranch_vccz .LBB94_534
	s_branch .LBB94_832
.LBB94_438:
	s_mov_b64 s[12:13], -1
	s_mov_b64 s[10:11], 0
                                        ; implicit-def: $sgpr14
.LBB94_439:
	s_andn2_b64 vcc, exec, s[12:13]
	v_mov_b32_e32 v4, s14
	s_cbranch_vccnz .LBB94_441
; %bb.440:
	v_add_f32_e32 v3, 0x46000000, v3
	v_and_b32_e32 v4, 0xff, v3
	v_cmp_ne_u32_e64 s[10:11], 0, v4
.LBB94_441:
	s_andn2_b64 vcc, exec, s[10:11]
	v_mov_b32_e32 v5, 0
	s_cbranch_vccnz .LBB94_443
; %bb.442:
	v_mov_b32_e32 v5, v4
.LBB94_443:
	global_store_byte v[0:1], v5, off
.LBB94_444:
	s_mov_b64 s[10:11], -1
.LBB94_445:
	s_mov_b64 s[12:13], 0
.LBB94_446:
	s_and_b64 vcc, exec, s[12:13]
	s_cbranch_vccz .LBB94_492
; %bb.447:
	s_cmp_gt_i32 s16, 22
	s_mov_b64 s[8:9], -1
	s_cbranch_scc0 .LBB94_485
; %bb.448:
	s_cmp_lt_i32 s16, 24
	s_cbranch_scc1 .LBB94_472
; %bb.449:
	s_cmp_gt_i32 s16, 24
	s_cbranch_scc0 .LBB94_459
; %bb.450:
	v_cndmask_b32_e64 v3, 0, 1.0, s[0:1]
	s_mov_b32 s9, 0x477fffff
	v_cmp_lt_u32_e32 vcc, s9, v3
	v_readfirstlane_b32 s8, v3
	v_mov_b32_e32 v5, 0x80
	s_cbranch_vccnz .LBB94_458
; %bb.451:
	s_cmp_gt_u32 s8, 0x37ffffff
	s_cbranch_scc0 .LBB94_453
; %bb.452:
	s_bfe_u32 s9, s8, 0x10015
	s_add_i32 s8, s8, s9
	s_add_i32 s8, s8, 0x88fffff
	s_lshr_b32 s12, s8, 21
	s_mov_b64 s[10:11], 0
	s_mov_b64 s[8:9], -1
	s_branch .LBB94_454
.LBB94_453:
	s_mov_b64 s[10:11], -1
	s_mov_b64 s[8:9], 0
                                        ; implicit-def: $sgpr12
.LBB94_454:
	s_andn2_b64 vcc, exec, s[10:11]
	v_mov_b32_e32 v4, s12
	s_cbranch_vccnz .LBB94_456
; %bb.455:
	v_add_f32_e32 v3, 0x42800000, v3
	v_and_b32_e32 v4, 0xff, v3
	v_cmp_ne_u32_e64 s[8:9], 0, v4
.LBB94_456:
	s_andn2_b64 vcc, exec, s[8:9]
	v_mov_b32_e32 v5, 0
	s_cbranch_vccnz .LBB94_458
; %bb.457:
	v_mov_b32_e32 v5, v4
.LBB94_458:
	s_mov_b64 s[8:9], 0
	global_store_byte v[0:1], v5, off
.LBB94_459:
	s_and_b64 vcc, exec, s[8:9]
	s_cbranch_vccz .LBB94_471
; %bb.460:
	v_cndmask_b32_e64 v3, 0, 1.0, s[0:1]
	s_mov_b32 s8, 0x43f00000
	v_cmp_gt_u32_e32 vcc, s8, v3
	v_readfirstlane_b32 s10, v3
	s_cbranch_vccz .LBB94_463
; %bb.461:
	s_cmp_gt_u32 s10, 0x3c7fffff
	s_cbranch_scc0 .LBB94_464
; %bb.462:
	s_bfe_u32 s8, s10, 0x10014
	s_add_i32 s8, s10, s8
	s_add_i32 s8, s8, 0x407ffff
	s_lshr_b32 s9, s8, 20
	s_and_b32 s8, s8, 0xff00000
	s_cmp_lg_u32 s8, 0x7f00000
	s_cselect_b32 s11, s9, 0x7e
	s_mov_b64 s[8:9], 0
	s_branch .LBB94_465
.LBB94_463:
	s_mov_b64 s[8:9], -1
                                        ; implicit-def: $vgpr4
	s_branch .LBB94_468
.LBB94_464:
	s_mov_b64 s[8:9], -1
                                        ; implicit-def: $sgpr11
.LBB94_465:
	s_andn2_b64 vcc, exec, s[8:9]
	v_mov_b32_e32 v4, s11
	s_cbranch_vccnz .LBB94_467
; %bb.466:
	v_add_f32_e32 v4, 0x46800000, v3
.LBB94_467:
	s_mov_b64 s[8:9], 0
.LBB94_468:
	s_andn2_b64 vcc, exec, s[8:9]
	s_cbranch_vccnz .LBB94_470
; %bb.469:
	s_cmp_gt_u32 s10, 0x7f800000
	s_movk_i32 s8, 0x7f
	s_cselect_b32 s8, s8, 0x7e
	v_mov_b32_e32 v4, s8
.LBB94_470:
	global_store_byte v[0:1], v4, off
.LBB94_471:
	s_mov_b64 s[8:9], 0
.LBB94_472:
	s_andn2_b64 vcc, exec, s[8:9]
	s_cbranch_vccnz .LBB94_484
; %bb.473:
	v_cndmask_b32_e64 v3, 0, 1.0, s[0:1]
	s_mov_b32 s8, 0x47800000
	v_cmp_gt_u32_e32 vcc, s8, v3
	v_readfirstlane_b32 s10, v3
	s_cbranch_vccz .LBB94_476
; %bb.474:
	s_cmp_gt_u32 s10, 0x387fffff
	s_cbranch_scc0 .LBB94_477
; %bb.475:
	s_bfe_u32 s8, s10, 0x10015
	s_add_i32 s8, s10, s8
	s_add_i32 s8, s8, 0x80fffff
	s_lshr_b32 s11, s8, 21
	s_mov_b64 s[8:9], 0
	s_branch .LBB94_478
.LBB94_476:
	s_mov_b64 s[8:9], -1
                                        ; implicit-def: $vgpr4
	s_branch .LBB94_481
.LBB94_477:
	s_mov_b64 s[8:9], -1
                                        ; implicit-def: $sgpr11
.LBB94_478:
	s_andn2_b64 vcc, exec, s[8:9]
	v_mov_b32_e32 v4, s11
	s_cbranch_vccnz .LBB94_480
; %bb.479:
	v_add_f32_e32 v4, 0x43000000, v3
.LBB94_480:
	s_mov_b64 s[8:9], 0
.LBB94_481:
	s_andn2_b64 vcc, exec, s[8:9]
	s_cbranch_vccnz .LBB94_483
; %bb.482:
	s_cmp_gt_u32 s10, 0x7f800000
	s_movk_i32 s8, 0x7f
	s_cselect_b32 s8, s8, 0x7c
	v_mov_b32_e32 v4, s8
.LBB94_483:
	global_store_byte v[0:1], v4, off
.LBB94_484:
	s_mov_b64 s[8:9], 0
	s_mov_b64 s[10:11], -1
.LBB94_485:
	s_andn2_b64 vcc, exec, s[8:9]
	s_mov_b64 s[8:9], 0
	s_cbranch_vccnz .LBB94_492
; %bb.486:
	s_cmp_gt_i32 s16, 14
	s_mov_b64 s[12:13], -1
	s_cbranch_scc0 .LBB94_490
; %bb.487:
	s_cmp_eq_u32 s16, 15
	s_mov_b64 s[6:7], -1
	s_cbranch_scc0 .LBB94_489
; %bb.488:
	v_cndmask_b32_e64 v3, 0, 1.0, s[0:1]
	v_bfe_u32 v4, v3, 16, 1
	v_add_u32_e32 v3, v3, v4
	v_add_u32_e32 v3, 0x7fff, v3
	global_store_short_d16_hi v[0:1], v3, off
	s_mov_b64 s[6:7], 0
	s_mov_b64 s[10:11], -1
.LBB94_489:
	s_mov_b64 s[12:13], 0
.LBB94_490:
	s_and_b64 vcc, exec, s[12:13]
	s_cbranch_vccz .LBB94_492
; %bb.491:
	s_cmp_lg_u32 s16, 11
	s_mov_b64 s[8:9], -1
	s_cselect_b64 s[6:7], -1, 0
.LBB94_492:
	s_and_b64 vcc, exec, s[6:7]
	s_mov_b64 s[6:7], s[2:3]
	s_cbranch_vccnz .LBB94_564
; %bb.493:
	s_andn2_b64 vcc, exec, s[8:9]
	s_cbranch_vccnz .LBB94_495
.LBB94_494:
	v_mov_b32_e32 v3, s23
	s_mov_b64 s[10:11], -1
	global_store_byte v[0:1], v3, off
.LBB94_495:
	s_branch .LBB94_437
.LBB94_496:
	s_cmp_lt_i32 s16, 5
	s_mov_b64 s[8:9], -1
	s_cbranch_scc1 .LBB94_517
; %bb.497:
	s_cmp_lt_i32 s16, 8
	s_cbranch_scc1 .LBB94_507
; %bb.498:
	s_cmp_lt_i32 s16, 9
	s_cbranch_scc1 .LBB94_504
; %bb.499:
	s_cmp_gt_i32 s16, 9
	s_cbranch_scc0 .LBB94_501
; %bb.500:
	v_cndmask_b32_e64 v3, 0, 1, s[0:1]
	v_cvt_f64_u32_e32 v[3:4], v3
	v_mov_b32_e32 v5, 0
	v_mov_b32_e32 v6, v5
	s_mov_b64 s[8:9], 0
	global_store_dwordx4 v[0:1], v[3:6], off
.LBB94_501:
	s_andn2_b64 vcc, exec, s[8:9]
	s_cbranch_vccnz .LBB94_503
; %bb.502:
	v_cndmask_b32_e64 v3, 0, 1.0, s[0:1]
	v_mov_b32_e32 v4, 0
	global_store_dwordx2 v[0:1], v[3:4], off
.LBB94_503:
	s_mov_b64 s[8:9], 0
.LBB94_504:
	s_andn2_b64 vcc, exec, s[8:9]
	s_cbranch_vccnz .LBB94_506
; %bb.505:
	v_cndmask_b32_e64 v3, 0, 1.0, s[0:1]
	v_cvt_f16_f32_e32 v3, v3
	global_store_dword v[0:1], v3, off
.LBB94_506:
	s_mov_b64 s[8:9], 0
.LBB94_507:
	s_andn2_b64 vcc, exec, s[8:9]
	s_cbranch_vccnz .LBB94_516
; %bb.508:
	s_cmp_lt_i32 s16, 6
	s_mov_b64 s[8:9], -1
	s_cbranch_scc1 .LBB94_514
; %bb.509:
	s_cmp_gt_i32 s16, 6
	s_cbranch_scc0 .LBB94_511
; %bb.510:
	v_cndmask_b32_e64 v3, 0, 1, s[0:1]
	v_cvt_f64_u32_e32 v[3:4], v3
	s_mov_b64 s[8:9], 0
	global_store_dwordx2 v[0:1], v[3:4], off
.LBB94_511:
	s_andn2_b64 vcc, exec, s[8:9]
	s_cbranch_vccnz .LBB94_513
; %bb.512:
	v_cndmask_b32_e64 v3, 0, 1.0, s[0:1]
	global_store_dword v[0:1], v3, off
.LBB94_513:
	s_mov_b64 s[8:9], 0
.LBB94_514:
	s_andn2_b64 vcc, exec, s[8:9]
	s_cbranch_vccnz .LBB94_516
; %bb.515:
	v_cndmask_b32_e64 v3, 0, 1.0, s[0:1]
	v_cvt_f16_f32_e32 v3, v3
	global_store_short v[0:1], v3, off
.LBB94_516:
	s_mov_b64 s[8:9], 0
.LBB94_517:
	s_andn2_b64 vcc, exec, s[8:9]
	s_cbranch_vccnz .LBB94_533
; %bb.518:
	s_cmp_lt_i32 s16, 2
	s_mov_b64 s[8:9], -1
	s_cbranch_scc1 .LBB94_528
; %bb.519:
	s_cmp_lt_i32 s16, 3
	s_cbranch_scc1 .LBB94_525
; %bb.520:
	s_cmp_gt_i32 s16, 3
	s_cbranch_scc0 .LBB94_522
; %bb.521:
	s_and_b32 s8, s23, 0xff
	v_mov_b32_e32 v3, s8
	v_mov_b32_e32 v4, 0
	global_store_dwordx2 v[0:1], v[3:4], off
	s_mov_b64 s[8:9], 0
.LBB94_522:
	s_andn2_b64 vcc, exec, s[8:9]
	s_cbranch_vccnz .LBB94_524
; %bb.523:
	s_and_b32 s8, s23, 0xff
	v_mov_b32_e32 v3, s8
	global_store_dword v[0:1], v3, off
.LBB94_524:
	s_mov_b64 s[8:9], 0
.LBB94_525:
	s_andn2_b64 vcc, exec, s[8:9]
	s_cbranch_vccnz .LBB94_527
; %bb.526:
	s_and_b32 s8, s23, 0xff
	v_mov_b32_e32 v3, s8
	global_store_short v[0:1], v3, off
.LBB94_527:
	s_mov_b64 s[8:9], 0
.LBB94_528:
	s_andn2_b64 vcc, exec, s[8:9]
	s_cbranch_vccnz .LBB94_533
; %bb.529:
	s_cmp_gt_i32 s16, 0
	s_mov_b64 s[8:9], -1
	s_cbranch_scc0 .LBB94_531
; %bb.530:
	v_mov_b32_e32 v3, s23
	global_store_byte v[0:1], v3, off
	s_mov_b64 s[8:9], 0
.LBB94_531:
	s_andn2_b64 vcc, exec, s[8:9]
	s_cbranch_vccnz .LBB94_533
; %bb.532:
	v_mov_b32_e32 v3, s23
	global_store_byte v[0:1], v3, off
.LBB94_533:
.LBB94_534:
	s_lshl_b32 s17, s22, 7
	v_add_u32_e32 v2, s17, v2
	v_ashrrev_i32_e32 v1, 31, v2
	v_mov_b32_e32 v3, s21
	v_add_co_u32_e32 v0, vcc, s20, v2
	s_cmp_lt_i32 s16, 11
	v_addc_co_u32_e32 v1, vcc, v3, v1, vcc
	s_cbranch_scc1 .LBB94_562
; %bb.535:
	s_mov_b64 s[14:15], -1
	s_mov_b64 s[10:11], 0
	s_cmp_gt_i32 s16, 25
	s_mov_b64 s[12:13], 0
	s_mov_b64 s[8:9], 0
	s_cbranch_scc0 .LBB94_573
; %bb.536:
	s_cmp_gt_i32 s16, 28
	s_cbranch_scc0 .LBB94_551
; %bb.537:
	s_cmp_gt_i32 s16, 43
	;; [unrolled: 3-line block ×3, first 2 shown]
	s_cbranch_scc0 .LBB94_541
; %bb.539:
	s_mov_b64 s[8:9], -1
	s_mov_b64 s[14:15], 0
	s_cmp_eq_u32 s16, 46
	s_cbranch_scc0 .LBB94_541
; %bb.540:
	v_cndmask_b32_e64 v3, 0, 1.0, s[0:1]
	v_bfe_u32 v4, v3, 16, 1
	v_add_u32_e32 v3, v3, v4
	v_add_u32_e32 v3, 0x7fff, v3
	v_lshrrev_b32_e32 v3, 16, v3
	global_store_dword v[0:1], v3, off
	s_mov_b64 s[8:9], 0
	s_mov_b64 s[12:13], -1
.LBB94_541:
	s_and_b64 vcc, exec, s[14:15]
	s_cbranch_vccz .LBB94_546
; %bb.542:
	s_cmp_eq_u32 s16, 44
	s_mov_b64 s[8:9], -1
	s_cbranch_scc0 .LBB94_546
; %bb.543:
	v_cndmask_b32_e64 v3, 0, 1.0, s[0:1]
	v_readfirstlane_b32 s9, v3
	s_lshr_b32 s8, s9, 23
	s_cmpk_eq_i32 s8, 0xff
	v_mov_b32_e32 v3, 0xff
	s_cbranch_scc1 .LBB94_545
; %bb.544:
	s_bitcmp1_b32 s9, 22
	s_cselect_b64 s[12:13], -1, 0
	s_and_b32 s9, s9, 0x3fffff
	s_or_b32 s9, s8, s9
	s_cmp_lg_u32 s9, 0
	s_cselect_b64 s[14:15], -1, 0
	s_and_b64 s[12:13], s[12:13], s[14:15]
	v_cndmask_b32_e64 v3, 0, 1, s[12:13]
	v_add_u32_e32 v3, s8, v3
.LBB94_545:
	s_mov_b64 s[8:9], 0
	s_mov_b64 s[12:13], -1
	global_store_byte v[0:1], v3, off
.LBB94_546:
	s_mov_b64 s[14:15], 0
.LBB94_547:
	s_and_b64 vcc, exec, s[14:15]
	s_cbranch_vccz .LBB94_550
; %bb.548:
	s_cmp_eq_u32 s16, 29
	s_mov_b64 s[8:9], -1
	s_cbranch_scc0 .LBB94_550
; %bb.549:
	s_and_b32 s8, s23, 0xff
	v_mov_b32_e32 v3, s8
	v_mov_b32_e32 v4, 0
	global_store_dwordx2 v[0:1], v[3:4], off
	s_mov_b64 s[8:9], 0
	s_mov_b64 s[12:13], -1
.LBB94_550:
	s_mov_b64 s[14:15], 0
.LBB94_551:
	s_and_b64 vcc, exec, s[14:15]
	s_cbranch_vccz .LBB94_572
; %bb.552:
	s_cmp_lt_i32 s16, 27
	s_mov_b64 s[12:13], -1
	s_cbranch_scc1 .LBB94_558
; %bb.553:
	s_cmp_gt_i32 s16, 27
	s_cbranch_scc0 .LBB94_555
; %bb.554:
	s_and_b32 s12, s23, 0xff
	v_mov_b32_e32 v3, s12
	s_mov_b64 s[12:13], 0
	global_store_dword v[0:1], v3, off
.LBB94_555:
	s_andn2_b64 vcc, exec, s[12:13]
	s_cbranch_vccnz .LBB94_557
; %bb.556:
	s_and_b32 s12, s23, 0xff
	v_mov_b32_e32 v3, s12
	global_store_short v[0:1], v3, off
.LBB94_557:
	s_mov_b64 s[12:13], 0
.LBB94_558:
	s_andn2_b64 vcc, exec, s[12:13]
	s_cbranch_vccnz .LBB94_571
; %bb.559:
	v_cndmask_b32_e64 v3, 0, 1.0, s[0:1]
	s_mov_b32 s13, 0x437fffff
	v_cmp_lt_u32_e32 vcc, s13, v3
	v_readfirstlane_b32 s12, v3
	v_mov_b32_e32 v5, 0x80
	s_cbranch_vccnz .LBB94_570
; %bb.560:
	s_cmp_gt_u32 s12, 0x3bffffff
	s_cbranch_scc0 .LBB94_565
; %bb.561:
	s_bfe_u32 s13, s12, 0x10014
	s_add_i32 s12, s12, s13
	s_add_i32 s12, s12, 0x487ffff
	s_lshr_b32 s18, s12, 20
	s_mov_b64 s[14:15], 0
	s_mov_b64 s[12:13], -1
	s_branch .LBB94_566
.LBB94_562:
	s_mov_b64 s[12:13], 0
	s_cbranch_execnz .LBB94_623
.LBB94_563:
	s_andn2_b64 vcc, exec, s[12:13]
	s_cbranch_vccz .LBB94_661
	s_branch .LBB94_832
.LBB94_564:
	s_or_b64 s[6:7], s[2:3], exec
	s_trap 2
	s_cbranch_execz .LBB94_494
	s_branch .LBB94_495
.LBB94_565:
	s_mov_b64 s[14:15], -1
	s_mov_b64 s[12:13], 0
                                        ; implicit-def: $sgpr18
.LBB94_566:
	s_andn2_b64 vcc, exec, s[14:15]
	v_mov_b32_e32 v4, s18
	s_cbranch_vccnz .LBB94_568
; %bb.567:
	v_add_f32_e32 v3, 0x46000000, v3
	v_and_b32_e32 v4, 0xff, v3
	v_cmp_ne_u32_e64 s[12:13], 0, v4
.LBB94_568:
	s_andn2_b64 vcc, exec, s[12:13]
	v_mov_b32_e32 v5, 0
	s_cbranch_vccnz .LBB94_570
; %bb.569:
	v_mov_b32_e32 v5, v4
.LBB94_570:
	global_store_byte v[0:1], v5, off
.LBB94_571:
	s_mov_b64 s[12:13], -1
.LBB94_572:
	s_mov_b64 s[14:15], 0
.LBB94_573:
	s_and_b64 vcc, exec, s[14:15]
	s_cbranch_vccz .LBB94_619
; %bb.574:
	s_cmp_gt_i32 s16, 22
	s_mov_b64 s[10:11], -1
	s_cbranch_scc0 .LBB94_612
; %bb.575:
	s_cmp_lt_i32 s16, 24
	s_cbranch_scc1 .LBB94_599
; %bb.576:
	s_cmp_gt_i32 s16, 24
	s_cbranch_scc0 .LBB94_586
; %bb.577:
	v_cndmask_b32_e64 v3, 0, 1.0, s[0:1]
	s_mov_b32 s11, 0x477fffff
	v_cmp_lt_u32_e32 vcc, s11, v3
	v_readfirstlane_b32 s10, v3
	v_mov_b32_e32 v5, 0x80
	s_cbranch_vccnz .LBB94_585
; %bb.578:
	s_cmp_gt_u32 s10, 0x37ffffff
	s_cbranch_scc0 .LBB94_580
; %bb.579:
	s_bfe_u32 s11, s10, 0x10015
	s_add_i32 s10, s10, s11
	s_add_i32 s10, s10, 0x88fffff
	s_lshr_b32 s14, s10, 21
	s_mov_b64 s[12:13], 0
	s_mov_b64 s[10:11], -1
	s_branch .LBB94_581
.LBB94_580:
	s_mov_b64 s[12:13], -1
	s_mov_b64 s[10:11], 0
                                        ; implicit-def: $sgpr14
.LBB94_581:
	s_andn2_b64 vcc, exec, s[12:13]
	v_mov_b32_e32 v4, s14
	s_cbranch_vccnz .LBB94_583
; %bb.582:
	v_add_f32_e32 v3, 0x42800000, v3
	v_and_b32_e32 v4, 0xff, v3
	v_cmp_ne_u32_e64 s[10:11], 0, v4
.LBB94_583:
	s_andn2_b64 vcc, exec, s[10:11]
	v_mov_b32_e32 v5, 0
	s_cbranch_vccnz .LBB94_585
; %bb.584:
	v_mov_b32_e32 v5, v4
.LBB94_585:
	s_mov_b64 s[10:11], 0
	global_store_byte v[0:1], v5, off
.LBB94_586:
	s_and_b64 vcc, exec, s[10:11]
	s_cbranch_vccz .LBB94_598
; %bb.587:
	v_cndmask_b32_e64 v3, 0, 1.0, s[0:1]
	s_mov_b32 s10, 0x43f00000
	v_cmp_gt_u32_e32 vcc, s10, v3
	v_readfirstlane_b32 s12, v3
	s_cbranch_vccz .LBB94_590
; %bb.588:
	s_cmp_gt_u32 s12, 0x3c7fffff
	s_cbranch_scc0 .LBB94_591
; %bb.589:
	s_bfe_u32 s10, s12, 0x10014
	s_add_i32 s10, s12, s10
	s_add_i32 s10, s10, 0x407ffff
	s_lshr_b32 s11, s10, 20
	s_and_b32 s10, s10, 0xff00000
	s_cmp_lg_u32 s10, 0x7f00000
	s_cselect_b32 s13, s11, 0x7e
	s_mov_b64 s[10:11], 0
	s_branch .LBB94_592
.LBB94_590:
	s_mov_b64 s[10:11], -1
                                        ; implicit-def: $vgpr4
	s_branch .LBB94_595
.LBB94_591:
	s_mov_b64 s[10:11], -1
                                        ; implicit-def: $sgpr13
.LBB94_592:
	s_andn2_b64 vcc, exec, s[10:11]
	v_mov_b32_e32 v4, s13
	s_cbranch_vccnz .LBB94_594
; %bb.593:
	v_add_f32_e32 v4, 0x46800000, v3
.LBB94_594:
	s_mov_b64 s[10:11], 0
.LBB94_595:
	s_andn2_b64 vcc, exec, s[10:11]
	s_cbranch_vccnz .LBB94_597
; %bb.596:
	s_cmp_gt_u32 s12, 0x7f800000
	s_movk_i32 s10, 0x7f
	s_cselect_b32 s10, s10, 0x7e
	v_mov_b32_e32 v4, s10
.LBB94_597:
	global_store_byte v[0:1], v4, off
.LBB94_598:
	s_mov_b64 s[10:11], 0
.LBB94_599:
	s_andn2_b64 vcc, exec, s[10:11]
	s_cbranch_vccnz .LBB94_611
; %bb.600:
	v_cndmask_b32_e64 v3, 0, 1.0, s[0:1]
	s_mov_b32 s10, 0x47800000
	v_cmp_gt_u32_e32 vcc, s10, v3
	v_readfirstlane_b32 s12, v3
	s_cbranch_vccz .LBB94_603
; %bb.601:
	s_cmp_gt_u32 s12, 0x387fffff
	s_cbranch_scc0 .LBB94_604
; %bb.602:
	s_bfe_u32 s10, s12, 0x10015
	s_add_i32 s10, s12, s10
	s_add_i32 s10, s10, 0x80fffff
	s_lshr_b32 s13, s10, 21
	s_mov_b64 s[10:11], 0
	s_branch .LBB94_605
.LBB94_603:
	s_mov_b64 s[10:11], -1
                                        ; implicit-def: $vgpr4
	s_branch .LBB94_608
.LBB94_604:
	s_mov_b64 s[10:11], -1
                                        ; implicit-def: $sgpr13
.LBB94_605:
	s_andn2_b64 vcc, exec, s[10:11]
	v_mov_b32_e32 v4, s13
	s_cbranch_vccnz .LBB94_607
; %bb.606:
	v_add_f32_e32 v4, 0x43000000, v3
.LBB94_607:
	s_mov_b64 s[10:11], 0
.LBB94_608:
	s_andn2_b64 vcc, exec, s[10:11]
	s_cbranch_vccnz .LBB94_610
; %bb.609:
	s_cmp_gt_u32 s12, 0x7f800000
	s_movk_i32 s10, 0x7f
	s_cselect_b32 s10, s10, 0x7c
	v_mov_b32_e32 v4, s10
.LBB94_610:
	global_store_byte v[0:1], v4, off
.LBB94_611:
	s_mov_b64 s[10:11], 0
	s_mov_b64 s[12:13], -1
.LBB94_612:
	s_andn2_b64 vcc, exec, s[10:11]
	s_mov_b64 s[10:11], 0
	s_cbranch_vccnz .LBB94_619
; %bb.613:
	s_cmp_gt_i32 s16, 14
	s_mov_b64 s[14:15], -1
	s_cbranch_scc0 .LBB94_617
; %bb.614:
	s_cmp_eq_u32 s16, 15
	s_mov_b64 s[8:9], -1
	s_cbranch_scc0 .LBB94_616
; %bb.615:
	v_cndmask_b32_e64 v3, 0, 1.0, s[0:1]
	v_bfe_u32 v4, v3, 16, 1
	v_add_u32_e32 v3, v3, v4
	v_add_u32_e32 v3, 0x7fff, v3
	global_store_short_d16_hi v[0:1], v3, off
	s_mov_b64 s[8:9], 0
	s_mov_b64 s[12:13], -1
.LBB94_616:
	s_mov_b64 s[14:15], 0
.LBB94_617:
	s_and_b64 vcc, exec, s[14:15]
	s_cbranch_vccz .LBB94_619
; %bb.618:
	s_cmp_lg_u32 s16, 11
	s_mov_b64 s[10:11], -1
	s_cselect_b64 s[8:9], -1, 0
.LBB94_619:
	s_and_b64 vcc, exec, s[8:9]
	s_cbranch_vccnz .LBB94_721
; %bb.620:
	s_andn2_b64 vcc, exec, s[10:11]
	s_cbranch_vccnz .LBB94_622
.LBB94_621:
	v_mov_b32_e32 v3, s23
	s_mov_b64 s[12:13], -1
	global_store_byte v[0:1], v3, off
.LBB94_622:
	s_branch .LBB94_563
.LBB94_623:
	s_cmp_lt_i32 s16, 5
	s_mov_b64 s[8:9], -1
	s_cbranch_scc1 .LBB94_644
; %bb.624:
	s_cmp_lt_i32 s16, 8
	s_cbranch_scc1 .LBB94_634
; %bb.625:
	s_cmp_lt_i32 s16, 9
	s_cbranch_scc1 .LBB94_631
; %bb.626:
	s_cmp_gt_i32 s16, 9
	s_cbranch_scc0 .LBB94_628
; %bb.627:
	v_cndmask_b32_e64 v3, 0, 1, s[0:1]
	v_cvt_f64_u32_e32 v[3:4], v3
	v_mov_b32_e32 v5, 0
	v_mov_b32_e32 v6, v5
	s_mov_b64 s[8:9], 0
	global_store_dwordx4 v[0:1], v[3:6], off
.LBB94_628:
	s_andn2_b64 vcc, exec, s[8:9]
	s_cbranch_vccnz .LBB94_630
; %bb.629:
	v_cndmask_b32_e64 v3, 0, 1.0, s[0:1]
	v_mov_b32_e32 v4, 0
	global_store_dwordx2 v[0:1], v[3:4], off
.LBB94_630:
	s_mov_b64 s[8:9], 0
.LBB94_631:
	s_andn2_b64 vcc, exec, s[8:9]
	s_cbranch_vccnz .LBB94_633
; %bb.632:
	v_cndmask_b32_e64 v3, 0, 1.0, s[0:1]
	v_cvt_f16_f32_e32 v3, v3
	global_store_dword v[0:1], v3, off
.LBB94_633:
	s_mov_b64 s[8:9], 0
.LBB94_634:
	s_andn2_b64 vcc, exec, s[8:9]
	s_cbranch_vccnz .LBB94_643
; %bb.635:
	s_cmp_lt_i32 s16, 6
	s_mov_b64 s[8:9], -1
	s_cbranch_scc1 .LBB94_641
; %bb.636:
	s_cmp_gt_i32 s16, 6
	s_cbranch_scc0 .LBB94_638
; %bb.637:
	v_cndmask_b32_e64 v3, 0, 1, s[0:1]
	v_cvt_f64_u32_e32 v[3:4], v3
	s_mov_b64 s[8:9], 0
	global_store_dwordx2 v[0:1], v[3:4], off
.LBB94_638:
	s_andn2_b64 vcc, exec, s[8:9]
	s_cbranch_vccnz .LBB94_640
; %bb.639:
	v_cndmask_b32_e64 v3, 0, 1.0, s[0:1]
	global_store_dword v[0:1], v3, off
.LBB94_640:
	s_mov_b64 s[8:9], 0
.LBB94_641:
	s_andn2_b64 vcc, exec, s[8:9]
	s_cbranch_vccnz .LBB94_643
; %bb.642:
	v_cndmask_b32_e64 v3, 0, 1.0, s[0:1]
	v_cvt_f16_f32_e32 v3, v3
	global_store_short v[0:1], v3, off
.LBB94_643:
	s_mov_b64 s[8:9], 0
.LBB94_644:
	s_andn2_b64 vcc, exec, s[8:9]
	s_cbranch_vccnz .LBB94_660
; %bb.645:
	s_cmp_lt_i32 s16, 2
	s_mov_b64 s[8:9], -1
	s_cbranch_scc1 .LBB94_655
; %bb.646:
	s_cmp_lt_i32 s16, 3
	s_cbranch_scc1 .LBB94_652
; %bb.647:
	s_cmp_gt_i32 s16, 3
	s_cbranch_scc0 .LBB94_649
; %bb.648:
	s_and_b32 s8, s23, 0xff
	v_mov_b32_e32 v3, s8
	v_mov_b32_e32 v4, 0
	global_store_dwordx2 v[0:1], v[3:4], off
	s_mov_b64 s[8:9], 0
.LBB94_649:
	s_andn2_b64 vcc, exec, s[8:9]
	s_cbranch_vccnz .LBB94_651
; %bb.650:
	s_and_b32 s8, s23, 0xff
	v_mov_b32_e32 v3, s8
	global_store_dword v[0:1], v3, off
.LBB94_651:
	s_mov_b64 s[8:9], 0
.LBB94_652:
	s_andn2_b64 vcc, exec, s[8:9]
	s_cbranch_vccnz .LBB94_654
; %bb.653:
	s_and_b32 s8, s23, 0xff
	v_mov_b32_e32 v3, s8
	global_store_short v[0:1], v3, off
.LBB94_654:
	s_mov_b64 s[8:9], 0
.LBB94_655:
	s_andn2_b64 vcc, exec, s[8:9]
	s_cbranch_vccnz .LBB94_660
; %bb.656:
	s_cmp_gt_i32 s16, 0
	s_mov_b64 s[8:9], -1
	s_cbranch_scc0 .LBB94_658
; %bb.657:
	v_mov_b32_e32 v3, s23
	global_store_byte v[0:1], v3, off
	s_mov_b64 s[8:9], 0
.LBB94_658:
	s_andn2_b64 vcc, exec, s[8:9]
	s_cbranch_vccnz .LBB94_660
; %bb.659:
	v_mov_b32_e32 v3, s23
	global_store_byte v[0:1], v3, off
.LBB94_660:
.LBB94_661:
	v_add_u32_e32 v2, s17, v2
	v_ashrrev_i32_e32 v1, 31, v2
	v_mov_b32_e32 v3, s21
	v_add_co_u32_e32 v0, vcc, s20, v2
	s_cmp_lt_i32 s16, 11
	v_addc_co_u32_e32 v1, vcc, v3, v1, vcc
	s_cbranch_scc1 .LBB94_689
; %bb.662:
	s_mov_b64 s[14:15], -1
	s_mov_b64 s[10:11], 0
	s_cmp_gt_i32 s16, 25
	s_mov_b64 s[12:13], 0
	s_mov_b64 s[8:9], 0
	s_cbranch_scc0 .LBB94_730
; %bb.663:
	s_cmp_gt_i32 s16, 28
	s_cbranch_scc0 .LBB94_678
; %bb.664:
	s_cmp_gt_i32 s16, 43
	s_cbranch_scc0 .LBB94_674
; %bb.665:
	s_cmp_gt_i32 s16, 45
	s_cbranch_scc0 .LBB94_668
; %bb.666:
	s_mov_b64 s[8:9], -1
	s_mov_b64 s[14:15], 0
	s_cmp_eq_u32 s16, 46
	s_cbranch_scc0 .LBB94_668
; %bb.667:
	v_cndmask_b32_e64 v3, 0, 1.0, s[0:1]
	v_bfe_u32 v4, v3, 16, 1
	v_add_u32_e32 v3, v3, v4
	v_add_u32_e32 v3, 0x7fff, v3
	v_lshrrev_b32_e32 v3, 16, v3
	global_store_dword v[0:1], v3, off
	s_mov_b64 s[8:9], 0
	s_mov_b64 s[12:13], -1
.LBB94_668:
	s_and_b64 vcc, exec, s[14:15]
	s_cbranch_vccz .LBB94_673
; %bb.669:
	s_cmp_eq_u32 s16, 44
	s_mov_b64 s[8:9], -1
	s_cbranch_scc0 .LBB94_673
; %bb.670:
	v_cndmask_b32_e64 v3, 0, 1.0, s[0:1]
	v_readfirstlane_b32 s9, v3
	s_lshr_b32 s8, s9, 23
	s_cmpk_eq_i32 s8, 0xff
	v_mov_b32_e32 v3, 0xff
	s_cbranch_scc1 .LBB94_672
; %bb.671:
	s_bitcmp1_b32 s9, 22
	s_cselect_b64 s[12:13], -1, 0
	s_and_b32 s9, s9, 0x3fffff
	s_or_b32 s9, s8, s9
	s_cmp_lg_u32 s9, 0
	s_cselect_b64 s[14:15], -1, 0
	s_and_b64 s[12:13], s[12:13], s[14:15]
	v_cndmask_b32_e64 v3, 0, 1, s[12:13]
	v_add_u32_e32 v3, s8, v3
.LBB94_672:
	s_mov_b64 s[8:9], 0
	s_mov_b64 s[12:13], -1
	global_store_byte v[0:1], v3, off
.LBB94_673:
	s_mov_b64 s[14:15], 0
.LBB94_674:
	s_and_b64 vcc, exec, s[14:15]
	s_cbranch_vccz .LBB94_677
; %bb.675:
	s_cmp_eq_u32 s16, 29
	s_mov_b64 s[8:9], -1
	s_cbranch_scc0 .LBB94_677
; %bb.676:
	s_and_b32 s8, s23, 0xff
	v_mov_b32_e32 v3, s8
	v_mov_b32_e32 v4, 0
	global_store_dwordx2 v[0:1], v[3:4], off
	s_mov_b64 s[8:9], 0
	s_mov_b64 s[12:13], -1
.LBB94_677:
	s_mov_b64 s[14:15], 0
.LBB94_678:
	s_and_b64 vcc, exec, s[14:15]
	s_cbranch_vccz .LBB94_729
; %bb.679:
	s_cmp_lt_i32 s16, 27
	s_mov_b64 s[12:13], -1
	s_cbranch_scc1 .LBB94_685
; %bb.680:
	s_cmp_gt_i32 s16, 27
	s_cbranch_scc0 .LBB94_682
; %bb.681:
	s_and_b32 s12, s23, 0xff
	v_mov_b32_e32 v3, s12
	s_mov_b64 s[12:13], 0
	global_store_dword v[0:1], v3, off
.LBB94_682:
	s_andn2_b64 vcc, exec, s[12:13]
	s_cbranch_vccnz .LBB94_684
; %bb.683:
	s_and_b32 s12, s23, 0xff
	v_mov_b32_e32 v3, s12
	global_store_short v[0:1], v3, off
.LBB94_684:
	s_mov_b64 s[12:13], 0
.LBB94_685:
	s_andn2_b64 vcc, exec, s[12:13]
	s_cbranch_vccnz .LBB94_728
; %bb.686:
	v_cndmask_b32_e64 v3, 0, 1.0, s[0:1]
	s_mov_b32 s13, 0x437fffff
	v_cmp_lt_u32_e32 vcc, s13, v3
	v_readfirstlane_b32 s12, v3
	v_mov_b32_e32 v5, 0x80
	s_cbranch_vccnz .LBB94_727
; %bb.687:
	s_cmp_gt_u32 s12, 0x3bffffff
	s_cbranch_scc0 .LBB94_722
; %bb.688:
	s_bfe_u32 s13, s12, 0x10014
	s_add_i32 s12, s12, s13
	s_add_i32 s12, s12, 0x487ffff
	s_lshr_b32 s18, s12, 20
	s_mov_b64 s[14:15], 0
	s_mov_b64 s[12:13], -1
	s_branch .LBB94_723
.LBB94_689:
	s_mov_b64 s[12:13], 0
	s_cbranch_execnz .LBB94_794
.LBB94_690:
	s_andn2_b64 vcc, exec, s[12:13]
	s_cbranch_vccnz .LBB94_832
.LBB94_691:
	v_add_u32_e32 v0, s17, v2
	v_ashrrev_i32_e32 v1, 31, v0
	v_mov_b32_e32 v2, s21
	v_add_co_u32_e32 v0, vcc, s20, v0
	s_cmp_lt_i32 s16, 11
	v_addc_co_u32_e32 v1, vcc, v2, v1, vcc
	s_cbranch_scc1 .LBB94_720
; %bb.692:
	s_mov_b64 s[12:13], -1
	s_mov_b64 s[10:11], 0
	s_cmp_gt_i32 s16, 25
	s_mov_b64 s[8:9], 0
	s_cbranch_scc0 .LBB94_744
; %bb.693:
	s_cmp_gt_i32 s16, 28
	s_cbranch_scc0 .LBB94_709
; %bb.694:
	s_cmp_gt_i32 s16, 43
	;; [unrolled: 3-line block ×3, first 2 shown]
	s_cbranch_scc0 .LBB94_699
; %bb.696:
	s_cmp_eq_u32 s16, 46
	s_mov_b64 s[8:9], -1
	s_cbranch_scc0 .LBB94_698
; %bb.697:
	v_cndmask_b32_e64 v2, 0, 1.0, s[0:1]
	v_bfe_u32 v3, v2, 16, 1
	v_add_u32_e32 v2, v2, v3
	v_add_u32_e32 v2, 0x7fff, v2
	v_lshrrev_b32_e32 v2, 16, v2
	global_store_dword v[0:1], v2, off
	s_mov_b64 s[8:9], 0
.LBB94_698:
	s_mov_b64 s[12:13], 0
.LBB94_699:
	s_and_b64 vcc, exec, s[12:13]
	s_cbranch_vccz .LBB94_704
; %bb.700:
	s_cmp_eq_u32 s16, 44
	s_mov_b64 s[8:9], -1
	s_cbranch_scc0 .LBB94_704
; %bb.701:
	v_cndmask_b32_e64 v2, 0, 1.0, s[0:1]
	v_readfirstlane_b32 s9, v2
	s_lshr_b32 s8, s9, 23
	s_cmpk_eq_i32 s8, 0xff
	v_mov_b32_e32 v2, 0xff
	s_cbranch_scc1 .LBB94_703
; %bb.702:
	s_bitcmp1_b32 s9, 22
	s_cselect_b64 s[12:13], -1, 0
	s_and_b32 s9, s9, 0x3fffff
	s_or_b32 s9, s8, s9
	s_cmp_lg_u32 s9, 0
	s_cselect_b64 s[14:15], -1, 0
	s_and_b64 s[12:13], s[12:13], s[14:15]
	v_cndmask_b32_e64 v2, 0, 1, s[12:13]
	v_add_u32_e32 v2, s8, v2
.LBB94_703:
	s_mov_b64 s[8:9], 0
	global_store_byte v[0:1], v2, off
.LBB94_704:
	s_mov_b64 s[12:13], 0
.LBB94_705:
	s_and_b64 vcc, exec, s[12:13]
	s_cbranch_vccz .LBB94_708
; %bb.706:
	s_cmp_eq_u32 s16, 29
	s_mov_b64 s[8:9], -1
	s_cbranch_scc0 .LBB94_708
; %bb.707:
	s_and_b32 s8, s23, 0xff
	v_mov_b32_e32 v2, s8
	v_mov_b32_e32 v3, 0
	global_store_dwordx2 v[0:1], v[2:3], off
	s_mov_b64 s[8:9], 0
.LBB94_708:
	s_mov_b64 s[12:13], 0
.LBB94_709:
	s_and_b64 vcc, exec, s[12:13]
	s_cbranch_vccz .LBB94_743
; %bb.710:
	s_cmp_lt_i32 s16, 27
	s_mov_b64 s[12:13], -1
	s_cbranch_scc1 .LBB94_716
; %bb.711:
	s_cmp_gt_i32 s16, 27
	s_cbranch_scc0 .LBB94_713
; %bb.712:
	s_and_b32 s12, s23, 0xff
	v_mov_b32_e32 v2, s12
	global_store_dword v[0:1], v2, off
	s_mov_b64 s[12:13], 0
.LBB94_713:
	s_andn2_b64 vcc, exec, s[12:13]
	s_cbranch_vccnz .LBB94_715
; %bb.714:
	s_and_b32 s12, s23, 0xff
	v_mov_b32_e32 v2, s12
	global_store_short v[0:1], v2, off
.LBB94_715:
	s_mov_b64 s[12:13], 0
.LBB94_716:
	s_andn2_b64 vcc, exec, s[12:13]
	s_cbranch_vccnz .LBB94_743
; %bb.717:
	v_cndmask_b32_e64 v2, 0, 1.0, s[0:1]
	s_mov_b32 s13, 0x437fffff
	v_cmp_lt_u32_e32 vcc, s13, v2
	v_readfirstlane_b32 s12, v2
	v_mov_b32_e32 v4, 0x80
	s_cbranch_vccnz .LBB94_742
; %bb.718:
	s_cmp_gt_u32 s12, 0x3bffffff
	s_cbranch_scc0 .LBB94_737
; %bb.719:
	s_bfe_u32 s13, s12, 0x10014
	s_add_i32 s12, s12, s13
	s_add_i32 s12, s12, 0x487ffff
	s_lshr_b32 s17, s12, 20
	s_mov_b64 s[14:15], 0
	s_mov_b64 s[12:13], -1
	s_branch .LBB94_738
.LBB94_720:
	s_mov_b64 s[10:11], 0
	s_mov_b64 s[8:9], -1
	s_branch .LBB94_833
.LBB94_721:
	s_trap 2
	s_or_b64 s[6:7], s[6:7], exec
	s_cbranch_execz .LBB94_621
	s_branch .LBB94_622
.LBB94_722:
	s_mov_b64 s[14:15], -1
	s_mov_b64 s[12:13], 0
                                        ; implicit-def: $sgpr18
.LBB94_723:
	s_andn2_b64 vcc, exec, s[14:15]
	v_mov_b32_e32 v4, s18
	s_cbranch_vccnz .LBB94_725
; %bb.724:
	v_add_f32_e32 v3, 0x46000000, v3
	v_and_b32_e32 v4, 0xff, v3
	v_cmp_ne_u32_e64 s[12:13], 0, v4
.LBB94_725:
	s_andn2_b64 vcc, exec, s[12:13]
	v_mov_b32_e32 v5, 0
	s_cbranch_vccnz .LBB94_727
; %bb.726:
	v_mov_b32_e32 v5, v4
.LBB94_727:
	global_store_byte v[0:1], v5, off
.LBB94_728:
	s_mov_b64 s[12:13], -1
.LBB94_729:
	s_mov_b64 s[14:15], 0
.LBB94_730:
	s_and_b64 vcc, exec, s[14:15]
	s_cbranch_vccz .LBB94_790
; %bb.731:
	s_cmp_gt_i32 s16, 22
	s_mov_b64 s[10:11], -1
	s_cbranch_scc0 .LBB94_783
; %bb.732:
	s_cmp_lt_i32 s16, 24
	s_cbranch_scc1 .LBB94_770
; %bb.733:
	s_cmp_gt_i32 s16, 24
	s_cbranch_scc0 .LBB94_757
; %bb.734:
	v_cndmask_b32_e64 v3, 0, 1.0, s[0:1]
	s_mov_b32 s11, 0x477fffff
	v_cmp_lt_u32_e32 vcc, s11, v3
	v_readfirstlane_b32 s10, v3
	v_mov_b32_e32 v5, 0x80
	s_cbranch_vccnz .LBB94_756
; %bb.735:
	s_cmp_gt_u32 s10, 0x37ffffff
	s_cbranch_scc0 .LBB94_751
; %bb.736:
	s_bfe_u32 s11, s10, 0x10015
	s_add_i32 s10, s10, s11
	s_add_i32 s10, s10, 0x88fffff
	s_lshr_b32 s14, s10, 21
	s_mov_b64 s[12:13], 0
	s_mov_b64 s[10:11], -1
	s_branch .LBB94_752
.LBB94_737:
	s_mov_b64 s[14:15], -1
	s_mov_b64 s[12:13], 0
                                        ; implicit-def: $sgpr17
.LBB94_738:
	s_andn2_b64 vcc, exec, s[14:15]
	v_mov_b32_e32 v3, s17
	s_cbranch_vccnz .LBB94_740
; %bb.739:
	v_add_f32_e32 v2, 0x46000000, v2
	v_and_b32_e32 v3, 0xff, v2
	v_cmp_ne_u32_e64 s[12:13], 0, v3
.LBB94_740:
	s_andn2_b64 vcc, exec, s[12:13]
	v_mov_b32_e32 v4, 0
	s_cbranch_vccnz .LBB94_742
; %bb.741:
	v_mov_b32_e32 v4, v3
.LBB94_742:
	global_store_byte v[0:1], v4, off
.LBB94_743:
	s_mov_b64 s[12:13], 0
.LBB94_744:
	s_and_b64 vcc, exec, s[12:13]
	s_cbranch_vccz .LBB94_914
; %bb.745:
	s_cmp_gt_i32 s16, 22
	s_mov_b64 s[10:11], -1
	s_cbranch_scc0 .LBB94_907
; %bb.746:
	s_cmp_lt_i32 s16, 24
	s_cbranch_scc1 .LBB94_894
; %bb.747:
	s_cmp_gt_i32 s16, 24
	s_cbranch_scc0 .LBB94_881
; %bb.748:
	v_cndmask_b32_e64 v2, 0, 1.0, s[0:1]
	s_mov_b32 s11, 0x477fffff
	v_cmp_lt_u32_e32 vcc, s11, v2
	v_readfirstlane_b32 s10, v2
	v_mov_b32_e32 v4, 0x80
	s_cbranch_vccnz .LBB94_880
; %bb.749:
	s_cmp_gt_u32 s10, 0x37ffffff
	s_cbranch_scc0 .LBB94_875
; %bb.750:
	s_bfe_u32 s11, s10, 0x10015
	s_add_i32 s10, s10, s11
	s_add_i32 s10, s10, 0x88fffff
	s_lshr_b32 s14, s10, 21
	s_mov_b64 s[12:13], 0
	s_mov_b64 s[10:11], -1
	s_branch .LBB94_876
.LBB94_751:
	s_mov_b64 s[12:13], -1
	s_mov_b64 s[10:11], 0
                                        ; implicit-def: $sgpr14
.LBB94_752:
	s_andn2_b64 vcc, exec, s[12:13]
	v_mov_b32_e32 v4, s14
	s_cbranch_vccnz .LBB94_754
; %bb.753:
	v_add_f32_e32 v3, 0x42800000, v3
	v_and_b32_e32 v4, 0xff, v3
	v_cmp_ne_u32_e64 s[10:11], 0, v4
.LBB94_754:
	s_andn2_b64 vcc, exec, s[10:11]
	v_mov_b32_e32 v5, 0
	s_cbranch_vccnz .LBB94_756
; %bb.755:
	v_mov_b32_e32 v5, v4
.LBB94_756:
	s_mov_b64 s[10:11], 0
	global_store_byte v[0:1], v5, off
.LBB94_757:
	s_and_b64 vcc, exec, s[10:11]
	s_cbranch_vccz .LBB94_769
; %bb.758:
	v_cndmask_b32_e64 v3, 0, 1.0, s[0:1]
	s_mov_b32 s10, 0x43f00000
	v_cmp_gt_u32_e32 vcc, s10, v3
	v_readfirstlane_b32 s12, v3
	s_cbranch_vccz .LBB94_761
; %bb.759:
	s_cmp_gt_u32 s12, 0x3c7fffff
	s_cbranch_scc0 .LBB94_762
; %bb.760:
	s_bfe_u32 s10, s12, 0x10014
	s_add_i32 s10, s12, s10
	s_add_i32 s10, s10, 0x407ffff
	s_lshr_b32 s11, s10, 20
	s_and_b32 s10, s10, 0xff00000
	s_cmp_lg_u32 s10, 0x7f00000
	s_cselect_b32 s13, s11, 0x7e
	s_mov_b64 s[10:11], 0
	s_branch .LBB94_763
.LBB94_761:
	s_mov_b64 s[10:11], -1
                                        ; implicit-def: $vgpr4
	s_branch .LBB94_766
.LBB94_762:
	s_mov_b64 s[10:11], -1
                                        ; implicit-def: $sgpr13
.LBB94_763:
	s_andn2_b64 vcc, exec, s[10:11]
	v_mov_b32_e32 v4, s13
	s_cbranch_vccnz .LBB94_765
; %bb.764:
	v_add_f32_e32 v4, 0x46800000, v3
.LBB94_765:
	s_mov_b64 s[10:11], 0
.LBB94_766:
	s_andn2_b64 vcc, exec, s[10:11]
	s_cbranch_vccnz .LBB94_768
; %bb.767:
	s_cmp_gt_u32 s12, 0x7f800000
	s_movk_i32 s10, 0x7f
	s_cselect_b32 s10, s10, 0x7e
	v_mov_b32_e32 v4, s10
.LBB94_768:
	global_store_byte v[0:1], v4, off
.LBB94_769:
	s_mov_b64 s[10:11], 0
.LBB94_770:
	s_andn2_b64 vcc, exec, s[10:11]
	s_cbranch_vccnz .LBB94_782
; %bb.771:
	v_cndmask_b32_e64 v3, 0, 1.0, s[0:1]
	s_mov_b32 s10, 0x47800000
	v_cmp_gt_u32_e32 vcc, s10, v3
	v_readfirstlane_b32 s12, v3
	s_cbranch_vccz .LBB94_774
; %bb.772:
	s_cmp_gt_u32 s12, 0x387fffff
	s_cbranch_scc0 .LBB94_775
; %bb.773:
	s_bfe_u32 s10, s12, 0x10015
	s_add_i32 s10, s12, s10
	s_add_i32 s10, s10, 0x80fffff
	s_lshr_b32 s13, s10, 21
	s_mov_b64 s[10:11], 0
	s_branch .LBB94_776
.LBB94_774:
	s_mov_b64 s[10:11], -1
                                        ; implicit-def: $vgpr4
	s_branch .LBB94_779
.LBB94_775:
	s_mov_b64 s[10:11], -1
                                        ; implicit-def: $sgpr13
.LBB94_776:
	s_andn2_b64 vcc, exec, s[10:11]
	v_mov_b32_e32 v4, s13
	s_cbranch_vccnz .LBB94_778
; %bb.777:
	v_add_f32_e32 v4, 0x43000000, v3
.LBB94_778:
	s_mov_b64 s[10:11], 0
.LBB94_779:
	s_andn2_b64 vcc, exec, s[10:11]
	s_cbranch_vccnz .LBB94_781
; %bb.780:
	s_cmp_gt_u32 s12, 0x7f800000
	s_movk_i32 s10, 0x7f
	s_cselect_b32 s10, s10, 0x7c
	v_mov_b32_e32 v4, s10
.LBB94_781:
	global_store_byte v[0:1], v4, off
.LBB94_782:
	s_mov_b64 s[10:11], 0
	s_mov_b64 s[12:13], -1
.LBB94_783:
	s_andn2_b64 vcc, exec, s[10:11]
	s_mov_b64 s[10:11], 0
	s_cbranch_vccnz .LBB94_790
; %bb.784:
	s_cmp_gt_i32 s16, 14
	s_mov_b64 s[14:15], -1
	s_cbranch_scc0 .LBB94_788
; %bb.785:
	s_cmp_eq_u32 s16, 15
	s_mov_b64 s[8:9], -1
	s_cbranch_scc0 .LBB94_787
; %bb.786:
	v_cndmask_b32_e64 v3, 0, 1.0, s[0:1]
	v_bfe_u32 v4, v3, 16, 1
	v_add_u32_e32 v3, v3, v4
	v_add_u32_e32 v3, 0x7fff, v3
	global_store_short_d16_hi v[0:1], v3, off
	s_mov_b64 s[8:9], 0
	s_mov_b64 s[12:13], -1
.LBB94_787:
	s_mov_b64 s[14:15], 0
.LBB94_788:
	s_and_b64 vcc, exec, s[14:15]
	s_cbranch_vccz .LBB94_790
; %bb.789:
	s_cmp_lg_u32 s16, 11
	s_mov_b64 s[10:11], -1
	s_cselect_b64 s[8:9], -1, 0
.LBB94_790:
	s_and_b64 vcc, exec, s[8:9]
	s_cbranch_vccnz .LBB94_874
; %bb.791:
	s_andn2_b64 vcc, exec, s[10:11]
	s_cbranch_vccnz .LBB94_793
.LBB94_792:
	v_mov_b32_e32 v3, s23
	s_mov_b64 s[12:13], -1
	global_store_byte v[0:1], v3, off
.LBB94_793:
	s_branch .LBB94_690
.LBB94_794:
	s_cmp_lt_i32 s16, 5
	s_mov_b64 s[8:9], -1
	s_cbranch_scc1 .LBB94_815
; %bb.795:
	s_cmp_lt_i32 s16, 8
	s_cbranch_scc1 .LBB94_805
; %bb.796:
	s_cmp_lt_i32 s16, 9
	s_cbranch_scc1 .LBB94_802
; %bb.797:
	s_cmp_gt_i32 s16, 9
	s_cbranch_scc0 .LBB94_799
; %bb.798:
	v_cndmask_b32_e64 v3, 0, 1, s[0:1]
	v_cvt_f64_u32_e32 v[3:4], v3
	v_mov_b32_e32 v5, 0
	v_mov_b32_e32 v6, v5
	s_mov_b64 s[8:9], 0
	global_store_dwordx4 v[0:1], v[3:6], off
.LBB94_799:
	s_andn2_b64 vcc, exec, s[8:9]
	s_cbranch_vccnz .LBB94_801
; %bb.800:
	v_cndmask_b32_e64 v3, 0, 1.0, s[0:1]
	v_mov_b32_e32 v4, 0
	global_store_dwordx2 v[0:1], v[3:4], off
.LBB94_801:
	s_mov_b64 s[8:9], 0
.LBB94_802:
	s_andn2_b64 vcc, exec, s[8:9]
	s_cbranch_vccnz .LBB94_804
; %bb.803:
	v_cndmask_b32_e64 v3, 0, 1.0, s[0:1]
	v_cvt_f16_f32_e32 v3, v3
	global_store_dword v[0:1], v3, off
.LBB94_804:
	s_mov_b64 s[8:9], 0
.LBB94_805:
	s_andn2_b64 vcc, exec, s[8:9]
	s_cbranch_vccnz .LBB94_814
; %bb.806:
	s_cmp_lt_i32 s16, 6
	s_mov_b64 s[8:9], -1
	s_cbranch_scc1 .LBB94_812
; %bb.807:
	s_cmp_gt_i32 s16, 6
	s_cbranch_scc0 .LBB94_809
; %bb.808:
	v_cndmask_b32_e64 v3, 0, 1, s[0:1]
	v_cvt_f64_u32_e32 v[3:4], v3
	s_mov_b64 s[8:9], 0
	global_store_dwordx2 v[0:1], v[3:4], off
.LBB94_809:
	s_andn2_b64 vcc, exec, s[8:9]
	s_cbranch_vccnz .LBB94_811
; %bb.810:
	v_cndmask_b32_e64 v3, 0, 1.0, s[0:1]
	global_store_dword v[0:1], v3, off
.LBB94_811:
	s_mov_b64 s[8:9], 0
.LBB94_812:
	s_andn2_b64 vcc, exec, s[8:9]
	s_cbranch_vccnz .LBB94_814
; %bb.813:
	v_cndmask_b32_e64 v3, 0, 1.0, s[0:1]
	v_cvt_f16_f32_e32 v3, v3
	global_store_short v[0:1], v3, off
.LBB94_814:
	s_mov_b64 s[8:9], 0
.LBB94_815:
	s_andn2_b64 vcc, exec, s[8:9]
	s_cbranch_vccnz .LBB94_831
; %bb.816:
	s_cmp_lt_i32 s16, 2
	s_mov_b64 s[8:9], -1
	s_cbranch_scc1 .LBB94_826
; %bb.817:
	s_cmp_lt_i32 s16, 3
	s_cbranch_scc1 .LBB94_823
; %bb.818:
	s_cmp_gt_i32 s16, 3
	s_cbranch_scc0 .LBB94_820
; %bb.819:
	s_and_b32 s8, s23, 0xff
	v_mov_b32_e32 v3, s8
	v_mov_b32_e32 v4, 0
	global_store_dwordx2 v[0:1], v[3:4], off
	s_mov_b64 s[8:9], 0
.LBB94_820:
	s_andn2_b64 vcc, exec, s[8:9]
	s_cbranch_vccnz .LBB94_822
; %bb.821:
	s_and_b32 s8, s23, 0xff
	v_mov_b32_e32 v3, s8
	global_store_dword v[0:1], v3, off
.LBB94_822:
	s_mov_b64 s[8:9], 0
.LBB94_823:
	s_andn2_b64 vcc, exec, s[8:9]
	s_cbranch_vccnz .LBB94_825
; %bb.824:
	s_and_b32 s8, s23, 0xff
	v_mov_b32_e32 v3, s8
	global_store_short v[0:1], v3, off
.LBB94_825:
	s_mov_b64 s[8:9], 0
.LBB94_826:
	s_andn2_b64 vcc, exec, s[8:9]
	s_cbranch_vccnz .LBB94_831
; %bb.827:
	s_cmp_gt_i32 s16, 0
	s_mov_b64 s[8:9], -1
	s_cbranch_scc0 .LBB94_829
; %bb.828:
	v_mov_b32_e32 v3, s23
	global_store_byte v[0:1], v3, off
	s_mov_b64 s[8:9], 0
.LBB94_829:
	s_andn2_b64 vcc, exec, s[8:9]
	s_cbranch_vccnz .LBB94_831
; %bb.830:
	v_mov_b32_e32 v3, s23
	global_store_byte v[0:1], v3, off
.LBB94_831:
	s_branch .LBB94_691
.LBB94_832:
	s_mov_b64 s[8:9], 0
	s_mov_b64 s[10:11], 0
                                        ; implicit-def: $sgpr33
                                        ; implicit-def: $vgpr0_vgpr1
.LBB94_833:
	s_andn2_b64 s[2:3], s[2:3], exec
	s_and_b64 s[6:7], s[6:7], exec
	s_and_b64 s[8:9], s[8:9], exec
	;; [unrolled: 1-line block ×3, first 2 shown]
	s_or_b64 s[2:3], s[2:3], s[6:7]
	s_or_b64 exec, exec, s[4:5]
	s_and_saveexec_b64 s[4:5], s[2:3]
	s_cbranch_execnz .LBB94_434
.LBB94_834:
	s_or_b64 exec, exec, s[4:5]
	s_and_saveexec_b64 s[2:3], s[18:19]
	s_xor_b64 s[2:3], exec, s[2:3]
	s_cbranch_execz .LBB94_435
.LBB94_835:
	v_mov_b32_e32 v2, s23
	global_store_byte v[0:1], v2, off
	s_or_b64 exec, exec, s[2:3]
	s_and_saveexec_b64 s[2:3], s[8:9]
	s_cbranch_execz .LBB94_873
.LBB94_836:
	s_sext_i32_i16 s4, s33
	s_cmp_lt_i32 s4, 5
	s_mov_b64 s[2:3], -1
	s_cbranch_scc1 .LBB94_857
; %bb.837:
	s_cmp_lt_i32 s4, 8
	s_cbranch_scc1 .LBB94_847
; %bb.838:
	s_cmp_lt_i32 s4, 9
	s_cbranch_scc1 .LBB94_844
; %bb.839:
	s_cmp_gt_i32 s4, 9
	s_cbranch_scc0 .LBB94_841
; %bb.840:
	v_cndmask_b32_e64 v2, 0, 1, s[0:1]
	v_cvt_f64_u32_e32 v[2:3], v2
	v_mov_b32_e32 v4, 0
	v_mov_b32_e32 v5, v4
	s_mov_b64 s[2:3], 0
	global_store_dwordx4 v[0:1], v[2:5], off
.LBB94_841:
	s_andn2_b64 vcc, exec, s[2:3]
	s_cbranch_vccnz .LBB94_843
; %bb.842:
	v_cndmask_b32_e64 v2, 0, 1.0, s[0:1]
	v_mov_b32_e32 v3, 0
	global_store_dwordx2 v[0:1], v[2:3], off
.LBB94_843:
	s_mov_b64 s[2:3], 0
.LBB94_844:
	s_andn2_b64 vcc, exec, s[2:3]
	s_cbranch_vccnz .LBB94_846
; %bb.845:
	v_cndmask_b32_e64 v2, 0, 1.0, s[0:1]
	v_cvt_f16_f32_e32 v2, v2
	global_store_dword v[0:1], v2, off
.LBB94_846:
	s_mov_b64 s[2:3], 0
.LBB94_847:
	s_andn2_b64 vcc, exec, s[2:3]
	s_cbranch_vccnz .LBB94_856
; %bb.848:
	s_sext_i32_i16 s4, s33
	s_cmp_lt_i32 s4, 6
	s_mov_b64 s[2:3], -1
	s_cbranch_scc1 .LBB94_854
; %bb.849:
	s_cmp_gt_i32 s4, 6
	s_cbranch_scc0 .LBB94_851
; %bb.850:
	v_cndmask_b32_e64 v2, 0, 1, s[0:1]
	v_cvt_f64_u32_e32 v[2:3], v2
	s_mov_b64 s[2:3], 0
	global_store_dwordx2 v[0:1], v[2:3], off
.LBB94_851:
	s_andn2_b64 vcc, exec, s[2:3]
	s_cbranch_vccnz .LBB94_853
; %bb.852:
	v_cndmask_b32_e64 v2, 0, 1.0, s[0:1]
	global_store_dword v[0:1], v2, off
.LBB94_853:
	s_mov_b64 s[2:3], 0
.LBB94_854:
	s_andn2_b64 vcc, exec, s[2:3]
	s_cbranch_vccnz .LBB94_856
; %bb.855:
	v_cndmask_b32_e64 v2, 0, 1.0, s[0:1]
	v_cvt_f16_f32_e32 v2, v2
	global_store_short v[0:1], v2, off
.LBB94_856:
	s_mov_b64 s[2:3], 0
.LBB94_857:
	s_andn2_b64 vcc, exec, s[2:3]
	s_cbranch_vccnz .LBB94_873
; %bb.858:
	s_sext_i32_i16 s2, s33
	s_cmp_lt_i32 s2, 2
	s_mov_b64 s[0:1], -1
	s_cbranch_scc1 .LBB94_868
; %bb.859:
	s_cmp_lt_i32 s2, 3
	s_cbranch_scc1 .LBB94_865
; %bb.860:
	s_cmp_gt_i32 s2, 3
	s_cbranch_scc0 .LBB94_862
; %bb.861:
	s_and_b32 s0, s23, 0xff
	v_mov_b32_e32 v2, s0
	v_mov_b32_e32 v3, 0
	global_store_dwordx2 v[0:1], v[2:3], off
	s_mov_b64 s[0:1], 0
.LBB94_862:
	s_andn2_b64 vcc, exec, s[0:1]
	s_cbranch_vccnz .LBB94_864
; %bb.863:
	s_and_b32 s0, s23, 0xff
	v_mov_b32_e32 v2, s0
	global_store_dword v[0:1], v2, off
.LBB94_864:
	s_mov_b64 s[0:1], 0
.LBB94_865:
	s_andn2_b64 vcc, exec, s[0:1]
	s_cbranch_vccnz .LBB94_867
; %bb.866:
	s_and_b32 s0, s23, 0xff
	v_mov_b32_e32 v2, s0
	global_store_short v[0:1], v2, off
.LBB94_867:
	s_mov_b64 s[0:1], 0
.LBB94_868:
	s_andn2_b64 vcc, exec, s[0:1]
	s_cbranch_vccnz .LBB94_873
; %bb.869:
	s_sext_i32_i16 s0, s33
	s_cmp_gt_i32 s0, 0
	s_mov_b64 s[0:1], -1
	s_cbranch_scc0 .LBB94_871
; %bb.870:
	v_mov_b32_e32 v2, s23
	global_store_byte v[0:1], v2, off
	s_mov_b64 s[0:1], 0
.LBB94_871:
	s_andn2_b64 vcc, exec, s[0:1]
	s_cbranch_vccnz .LBB94_873
; %bb.872:
	v_mov_b32_e32 v2, s23
	global_store_byte v[0:1], v2, off
	s_endpgm
.LBB94_873:
	s_endpgm
.LBB94_874:
	s_trap 2
	s_or_b64 s[6:7], s[6:7], exec
	s_cbranch_execz .LBB94_792
	s_branch .LBB94_793
.LBB94_875:
	s_mov_b64 s[12:13], -1
	s_mov_b64 s[10:11], 0
                                        ; implicit-def: $sgpr14
.LBB94_876:
	s_andn2_b64 vcc, exec, s[12:13]
	v_mov_b32_e32 v3, s14
	s_cbranch_vccnz .LBB94_878
; %bb.877:
	v_add_f32_e32 v2, 0x42800000, v2
	v_and_b32_e32 v3, 0xff, v2
	v_cmp_ne_u32_e64 s[10:11], 0, v3
.LBB94_878:
	s_andn2_b64 vcc, exec, s[10:11]
	v_mov_b32_e32 v4, 0
	s_cbranch_vccnz .LBB94_880
; %bb.879:
	v_mov_b32_e32 v4, v3
.LBB94_880:
	s_mov_b64 s[10:11], 0
	global_store_byte v[0:1], v4, off
.LBB94_881:
	s_and_b64 vcc, exec, s[10:11]
	s_cbranch_vccz .LBB94_893
; %bb.882:
	v_cndmask_b32_e64 v2, 0, 1.0, s[0:1]
	s_mov_b32 s10, 0x43f00000
	v_cmp_gt_u32_e32 vcc, s10, v2
	v_readfirstlane_b32 s12, v2
	s_cbranch_vccz .LBB94_885
; %bb.883:
	s_cmp_gt_u32 s12, 0x3c7fffff
	s_cbranch_scc0 .LBB94_886
; %bb.884:
	s_bfe_u32 s10, s12, 0x10014
	s_add_i32 s10, s12, s10
	s_add_i32 s10, s10, 0x407ffff
	s_lshr_b32 s11, s10, 20
	s_and_b32 s10, s10, 0xff00000
	s_cmp_lg_u32 s10, 0x7f00000
	s_cselect_b32 s13, s11, 0x7e
	s_mov_b64 s[10:11], 0
	s_branch .LBB94_887
.LBB94_885:
	s_mov_b64 s[10:11], -1
                                        ; implicit-def: $vgpr3
	s_branch .LBB94_890
.LBB94_886:
	s_mov_b64 s[10:11], -1
                                        ; implicit-def: $sgpr13
.LBB94_887:
	s_andn2_b64 vcc, exec, s[10:11]
	v_mov_b32_e32 v3, s13
	s_cbranch_vccnz .LBB94_889
; %bb.888:
	v_add_f32_e32 v3, 0x46800000, v2
.LBB94_889:
	s_mov_b64 s[10:11], 0
.LBB94_890:
	s_andn2_b64 vcc, exec, s[10:11]
	s_cbranch_vccnz .LBB94_892
; %bb.891:
	s_cmp_gt_u32 s12, 0x7f800000
	s_movk_i32 s10, 0x7f
	s_cselect_b32 s10, s10, 0x7e
	v_mov_b32_e32 v3, s10
.LBB94_892:
	global_store_byte v[0:1], v3, off
.LBB94_893:
	s_mov_b64 s[10:11], 0
.LBB94_894:
	s_andn2_b64 vcc, exec, s[10:11]
	s_cbranch_vccnz .LBB94_906
; %bb.895:
	v_cndmask_b32_e64 v2, 0, 1.0, s[0:1]
	s_mov_b32 s10, 0x47800000
	v_cmp_gt_u32_e32 vcc, s10, v2
	v_readfirstlane_b32 s12, v2
	s_cbranch_vccz .LBB94_898
; %bb.896:
	s_cmp_gt_u32 s12, 0x387fffff
	s_cbranch_scc0 .LBB94_899
; %bb.897:
	s_bfe_u32 s10, s12, 0x10015
	s_add_i32 s10, s12, s10
	s_add_i32 s10, s10, 0x80fffff
	s_lshr_b32 s13, s10, 21
	s_mov_b64 s[10:11], 0
	s_branch .LBB94_900
.LBB94_898:
	s_mov_b64 s[10:11], -1
                                        ; implicit-def: $vgpr3
	s_branch .LBB94_903
.LBB94_899:
	s_mov_b64 s[10:11], -1
                                        ; implicit-def: $sgpr13
.LBB94_900:
	s_andn2_b64 vcc, exec, s[10:11]
	v_mov_b32_e32 v3, s13
	s_cbranch_vccnz .LBB94_902
; %bb.901:
	v_add_f32_e32 v3, 0x43000000, v2
.LBB94_902:
	s_mov_b64 s[10:11], 0
.LBB94_903:
	s_andn2_b64 vcc, exec, s[10:11]
	s_cbranch_vccnz .LBB94_905
; %bb.904:
	s_cmp_gt_u32 s12, 0x7f800000
	s_movk_i32 s10, 0x7f
	s_cselect_b32 s10, s10, 0x7c
	v_mov_b32_e32 v3, s10
.LBB94_905:
	global_store_byte v[0:1], v3, off
.LBB94_906:
	s_mov_b64 s[10:11], 0
.LBB94_907:
	s_andn2_b64 vcc, exec, s[10:11]
	s_mov_b64 s[10:11], 0
	s_cbranch_vccnz .LBB94_914
; %bb.908:
	s_cmp_gt_i32 s16, 14
	s_mov_b64 s[12:13], -1
	s_cbranch_scc0 .LBB94_912
; %bb.909:
	s_cmp_eq_u32 s16, 15
	s_mov_b64 s[8:9], -1
	s_cbranch_scc0 .LBB94_911
; %bb.910:
	v_cndmask_b32_e64 v2, 0, 1.0, s[0:1]
	v_bfe_u32 v3, v2, 16, 1
	v_add_u32_e32 v2, v2, v3
	v_add_u32_e32 v2, 0x7fff, v2
	global_store_short_d16_hi v[0:1], v2, off
	s_mov_b64 s[8:9], 0
.LBB94_911:
	s_mov_b64 s[12:13], 0
.LBB94_912:
	s_and_b64 vcc, exec, s[12:13]
	s_cbranch_vccz .LBB94_914
; %bb.913:
	s_cmp_lg_u32 s16, 11
	s_mov_b64 s[10:11], -1
	s_cselect_b64 s[8:9], -1, 0
.LBB94_914:
	s_and_b64 vcc, exec, s[8:9]
	s_cbranch_vccnz .LBB94_916
.LBB94_915:
	s_mov_b64 s[8:9], 0
	s_branch .LBB94_833
.LBB94_916:
	s_mov_b64 s[10:11], 0
	s_or_b64 s[6:7], s[6:7], exec
	s_trap 2
	s_branch .LBB94_915
	.section	.rodata,"a",@progbits
	.p2align	6, 0x0
	.amdhsa_kernel _ZN2at6native32elementwise_kernel_manual_unrollILi128ELi4EZNS0_15gpu_kernel_implINS0_11FillFunctorIbEEEEvRNS_18TensorIteratorBaseERKT_EUlibE_EEviT1_
		.amdhsa_group_segment_fixed_size 0
		.amdhsa_private_segment_fixed_size 0
		.amdhsa_kernarg_size 24
		.amdhsa_user_sgpr_count 6
		.amdhsa_user_sgpr_private_segment_buffer 1
		.amdhsa_user_sgpr_dispatch_ptr 0
		.amdhsa_user_sgpr_queue_ptr 0
		.amdhsa_user_sgpr_kernarg_segment_ptr 1
		.amdhsa_user_sgpr_dispatch_id 0
		.amdhsa_user_sgpr_flat_scratch_init 0
		.amdhsa_user_sgpr_private_segment_size 0
		.amdhsa_uses_dynamic_stack 0
		.amdhsa_system_sgpr_private_segment_wavefront_offset 0
		.amdhsa_system_sgpr_workgroup_id_x 1
		.amdhsa_system_sgpr_workgroup_id_y 0
		.amdhsa_system_sgpr_workgroup_id_z 0
		.amdhsa_system_sgpr_workgroup_info 0
		.amdhsa_system_vgpr_workitem_id 0
		.amdhsa_next_free_vgpr 22
		.amdhsa_next_free_sgpr 54
		.amdhsa_reserve_vcc 1
		.amdhsa_reserve_flat_scratch 0
		.amdhsa_float_round_mode_32 0
		.amdhsa_float_round_mode_16_64 0
		.amdhsa_float_denorm_mode_32 3
		.amdhsa_float_denorm_mode_16_64 3
		.amdhsa_dx10_clamp 1
		.amdhsa_ieee_mode 1
		.amdhsa_fp16_overflow 0
		.amdhsa_exception_fp_ieee_invalid_op 0
		.amdhsa_exception_fp_denorm_src 0
		.amdhsa_exception_fp_ieee_div_zero 0
		.amdhsa_exception_fp_ieee_overflow 0
		.amdhsa_exception_fp_ieee_underflow 0
		.amdhsa_exception_fp_ieee_inexact 0
		.amdhsa_exception_int_div_zero 0
	.end_amdhsa_kernel
	.section	.text._ZN2at6native32elementwise_kernel_manual_unrollILi128ELi4EZNS0_15gpu_kernel_implINS0_11FillFunctorIbEEEEvRNS_18TensorIteratorBaseERKT_EUlibE_EEviT1_,"axG",@progbits,_ZN2at6native32elementwise_kernel_manual_unrollILi128ELi4EZNS0_15gpu_kernel_implINS0_11FillFunctorIbEEEEvRNS_18TensorIteratorBaseERKT_EUlibE_EEviT1_,comdat
.Lfunc_end94:
	.size	_ZN2at6native32elementwise_kernel_manual_unrollILi128ELi4EZNS0_15gpu_kernel_implINS0_11FillFunctorIbEEEEvRNS_18TensorIteratorBaseERKT_EUlibE_EEviT1_, .Lfunc_end94-_ZN2at6native32elementwise_kernel_manual_unrollILi128ELi4EZNS0_15gpu_kernel_implINS0_11FillFunctorIbEEEEvRNS_18TensorIteratorBaseERKT_EUlibE_EEviT1_
                                        ; -- End function
	.set _ZN2at6native32elementwise_kernel_manual_unrollILi128ELi4EZNS0_15gpu_kernel_implINS0_11FillFunctorIbEEEEvRNS_18TensorIteratorBaseERKT_EUlibE_EEviT1_.num_vgpr, 22
	.set _ZN2at6native32elementwise_kernel_manual_unrollILi128ELi4EZNS0_15gpu_kernel_implINS0_11FillFunctorIbEEEEvRNS_18TensorIteratorBaseERKT_EUlibE_EEviT1_.num_agpr, 0
	.set _ZN2at6native32elementwise_kernel_manual_unrollILi128ELi4EZNS0_15gpu_kernel_implINS0_11FillFunctorIbEEEEvRNS_18TensorIteratorBaseERKT_EUlibE_EEviT1_.numbered_sgpr, 54
	.set _ZN2at6native32elementwise_kernel_manual_unrollILi128ELi4EZNS0_15gpu_kernel_implINS0_11FillFunctorIbEEEEvRNS_18TensorIteratorBaseERKT_EUlibE_EEviT1_.num_named_barrier, 0
	.set _ZN2at6native32elementwise_kernel_manual_unrollILi128ELi4EZNS0_15gpu_kernel_implINS0_11FillFunctorIbEEEEvRNS_18TensorIteratorBaseERKT_EUlibE_EEviT1_.private_seg_size, 0
	.set _ZN2at6native32elementwise_kernel_manual_unrollILi128ELi4EZNS0_15gpu_kernel_implINS0_11FillFunctorIbEEEEvRNS_18TensorIteratorBaseERKT_EUlibE_EEviT1_.uses_vcc, 1
	.set _ZN2at6native32elementwise_kernel_manual_unrollILi128ELi4EZNS0_15gpu_kernel_implINS0_11FillFunctorIbEEEEvRNS_18TensorIteratorBaseERKT_EUlibE_EEviT1_.uses_flat_scratch, 0
	.set _ZN2at6native32elementwise_kernel_manual_unrollILi128ELi4EZNS0_15gpu_kernel_implINS0_11FillFunctorIbEEEEvRNS_18TensorIteratorBaseERKT_EUlibE_EEviT1_.has_dyn_sized_stack, 0
	.set _ZN2at6native32elementwise_kernel_manual_unrollILi128ELi4EZNS0_15gpu_kernel_implINS0_11FillFunctorIbEEEEvRNS_18TensorIteratorBaseERKT_EUlibE_EEviT1_.has_recursion, 0
	.set _ZN2at6native32elementwise_kernel_manual_unrollILi128ELi4EZNS0_15gpu_kernel_implINS0_11FillFunctorIbEEEEvRNS_18TensorIteratorBaseERKT_EUlibE_EEviT1_.has_indirect_call, 0
	.section	.AMDGPU.csdata,"",@progbits
; Kernel info:
; codeLenInByte = 11956
; TotalNumSgprs: 58
; NumVgprs: 22
; ScratchSize: 0
; MemoryBound: 0
; FloatMode: 240
; IeeeMode: 1
; LDSByteSize: 0 bytes/workgroup (compile time only)
; SGPRBlocks: 7
; VGPRBlocks: 5
; NumSGPRsForWavesPerEU: 58
; NumVGPRsForWavesPerEU: 22
; Occupancy: 10
; WaveLimiterHint : 0
; COMPUTE_PGM_RSRC2:SCRATCH_EN: 0
; COMPUTE_PGM_RSRC2:USER_SGPR: 6
; COMPUTE_PGM_RSRC2:TRAP_HANDLER: 0
; COMPUTE_PGM_RSRC2:TGID_X_EN: 1
; COMPUTE_PGM_RSRC2:TGID_Y_EN: 0
; COMPUTE_PGM_RSRC2:TGID_Z_EN: 0
; COMPUTE_PGM_RSRC2:TIDIG_COMP_CNT: 0
	.section	.text._ZN2at6native32elementwise_kernel_manual_unrollILi128ELi4EZNS0_15gpu_kernel_implINS0_11FillFunctorIbEEEEvRNS_18TensorIteratorBaseERKT_EUlibE0_EEviT1_,"axG",@progbits,_ZN2at6native32elementwise_kernel_manual_unrollILi128ELi4EZNS0_15gpu_kernel_implINS0_11FillFunctorIbEEEEvRNS_18TensorIteratorBaseERKT_EUlibE0_EEviT1_,comdat
	.protected	_ZN2at6native32elementwise_kernel_manual_unrollILi128ELi4EZNS0_15gpu_kernel_implINS0_11FillFunctorIbEEEEvRNS_18TensorIteratorBaseERKT_EUlibE0_EEviT1_ ; -- Begin function _ZN2at6native32elementwise_kernel_manual_unrollILi128ELi4EZNS0_15gpu_kernel_implINS0_11FillFunctorIbEEEEvRNS_18TensorIteratorBaseERKT_EUlibE0_EEviT1_
	.globl	_ZN2at6native32elementwise_kernel_manual_unrollILi128ELi4EZNS0_15gpu_kernel_implINS0_11FillFunctorIbEEEEvRNS_18TensorIteratorBaseERKT_EUlibE0_EEviT1_
	.p2align	8
	.type	_ZN2at6native32elementwise_kernel_manual_unrollILi128ELi4EZNS0_15gpu_kernel_implINS0_11FillFunctorIbEEEEvRNS_18TensorIteratorBaseERKT_EUlibE0_EEviT1_,@function
_ZN2at6native32elementwise_kernel_manual_unrollILi128ELi4EZNS0_15gpu_kernel_implINS0_11FillFunctorIbEEEEvRNS_18TensorIteratorBaseERKT_EUlibE0_EEviT1_: ; @_ZN2at6native32elementwise_kernel_manual_unrollILi128ELi4EZNS0_15gpu_kernel_implINS0_11FillFunctorIbEEEEvRNS_18TensorIteratorBaseERKT_EUlibE0_EEviT1_
; %bb.0:
	s_load_dword s83, s[4:5], 0x0
	s_load_dword s33, s[4:5], 0x8
	s_add_u32 s34, s4, 8
	s_addc_u32 s35, s5, 0
	v_lshl_or_b32 v8, s6, 9, v0
	v_or_b32_e32 v9, 0x180, v8
	s_waitcnt lgkmcnt(0)
	s_add_i32 s80, s33, -1
	s_cmp_gt_u32 s80, 1
	v_cmp_le_i32_e32 vcc, s83, v9
	s_cselect_b64 s[44:45], -1, 0
	s_mov_b64 s[18:19], 0
	s_mov_b64 s[20:21], 0
	s_and_saveexec_b64 s[0:1], vcc
	s_xor_b64 s[46:47], exec, s[0:1]
	s_cbranch_execz .LBB95_462
; %bb.1:
	s_cmp_lg_u32 s33, 0
	s_cselect_b64 s[64:65], -1, 0
	s_add_u32 s62, s34, 0xc4
	s_load_dwordx2 s[56:57], s[34:35], 0xc4
	s_load_dwordx2 s[54:55], s[34:35], 0x108
	s_load_dword s81, s[34:35], 0x110
	s_load_dwordx4 s[28:31], s[34:35], 0x4
	s_load_dwordx2 s[58:59], s[34:35], 0x14
	s_addc_u32 s63, s35, 0
	s_min_u32 s84, s80, 15
	s_cmp_gt_u32 s33, 1
	s_cselect_b64 s[60:61], -1, 0
	s_waitcnt lgkmcnt(0)
	s_bfe_u32 s82, s81, 0x80008
	s_bitcmp1_b32 s81, 0
	s_cselect_b64 s[20:21], -1, 0
	v_cndmask_b32_e64 v4, 0, 1.0, s[20:21]
	v_and_b32_e32 v1, 0x400000, v4
	v_lshrrev_b32_e32 v0, 23, v4
	v_cmp_ne_u32_e32 vcc, 0, v1
	v_and_b32_e32 v1, 0x3fffff, v4
	s_movk_i32 s0, 0xff
	v_or_b32_e32 v1, v0, v1
	v_cmp_eq_u32_e64 s[16:17], s0, v0
	v_cmp_ne_u32_e64 s[0:1], 0, v1
	s_and_b64 s[0:1], vcc, s[0:1]
	v_cndmask_b32_e64 v1, 0, 1, s[0:1]
	s_mov_b32 s0, 0x43800000
	v_cmp_gt_u32_e64 s[14:15], s0, v4
	s_mov_b32 s0, 0x3bffffff
	v_add_f32_e32 v20, 0x46000000, v4
	v_add_u32_e32 v21, v0, v1
	v_cmp_lt_u32_e64 s[12:13], s0, v4
	v_bfe_u32 v0, v4, 20, 1
	v_readfirstlane_b32 s0, v20
	s_mov_b32 s2, 0x47800000
	s_and_b32 s48, s81, 0xff
	v_add_u32_e32 v0, v4, v0
	s_and_b32 s0, s0, 0xff
	v_cmp_gt_u32_e64 s[10:11], s2, v4
	s_mov_b32 s2, 0x37ffffff
	v_add_f32_e32 v17, 0x42800000, v4
	v_add_u32_e32 v1, 0x487ffff, v0
	s_cmp_lg_u32 s0, 0
	v_cmp_lt_u32_e64 s[8:9], s2, v4
	v_readfirstlane_b32 s2, v17
	v_lshrrev_b32_e32 v19, 20, v1
	s_cselect_b64 s[52:53], -1, 0
	v_bfe_u32 v1, v4, 21, 1
	s_and_b32 s2, s2, 0xff
	v_add_u32_e32 v1, v4, v1
	s_cmp_lg_u32 s2, 0
	s_mov_b32 s2, 0x43efffff
	v_add_u32_e32 v2, 0x88fffff, v1
	v_cmp_lt_u32_e64 s[4:5], s2, v4
	s_mov_b32 s2, 0x3c800000
	v_add_u32_e32 v0, 0x407ffff, v0
	v_lshrrev_b32_e32 v16, 21, v2
	v_cmp_gt_u32_e64 s[6:7], s2, v4
	v_lshrrev_b32_e32 v2, 20, v0
	v_and_b32_e32 v0, 0xff00000, v0
	s_mov_b32 s2, 0x7f00000
	v_mov_b32_e32 v3, 0x7e
	v_cmp_ne_u32_e32 vcc, s2, v0
	v_add_u32_e32 v0, 0x80fffff, v1
	s_mov_b32 s22, 0x7f800000
	v_cndmask_b32_e32 v14, v3, v2, vcc
	v_lshrrev_b32_e32 v11, 21, v0
	v_mov_b32_e32 v0, 0x7f
	v_cmp_lt_u32_e32 vcc, s22, v4
	v_mov_b32_e32 v1, 0x7c
	v_cndmask_b32_e32 v18, v3, v0, vcc
	v_cndmask_b32_e32 v13, v1, v0, vcc
	v_bfe_u32 v0, v4, 16, 1
	v_add_u32_e32 v0, v4, v0
	v_add_u32_e32 v0, 0x7fff, v0
	v_lshrrev_b32_e32 v10, 16, v0
	v_cndmask_b32_e64 v0, 0, 1, s[20:21]
	v_cvt_f64_u32_e32 v[0:1], v0
	v_cvt_f16_f32_e32 v9, v4
	s_mov_b32 s0, 0x477fffff
	s_mov_b32 s2, 0x38800000
	;; [unrolled: 1-line block ×3, first 2 shown]
	v_cmp_lt_u32_e64 s[0:1], s0, v4
	s_cselect_b64 s[50:51], -1, 0
	v_add_f32_e32 v15, 0x46800000, v4
	v_cmp_gt_u32_e64 s[2:3], s2, v4
	v_add_f32_e32 v12, 0x43000000, v4
	v_cmp_gt_i32_e32 vcc, s83, v8
	s_mov_b64 s[22:23], -1
	s_mov_b64 s[72:73], 0
	s_mov_b64 s[66:67], 0
	s_and_saveexec_b64 s[68:69], vcc
	s_cbranch_execz .LBB95_114
; %bb.2:
	s_andn2_b64 vcc, exec, s[44:45]
	s_cbranch_vccnz .LBB95_7
; %bb.3:
	s_andn2_b64 vcc, exec, s[64:65]
	s_cbranch_vccnz .LBB95_8
; %bb.4:
	s_add_i32 s75, s84, 1
	s_cmp_eq_u32 s80, 2
	s_cbranch_scc1 .LBB95_9
; %bb.5:
	s_and_b32 s74, s75, 28
	s_mov_b32 s76, 0
	v_mov_b32_e32 v2, 0
	s_mov_b64 s[66:67], s[34:35]
	s_mov_b64 s[70:71], s[62:63]
	v_mov_b32_e32 v3, v8
.LBB95_6:                               ; =>This Inner Loop Header: Depth=1
	s_load_dwordx8 s[20:27], s[66:67], 0x4
	s_load_dwordx4 s[36:39], s[66:67], 0x24
	s_load_dwordx4 s[40:43], s[70:71], 0x0
	s_add_u32 s66, s66, 48
	s_addc_u32 s67, s67, 0
	s_waitcnt lgkmcnt(0)
	v_mul_hi_u32 v5, s21, v3
	s_add_i32 s76, s76, 4
	s_add_u32 s70, s70, 16
	s_addc_u32 s71, s71, 0
	v_add_u32_e32 v5, v3, v5
	v_lshrrev_b32_e32 v5, s22, v5
	v_mul_lo_u32 v6, v5, s20
	v_mul_hi_u32 v7, s24, v5
	s_cmp_lg_u32 s74, s76
	v_sub_u32_e32 v3, v3, v6
	v_add_u32_e32 v6, v5, v7
	v_lshrrev_b32_e32 v6, s25, v6
	v_mul_lo_u32 v7, v3, s40
	v_mul_hi_u32 v3, s27, v6
	v_mul_lo_u32 v23, v6, s23
	v_add_u32_e32 v3, v6, v3
	v_lshrrev_b32_e32 v22, s36, v3
	v_mul_hi_u32 v3, s38, v22
	v_sub_u32_e32 v5, v5, v23
	v_mul_lo_u32 v23, v22, s26
	v_mul_lo_u32 v5, v5, s41
	v_add_u32_e32 v3, v22, v3
	v_lshrrev_b32_e32 v3, s39, v3
	v_mul_lo_u32 v24, v3, s37
	v_sub_u32_e32 v6, v6, v23
	v_mul_lo_u32 v6, v6, s42
	v_add3_u32 v2, v7, v2, v5
	v_sub_u32_e32 v22, v22, v24
	v_mul_lo_u32 v22, v22, s43
	v_add3_u32 v2, v6, v2, v22
	s_cbranch_scc1 .LBB95_6
	s_branch .LBB95_10
.LBB95_7:
                                        ; implicit-def: $vgpr2
	s_branch .LBB95_14
.LBB95_8:
	v_mov_b32_e32 v2, 0
	s_branch .LBB95_13
.LBB95_9:
	v_mov_b32_e32 v2, 0
	s_mov_b32 s74, 0
	v_mov_b32_e32 v3, v8
.LBB95_10:
	s_and_b32 s24, s75, 3
	s_cmp_eq_u32 s24, 0
	s_cbranch_scc1 .LBB95_13
; %bb.11:
	s_lshl_b32 s20, s74, 2
	s_add_u32 s20, s34, s20
	s_addc_u32 s21, s35, 0
	s_add_u32 s20, s20, 0xc4
	s_addc_u32 s21, s21, 0
	s_mul_i32 s22, s74, 12
	s_add_u32 s22, s34, s22
	s_addc_u32 s23, s35, 0
.LBB95_12:                              ; =>This Inner Loop Header: Depth=1
	s_load_dwordx2 s[26:27], s[22:23], 0x4
	s_load_dword s25, s[22:23], 0xc
	s_add_u32 s22, s22, 12
	s_addc_u32 s23, s23, 0
	s_waitcnt lgkmcnt(0)
	v_mul_hi_u32 v5, s27, v3
	s_load_dword s27, s[20:21], 0x0
	s_add_u32 s20, s20, 4
	s_addc_u32 s21, s21, 0
	v_add_u32_e32 v5, v3, v5
	v_lshrrev_b32_e32 v5, s25, v5
	v_mul_lo_u32 v6, v5, s26
	s_add_i32 s24, s24, -1
	s_cmp_lg_u32 s24, 0
	v_sub_u32_e32 v3, v3, v6
	s_waitcnt lgkmcnt(0)
	v_mad_u64_u32 v[2:3], s[26:27], v3, s27, v[2:3]
	v_mov_b32_e32 v3, v5
	s_cbranch_scc1 .LBB95_12
.LBB95_13:
	s_cbranch_execnz .LBB95_16
.LBB95_14:
	v_mul_hi_u32 v2, s29, v8
	s_andn2_b64 vcc, exec, s[60:61]
	v_add_u32_e32 v2, v8, v2
	v_lshrrev_b32_e32 v3, s30, v2
	v_mul_lo_u32 v2, v3, s28
	v_sub_u32_e32 v2, v8, v2
	v_mul_lo_u32 v2, v2, s56
	s_cbranch_vccnz .LBB95_16
; %bb.15:
	v_mul_hi_u32 v5, s58, v3
	v_add_u32_e32 v5, v3, v5
	v_lshrrev_b32_e32 v5, s59, v5
	v_mul_lo_u32 v5, v5, s31
	v_sub_u32_e32 v3, v3, v5
	v_mad_u64_u32 v[2:3], s[20:21], v3, s57, v[2:3]
.LBB95_16:
	v_mov_b32_e32 v3, s55
	s_and_b32 s26, 0xffff, s82
	v_add_co_u32_e32 v6, vcc, s54, v2
	s_cmp_lt_i32 s26, 11
	v_addc_co_u32_e32 v7, vcc, 0, v3, vcc
	s_cbranch_scc1 .LBB95_23
; %bb.17:
	s_cmp_gt_i32 s26, 25
	s_cbranch_scc0 .LBB95_26
; %bb.18:
	s_cmp_gt_i32 s26, 28
	s_cbranch_scc0 .LBB95_27
	;; [unrolled: 3-line block ×4, first 2 shown]
; %bb.21:
	s_mov_b64 s[24:25], 0
	s_mov_b64 s[20:21], -1
	s_cmp_eq_u32 s26, 46
	s_mov_b64 s[22:23], 0
	s_cbranch_scc0 .LBB95_30
; %bb.22:
	global_store_dword v[6:7], v10, off
	s_mov_b64 s[22:23], -1
	s_mov_b64 s[20:21], 0
	s_branch .LBB95_30
.LBB95_23:
	s_mov_b64 s[20:21], 0
	s_mov_b64 s[22:23], 0
	s_cbranch_execnz .LBB95_74
.LBB95_24:
	s_andn2_b64 vcc, exec, s[22:23]
	s_cbranch_vccnz .LBB95_112
.LBB95_25:
	v_add_u32_e32 v8, 0x80, v8
	s_mov_b64 s[22:23], -1
	s_branch .LBB95_113
.LBB95_26:
	s_mov_b64 s[20:21], 0
	s_mov_b64 s[22:23], 0
	s_cbranch_execnz .LBB95_52
	s_branch .LBB95_73
.LBB95_27:
	s_mov_b64 s[24:25], -1
	s_mov_b64 s[20:21], 0
	s_mov_b64 s[22:23], 0
	s_branch .LBB95_38
.LBB95_28:
	s_mov_b64 s[24:25], -1
	s_mov_b64 s[20:21], 0
	s_mov_b64 s[22:23], 0
	s_branch .LBB95_34
.LBB95_29:
	s_mov_b64 s[24:25], -1
	s_mov_b64 s[20:21], 0
	s_mov_b64 s[22:23], 0
.LBB95_30:
	s_and_b64 vcc, exec, s[24:25]
	s_cbranch_vccz .LBB95_33
; %bb.31:
	s_cmp_eq_u32 s26, 44
	s_mov_b64 s[20:21], -1
	s_cbranch_scc0 .LBB95_33
; %bb.32:
	v_mov_b32_e32 v2, 0xffff
	v_cndmask_b32_e64 v2, v21, v2, s[16:17]
	global_store_byte v[6:7], v2, off
	s_mov_b64 s[22:23], -1
	s_mov_b64 s[20:21], 0
.LBB95_33:
	s_mov_b64 s[24:25], 0
.LBB95_34:
	s_and_b64 vcc, exec, s[24:25]
	s_cbranch_vccz .LBB95_37
; %bb.35:
	s_cmp_eq_u32 s26, 29
	s_mov_b64 s[20:21], -1
	s_cbranch_scc0 .LBB95_37
; %bb.36:
	v_mov_b32_e32 v2, s48
	v_mov_b32_e32 v3, s49
	global_store_dwordx2 v[6:7], v[2:3], off
	s_mov_b64 s[22:23], -1
	s_mov_b64 s[20:21], 0
.LBB95_37:
	s_mov_b64 s[24:25], 0
.LBB95_38:
	s_and_b64 vcc, exec, s[24:25]
	s_cbranch_vccz .LBB95_51
; %bb.39:
	s_cmp_lt_i32 s26, 27
	s_mov_b64 s[22:23], -1
	s_cbranch_scc1 .LBB95_45
; %bb.40:
	s_cmp_gt_i32 s26, 27
	s_cbranch_scc0 .LBB95_42
; %bb.41:
	v_mov_b32_e32 v2, s48
	s_mov_b64 s[22:23], 0
	global_store_dword v[6:7], v2, off
.LBB95_42:
	s_andn2_b64 vcc, exec, s[22:23]
	s_cbranch_vccnz .LBB95_44
; %bb.43:
	v_mov_b32_e32 v2, s48
	global_store_short v[6:7], v2, off
.LBB95_44:
	s_mov_b64 s[22:23], 0
.LBB95_45:
	s_andn2_b64 vcc, exec, s[22:23]
	s_cbranch_vccnz .LBB95_50
; %bb.46:
	s_andn2_b64 vcc, exec, s[14:15]
	v_mov_b32_e32 v2, 0x80
	s_cbranch_vccnz .LBB95_49
; %bb.47:
	s_or_b64 s[22:23], s[12:13], s[52:53]
	s_andn2_b64 vcc, exec, s[22:23]
	v_mov_b32_e32 v2, 0
	s_cbranch_vccnz .LBB95_49
; %bb.48:
	v_cndmask_b32_e64 v2, v20, v19, s[12:13]
.LBB95_49:
	global_store_byte v[6:7], v2, off
.LBB95_50:
	s_mov_b64 s[22:23], -1
.LBB95_51:
	s_branch .LBB95_73
.LBB95_52:
	s_cmp_gt_i32 s26, 22
	s_mov_b64 s[24:25], -1
	s_cbranch_scc0 .LBB95_65
; %bb.53:
	s_cmp_lt_i32 s26, 24
	s_mov_b64 s[22:23], -1
	s_cbranch_scc1 .LBB95_62
; %bb.54:
	s_cmp_gt_i32 s26, 24
	s_cbranch_scc0 .LBB95_59
; %bb.55:
	s_andn2_b64 vcc, exec, s[10:11]
	v_mov_b32_e32 v2, 0x80
	s_cbranch_vccnz .LBB95_58
; %bb.56:
	s_or_b64 s[22:23], s[8:9], s[50:51]
	s_andn2_b64 vcc, exec, s[22:23]
	v_mov_b32_e32 v2, 0
	s_cbranch_vccnz .LBB95_58
; %bb.57:
	v_cndmask_b32_e64 v2, v17, v16, s[8:9]
.LBB95_58:
	s_mov_b64 s[22:23], 0
	global_store_byte v[6:7], v2, off
.LBB95_59:
	s_and_b64 vcc, exec, s[22:23]
	s_cbranch_vccz .LBB95_61
; %bb.60:
	v_cndmask_b32_e64 v2, v14, v15, s[6:7]
	v_cndmask_b32_e64 v2, v2, v18, s[4:5]
	global_store_byte v[6:7], v2, off
.LBB95_61:
	s_mov_b64 s[22:23], 0
.LBB95_62:
	s_andn2_b64 vcc, exec, s[22:23]
	s_cbranch_vccnz .LBB95_64
; %bb.63:
	v_cndmask_b32_e64 v2, v11, v12, s[2:3]
	v_cndmask_b32_e64 v2, v2, v13, s[0:1]
	global_store_byte v[6:7], v2, off
.LBB95_64:
	s_mov_b64 s[24:25], 0
	s_mov_b64 s[22:23], -1
.LBB95_65:
	s_andn2_b64 vcc, exec, s[24:25]
	s_cbranch_vccnz .LBB95_73
; %bb.66:
	s_cmp_gt_i32 s26, 14
	s_mov_b64 s[24:25], -1
	s_cbranch_scc0 .LBB95_70
; %bb.67:
	s_cmp_eq_u32 s26, 15
	s_mov_b64 s[20:21], -1
	s_cbranch_scc0 .LBB95_69
; %bb.68:
	global_store_short v[6:7], v10, off
	s_mov_b64 s[22:23], -1
	s_mov_b64 s[20:21], 0
.LBB95_69:
	s_mov_b64 s[24:25], 0
.LBB95_70:
	s_and_b64 vcc, exec, s[24:25]
	s_cbranch_vccz .LBB95_73
; %bb.71:
	s_cmp_eq_u32 s26, 11
	s_mov_b64 s[20:21], -1
	s_cbranch_scc0 .LBB95_73
; %bb.72:
	v_mov_b32_e32 v2, s81
	s_mov_b64 s[22:23], -1
	s_mov_b64 s[20:21], 0
	global_store_byte v[6:7], v2, off
.LBB95_73:
	s_branch .LBB95_24
.LBB95_74:
	s_cmp_lt_i32 s26, 5
	s_mov_b64 s[22:23], -1
	s_cbranch_scc1 .LBB95_95
; %bb.75:
	s_cmp_lt_i32 s26, 8
	s_cbranch_scc1 .LBB95_85
; %bb.76:
	s_cmp_lt_i32 s26, 9
	s_cbranch_scc1 .LBB95_82
; %bb.77:
	s_cmp_gt_i32 s26, 9
	s_cbranch_scc0 .LBB95_79
; %bb.78:
	v_mov_b32_e32 v2, 0
	v_mov_b32_e32 v3, v2
	global_store_dwordx4 v[6:7], v[0:3], off
	s_mov_b64 s[22:23], 0
.LBB95_79:
	s_andn2_b64 vcc, exec, s[22:23]
	s_cbranch_vccnz .LBB95_81
; %bb.80:
	v_mov_b32_e32 v5, 0
	global_store_dwordx2 v[6:7], v[4:5], off
.LBB95_81:
	s_mov_b64 s[22:23], 0
.LBB95_82:
	s_andn2_b64 vcc, exec, s[22:23]
	s_cbranch_vccnz .LBB95_84
; %bb.83:
	global_store_dword v[6:7], v9, off
.LBB95_84:
	s_mov_b64 s[22:23], 0
.LBB95_85:
	s_andn2_b64 vcc, exec, s[22:23]
	s_cbranch_vccnz .LBB95_94
; %bb.86:
	s_cmp_lt_i32 s26, 6
	s_mov_b64 s[22:23], -1
	s_cbranch_scc1 .LBB95_92
; %bb.87:
	s_cmp_gt_i32 s26, 6
	s_cbranch_scc0 .LBB95_89
; %bb.88:
	global_store_dwordx2 v[6:7], v[0:1], off
	s_mov_b64 s[22:23], 0
.LBB95_89:
	s_andn2_b64 vcc, exec, s[22:23]
	s_cbranch_vccnz .LBB95_91
; %bb.90:
	global_store_dword v[6:7], v4, off
.LBB95_91:
	s_mov_b64 s[22:23], 0
.LBB95_92:
	s_andn2_b64 vcc, exec, s[22:23]
	s_cbranch_vccnz .LBB95_94
; %bb.93:
	global_store_short v[6:7], v9, off
.LBB95_94:
	s_mov_b64 s[22:23], 0
.LBB95_95:
	s_andn2_b64 vcc, exec, s[22:23]
	s_cbranch_vccnz .LBB95_111
; %bb.96:
	s_cmp_lt_i32 s26, 2
	s_mov_b64 s[22:23], -1
	s_cbranch_scc1 .LBB95_106
; %bb.97:
	s_cmp_lt_i32 s26, 3
	s_cbranch_scc1 .LBB95_103
; %bb.98:
	s_cmp_gt_i32 s26, 3
	s_cbranch_scc0 .LBB95_100
; %bb.99:
	v_mov_b32_e32 v2, s48
	v_mov_b32_e32 v3, s49
	global_store_dwordx2 v[6:7], v[2:3], off
	s_mov_b64 s[22:23], 0
.LBB95_100:
	s_andn2_b64 vcc, exec, s[22:23]
	s_cbranch_vccnz .LBB95_102
; %bb.101:
	v_mov_b32_e32 v2, s48
	global_store_dword v[6:7], v2, off
.LBB95_102:
	s_mov_b64 s[22:23], 0
.LBB95_103:
	s_andn2_b64 vcc, exec, s[22:23]
	s_cbranch_vccnz .LBB95_105
; %bb.104:
	v_mov_b32_e32 v2, s48
	global_store_short v[6:7], v2, off
.LBB95_105:
	s_mov_b64 s[22:23], 0
.LBB95_106:
	s_andn2_b64 vcc, exec, s[22:23]
	s_cbranch_vccnz .LBB95_111
; %bb.107:
	s_cmp_gt_i32 s26, 0
	s_mov_b64 s[22:23], -1
	s_cbranch_scc0 .LBB95_109
; %bb.108:
	v_mov_b32_e32 v2, s81
	global_store_byte v[6:7], v2, off
	s_mov_b64 s[22:23], 0
.LBB95_109:
	s_andn2_b64 vcc, exec, s[22:23]
	s_cbranch_vccnz .LBB95_111
; %bb.110:
	v_mov_b32_e32 v2, s81
	global_store_byte v[6:7], v2, off
.LBB95_111:
	s_branch .LBB95_25
.LBB95_112:
	s_mov_b64 s[22:23], 0
                                        ; implicit-def: $vgpr8
.LBB95_113:
	s_and_b64 s[66:67], s[20:21], exec
	s_orn2_b64 s[22:23], s[22:23], exec
.LBB95_114:
	s_or_b64 exec, exec, s[68:69]
	s_mov_b64 s[20:21], 0
                                        ; implicit-def: $vgpr6_vgpr7
	s_and_saveexec_b64 s[68:69], s[22:23]
	s_cbranch_execz .LBB95_121
; %bb.115:
	v_cmp_gt_i32_e32 vcc, s83, v8
	s_mov_b64 s[20:21], -1
	s_mov_b64 s[70:71], s[66:67]
	s_and_saveexec_b64 s[72:73], vcc
	s_cbranch_execz .LBB95_232
; %bb.116:
	s_andn2_b64 vcc, exec, s[44:45]
	s_cbranch_vccnz .LBB95_124
; %bb.117:
	s_andn2_b64 vcc, exec, s[64:65]
	s_cbranch_vccnz .LBB95_125
; %bb.118:
	s_add_i32 s77, s84, 1
	s_cmp_eq_u32 s80, 2
	s_cbranch_scc1 .LBB95_126
; %bb.119:
	s_and_b32 s76, s77, 28
	s_mov_b32 s78, 0
	v_mov_b32_e32 v2, 0
	s_mov_b64 s[70:71], s[34:35]
	s_mov_b64 s[74:75], s[62:63]
	v_mov_b32_e32 v3, v8
.LBB95_120:                             ; =>This Inner Loop Header: Depth=1
	s_load_dwordx8 s[20:27], s[70:71], 0x4
	s_load_dwordx4 s[36:39], s[70:71], 0x24
	s_load_dwordx4 s[40:43], s[74:75], 0x0
	s_add_u32 s70, s70, 48
	s_addc_u32 s71, s71, 0
	s_waitcnt lgkmcnt(0)
	v_mul_hi_u32 v5, s21, v3
	s_add_i32 s78, s78, 4
	s_add_u32 s74, s74, 16
	s_addc_u32 s75, s75, 0
	v_add_u32_e32 v5, v3, v5
	v_lshrrev_b32_e32 v5, s22, v5
	v_mul_lo_u32 v6, v5, s20
	v_mul_hi_u32 v7, s24, v5
	s_cmp_eq_u32 s76, s78
	v_sub_u32_e32 v3, v3, v6
	v_add_u32_e32 v6, v5, v7
	v_lshrrev_b32_e32 v6, s25, v6
	v_mul_lo_u32 v7, v3, s40
	v_mul_hi_u32 v3, s27, v6
	v_mul_lo_u32 v23, v6, s23
	v_add_u32_e32 v3, v6, v3
	v_lshrrev_b32_e32 v22, s36, v3
	v_mul_hi_u32 v3, s38, v22
	v_sub_u32_e32 v5, v5, v23
	v_mul_lo_u32 v23, v22, s26
	v_mul_lo_u32 v5, v5, s41
	v_add_u32_e32 v3, v22, v3
	v_lshrrev_b32_e32 v3, s39, v3
	v_mul_lo_u32 v24, v3, s37
	v_sub_u32_e32 v6, v6, v23
	v_mul_lo_u32 v6, v6, s42
	v_add3_u32 v2, v7, v2, v5
	v_sub_u32_e32 v22, v22, v24
	v_mul_lo_u32 v22, v22, s43
	v_add3_u32 v2, v6, v2, v22
	s_cbranch_scc0 .LBB95_120
	s_branch .LBB95_127
.LBB95_121:
	s_or_b64 exec, exec, s[68:69]
	s_mov_b64 s[0:1], 0
	s_and_saveexec_b64 s[2:3], s[66:67]
	s_cbranch_execnz .LBB95_422
.LBB95_122:
	s_or_b64 exec, exec, s[2:3]
	s_and_saveexec_b64 s[2:3], s[72:73]
	s_xor_b64 s[2:3], exec, s[2:3]
	s_cbranch_execz .LBB95_423
.LBB95_123:
	v_mov_b32_e32 v2, s81
	global_store_byte v[6:7], v2, off
	s_or_b64 exec, exec, s[2:3]
	s_and_saveexec_b64 s[2:3], s[20:21]
	s_xor_b64 s[2:3], exec, s[2:3]
	s_cbranch_execz .LBB95_461
	s_branch .LBB95_424
.LBB95_124:
                                        ; implicit-def: $vgpr2
	s_andn2_b64 vcc, exec, s[20:21]
	s_cbranch_vccz .LBB95_131
	s_branch .LBB95_133
.LBB95_125:
	v_mov_b32_e32 v2, 0
	s_branch .LBB95_130
.LBB95_126:
	v_mov_b32_e32 v2, 0
	s_mov_b32 s76, 0
	v_mov_b32_e32 v3, v8
.LBB95_127:
	s_and_b32 s24, s77, 3
	s_cmp_eq_u32 s24, 0
	s_cbranch_scc1 .LBB95_130
; %bb.128:
	s_lshl_b32 s20, s76, 2
	s_add_u32 s20, s34, s20
	s_addc_u32 s21, s35, 0
	s_add_u32 s20, s20, 0xc4
	s_addc_u32 s21, s21, 0
	s_mul_i32 s22, s76, 12
	s_add_u32 s22, s34, s22
	s_addc_u32 s23, s35, 0
.LBB95_129:                             ; =>This Inner Loop Header: Depth=1
	s_load_dwordx2 s[26:27], s[22:23], 0x4
	s_load_dword s25, s[22:23], 0xc
	s_add_u32 s22, s22, 12
	s_addc_u32 s23, s23, 0
	s_waitcnt lgkmcnt(0)
	v_mul_hi_u32 v5, s27, v3
	s_load_dword s27, s[20:21], 0x0
	s_add_u32 s20, s20, 4
	s_addc_u32 s21, s21, 0
	v_add_u32_e32 v5, v3, v5
	v_lshrrev_b32_e32 v5, s25, v5
	v_mul_lo_u32 v6, v5, s26
	s_add_i32 s24, s24, -1
	s_cmp_lg_u32 s24, 0
	v_sub_u32_e32 v3, v3, v6
	s_waitcnt lgkmcnt(0)
	v_mad_u64_u32 v[2:3], s[26:27], v3, s27, v[2:3]
	v_mov_b32_e32 v3, v5
	s_cbranch_scc1 .LBB95_129
.LBB95_130:
	s_cbranch_execnz .LBB95_133
.LBB95_131:
	v_mul_hi_u32 v2, s29, v8
	s_andn2_b64 vcc, exec, s[60:61]
	v_add_u32_e32 v2, v8, v2
	v_lshrrev_b32_e32 v3, s30, v2
	v_mul_lo_u32 v2, v3, s28
	v_sub_u32_e32 v2, v8, v2
	v_mul_lo_u32 v2, v2, s56
	s_cbranch_vccnz .LBB95_133
; %bb.132:
	v_mul_hi_u32 v5, s58, v3
	v_add_u32_e32 v5, v3, v5
	v_lshrrev_b32_e32 v5, s59, v5
	v_mul_lo_u32 v5, v5, s31
	v_sub_u32_e32 v3, v3, v5
	v_mad_u64_u32 v[2:3], s[20:21], v3, s57, v[2:3]
.LBB95_133:
	v_mov_b32_e32 v3, s55
	s_and_b32 s26, 0xffff, s82
	v_add_co_u32_e32 v6, vcc, s54, v2
	s_cmp_lt_i32 s26, 11
	v_addc_co_u32_e32 v7, vcc, 0, v3, vcc
	s_cbranch_scc1 .LBB95_140
; %bb.134:
	s_cmp_gt_i32 s26, 25
	s_cbranch_scc0 .LBB95_143
; %bb.135:
	s_cmp_gt_i32 s26, 28
	s_cbranch_scc0 .LBB95_144
	;; [unrolled: 3-line block ×4, first 2 shown]
; %bb.138:
	s_mov_b64 s[24:25], 0
	s_mov_b64 s[20:21], -1
	s_cmp_eq_u32 s26, 46
	s_mov_b64 s[22:23], 0
	s_cbranch_scc0 .LBB95_147
; %bb.139:
	global_store_dword v[6:7], v10, off
	s_mov_b64 s[22:23], -1
	s_mov_b64 s[20:21], 0
	s_branch .LBB95_147
.LBB95_140:
	s_mov_b64 s[22:23], 0
	s_mov_b64 s[20:21], s[66:67]
	s_cbranch_execnz .LBB95_192
.LBB95_141:
	s_andn2_b64 vcc, exec, s[22:23]
	s_cbranch_vccnz .LBB95_230
.LBB95_142:
	v_add_u32_e32 v8, 0x80, v8
	s_mov_b64 s[22:23], -1
	s_branch .LBB95_231
.LBB95_143:
	s_mov_b64 s[24:25], -1
	s_mov_b64 s[22:23], 0
	s_mov_b64 s[20:21], s[66:67]
	s_branch .LBB95_169
.LBB95_144:
	s_mov_b64 s[24:25], -1
	s_mov_b64 s[22:23], 0
	s_mov_b64 s[20:21], s[66:67]
	s_branch .LBB95_155
.LBB95_145:
	s_mov_b64 s[24:25], -1
	s_mov_b64 s[22:23], 0
	s_mov_b64 s[20:21], s[66:67]
	s_branch .LBB95_151
.LBB95_146:
	s_mov_b64 s[24:25], -1
	s_mov_b64 s[22:23], 0
	s_mov_b64 s[20:21], s[66:67]
.LBB95_147:
	s_and_b64 vcc, exec, s[24:25]
	s_cbranch_vccz .LBB95_150
; %bb.148:
	s_cmp_eq_u32 s26, 44
	s_mov_b64 s[20:21], -1
	s_cbranch_scc0 .LBB95_150
; %bb.149:
	v_mov_b32_e32 v2, 0xffff
	v_cndmask_b32_e64 v2, v21, v2, s[16:17]
	s_mov_b64 s[22:23], -1
	s_mov_b64 s[20:21], 0
	global_store_byte v[6:7], v2, off
.LBB95_150:
	s_mov_b64 s[24:25], 0
.LBB95_151:
	s_and_b64 vcc, exec, s[24:25]
	s_cbranch_vccz .LBB95_154
; %bb.152:
	s_cmp_eq_u32 s26, 29
	s_mov_b64 s[20:21], -1
	s_cbranch_scc0 .LBB95_154
; %bb.153:
	v_mov_b32_e32 v2, s48
	v_mov_b32_e32 v3, s49
	global_store_dwordx2 v[6:7], v[2:3], off
	s_mov_b64 s[22:23], -1
	s_mov_b64 s[20:21], 0
.LBB95_154:
	s_mov_b64 s[24:25], 0
.LBB95_155:
	s_and_b64 vcc, exec, s[24:25]
	s_cbranch_vccz .LBB95_168
; %bb.156:
	s_cmp_lt_i32 s26, 27
	s_mov_b64 s[22:23], -1
	s_cbranch_scc1 .LBB95_162
; %bb.157:
	s_cmp_gt_i32 s26, 27
	s_cbranch_scc0 .LBB95_159
; %bb.158:
	v_mov_b32_e32 v2, s48
	s_mov_b64 s[22:23], 0
	global_store_dword v[6:7], v2, off
.LBB95_159:
	s_andn2_b64 vcc, exec, s[22:23]
	s_cbranch_vccnz .LBB95_161
; %bb.160:
	v_mov_b32_e32 v2, s48
	global_store_short v[6:7], v2, off
.LBB95_161:
	s_mov_b64 s[22:23], 0
.LBB95_162:
	s_andn2_b64 vcc, exec, s[22:23]
	s_cbranch_vccnz .LBB95_167
; %bb.163:
	s_andn2_b64 vcc, exec, s[14:15]
	v_mov_b32_e32 v2, 0x80
	s_cbranch_vccnz .LBB95_166
; %bb.164:
	s_or_b64 s[22:23], s[12:13], s[52:53]
	s_andn2_b64 vcc, exec, s[22:23]
	v_mov_b32_e32 v2, 0
	s_cbranch_vccnz .LBB95_166
; %bb.165:
	v_cndmask_b32_e64 v2, v20, v19, s[12:13]
.LBB95_166:
	global_store_byte v[6:7], v2, off
.LBB95_167:
	s_mov_b64 s[22:23], -1
.LBB95_168:
	s_mov_b64 s[24:25], 0
.LBB95_169:
	s_and_b64 vcc, exec, s[24:25]
	s_cbranch_vccz .LBB95_191
; %bb.170:
	s_cmp_gt_i32 s26, 22
	s_mov_b64 s[24:25], -1
	s_cbranch_scc0 .LBB95_183
; %bb.171:
	s_cmp_lt_i32 s26, 24
	s_mov_b64 s[22:23], -1
	s_cbranch_scc1 .LBB95_180
; %bb.172:
	s_cmp_gt_i32 s26, 24
	s_cbranch_scc0 .LBB95_177
; %bb.173:
	s_andn2_b64 vcc, exec, s[10:11]
	v_mov_b32_e32 v2, 0x80
	s_cbranch_vccnz .LBB95_176
; %bb.174:
	s_or_b64 s[22:23], s[8:9], s[50:51]
	s_andn2_b64 vcc, exec, s[22:23]
	v_mov_b32_e32 v2, 0
	s_cbranch_vccnz .LBB95_176
; %bb.175:
	v_cndmask_b32_e64 v2, v17, v16, s[8:9]
.LBB95_176:
	s_mov_b64 s[22:23], 0
	global_store_byte v[6:7], v2, off
.LBB95_177:
	s_and_b64 vcc, exec, s[22:23]
	s_cbranch_vccz .LBB95_179
; %bb.178:
	v_cndmask_b32_e64 v2, v14, v15, s[6:7]
	v_cndmask_b32_e64 v2, v2, v18, s[4:5]
	global_store_byte v[6:7], v2, off
.LBB95_179:
	s_mov_b64 s[22:23], 0
.LBB95_180:
	s_andn2_b64 vcc, exec, s[22:23]
	s_cbranch_vccnz .LBB95_182
; %bb.181:
	v_cndmask_b32_e64 v2, v11, v12, s[2:3]
	v_cndmask_b32_e64 v2, v2, v13, s[0:1]
	global_store_byte v[6:7], v2, off
.LBB95_182:
	s_mov_b64 s[24:25], 0
	s_mov_b64 s[22:23], -1
.LBB95_183:
	s_andn2_b64 vcc, exec, s[24:25]
	s_cbranch_vccnz .LBB95_191
; %bb.184:
	s_cmp_gt_i32 s26, 14
	s_mov_b64 s[24:25], -1
	s_cbranch_scc0 .LBB95_188
; %bb.185:
	s_cmp_eq_u32 s26, 15
	s_mov_b64 s[20:21], -1
	s_cbranch_scc0 .LBB95_187
; %bb.186:
	global_store_short v[6:7], v10, off
	s_mov_b64 s[22:23], -1
	s_mov_b64 s[20:21], 0
.LBB95_187:
	s_mov_b64 s[24:25], 0
.LBB95_188:
	s_and_b64 vcc, exec, s[24:25]
	s_cbranch_vccz .LBB95_191
; %bb.189:
	s_cmp_eq_u32 s26, 11
	s_mov_b64 s[20:21], -1
	s_cbranch_scc0 .LBB95_191
; %bb.190:
	v_mov_b32_e32 v2, s81
	s_mov_b64 s[22:23], -1
	s_mov_b64 s[20:21], 0
	global_store_byte v[6:7], v2, off
.LBB95_191:
	s_branch .LBB95_141
.LBB95_192:
	s_cmp_lt_i32 s26, 5
	s_mov_b64 s[22:23], -1
	s_cbranch_scc1 .LBB95_213
; %bb.193:
	s_cmp_lt_i32 s26, 8
	s_cbranch_scc1 .LBB95_203
; %bb.194:
	s_cmp_lt_i32 s26, 9
	s_cbranch_scc1 .LBB95_200
; %bb.195:
	s_cmp_gt_i32 s26, 9
	s_cbranch_scc0 .LBB95_197
; %bb.196:
	v_mov_b32_e32 v2, 0
	v_mov_b32_e32 v3, v2
	s_mov_b64 s[22:23], 0
	global_store_dwordx4 v[6:7], v[0:3], off
.LBB95_197:
	s_andn2_b64 vcc, exec, s[22:23]
	s_cbranch_vccnz .LBB95_199
; %bb.198:
	v_mov_b32_e32 v5, 0
	global_store_dwordx2 v[6:7], v[4:5], off
.LBB95_199:
	s_mov_b64 s[22:23], 0
.LBB95_200:
	s_andn2_b64 vcc, exec, s[22:23]
	s_cbranch_vccnz .LBB95_202
; %bb.201:
	global_store_dword v[6:7], v9, off
.LBB95_202:
	s_mov_b64 s[22:23], 0
.LBB95_203:
	s_andn2_b64 vcc, exec, s[22:23]
	s_cbranch_vccnz .LBB95_212
; %bb.204:
	s_cmp_lt_i32 s26, 6
	s_mov_b64 s[22:23], -1
	s_cbranch_scc1 .LBB95_210
; %bb.205:
	s_cmp_gt_i32 s26, 6
	s_cbranch_scc0 .LBB95_207
; %bb.206:
	s_mov_b64 s[22:23], 0
	global_store_dwordx2 v[6:7], v[0:1], off
.LBB95_207:
	s_andn2_b64 vcc, exec, s[22:23]
	s_cbranch_vccnz .LBB95_209
; %bb.208:
	global_store_dword v[6:7], v4, off
.LBB95_209:
	s_mov_b64 s[22:23], 0
.LBB95_210:
	s_andn2_b64 vcc, exec, s[22:23]
	s_cbranch_vccnz .LBB95_212
; %bb.211:
	global_store_short v[6:7], v9, off
.LBB95_212:
	s_mov_b64 s[22:23], 0
.LBB95_213:
	s_andn2_b64 vcc, exec, s[22:23]
	s_cbranch_vccnz .LBB95_229
; %bb.214:
	s_cmp_lt_i32 s26, 2
	s_mov_b64 s[22:23], -1
	s_cbranch_scc1 .LBB95_224
; %bb.215:
	s_cmp_lt_i32 s26, 3
	s_cbranch_scc1 .LBB95_221
; %bb.216:
	s_cmp_gt_i32 s26, 3
	s_cbranch_scc0 .LBB95_218
; %bb.217:
	v_mov_b32_e32 v2, s48
	v_mov_b32_e32 v3, s49
	s_mov_b64 s[22:23], 0
	global_store_dwordx2 v[6:7], v[2:3], off
.LBB95_218:
	s_andn2_b64 vcc, exec, s[22:23]
	s_cbranch_vccnz .LBB95_220
; %bb.219:
	v_mov_b32_e32 v2, s48
	global_store_dword v[6:7], v2, off
.LBB95_220:
	s_mov_b64 s[22:23], 0
.LBB95_221:
	s_andn2_b64 vcc, exec, s[22:23]
	s_cbranch_vccnz .LBB95_223
; %bb.222:
	v_mov_b32_e32 v2, s48
	global_store_short v[6:7], v2, off
.LBB95_223:
	s_mov_b64 s[22:23], 0
.LBB95_224:
	s_andn2_b64 vcc, exec, s[22:23]
	s_cbranch_vccnz .LBB95_229
; %bb.225:
	s_cmp_gt_i32 s26, 0
	s_mov_b64 s[22:23], -1
	s_cbranch_scc0 .LBB95_227
; %bb.226:
	v_mov_b32_e32 v2, s81
	s_mov_b64 s[22:23], 0
	global_store_byte v[6:7], v2, off
.LBB95_227:
	s_andn2_b64 vcc, exec, s[22:23]
	s_cbranch_vccnz .LBB95_229
; %bb.228:
	v_mov_b32_e32 v2, s81
	global_store_byte v[6:7], v2, off
.LBB95_229:
	s_branch .LBB95_142
.LBB95_230:
	s_mov_b64 s[22:23], 0
                                        ; implicit-def: $vgpr8
.LBB95_231:
	s_andn2_b64 s[24:25], s[66:67], exec
	s_and_b64 s[20:21], s[20:21], exec
	s_or_b64 s[70:71], s[24:25], s[20:21]
	s_orn2_b64 s[20:21], s[22:23], exec
.LBB95_232:
	s_or_b64 exec, exec, s[72:73]
	s_mov_b64 s[22:23], 0
	s_mov_b64 s[24:25], 0
                                        ; implicit-def: $vgpr6_vgpr7
	s_and_saveexec_b64 s[72:73], s[20:21]
	s_cbranch_execz .LBB95_421
; %bb.233:
	v_cmp_gt_i32_e32 vcc, s83, v8
	s_mov_b64 s[22:23], -1
	s_mov_b64 s[76:77], s[70:71]
	s_and_saveexec_b64 s[74:75], vcc
	s_cbranch_execz .LBB95_349
; %bb.234:
	s_andn2_b64 vcc, exec, s[44:45]
	s_cbranch_vccnz .LBB95_239
; %bb.235:
	s_andn2_b64 vcc, exec, s[64:65]
	s_cbranch_vccnz .LBB95_240
; %bb.236:
	s_add_i32 s86, s84, 1
	s_cmp_eq_u32 s80, 2
	s_cbranch_scc1 .LBB95_241
; %bb.237:
	s_and_b32 s85, s86, 28
	s_mov_b32 s87, 0
	v_mov_b32_e32 v2, 0
	s_mov_b64 s[76:77], s[34:35]
	s_mov_b64 s[78:79], s[62:63]
	v_mov_b32_e32 v3, v8
.LBB95_238:                             ; =>This Inner Loop Header: Depth=1
	s_load_dwordx8 s[20:27], s[76:77], 0x4
	s_load_dwordx4 s[36:39], s[76:77], 0x24
	s_load_dwordx4 s[40:43], s[78:79], 0x0
	s_add_u32 s76, s76, 48
	s_addc_u32 s77, s77, 0
	s_waitcnt lgkmcnt(0)
	v_mul_hi_u32 v5, s21, v3
	s_add_i32 s87, s87, 4
	s_add_u32 s78, s78, 16
	s_addc_u32 s79, s79, 0
	v_add_u32_e32 v5, v3, v5
	v_lshrrev_b32_e32 v5, s22, v5
	v_mul_lo_u32 v6, v5, s20
	v_mul_hi_u32 v7, s24, v5
	s_cmp_eq_u32 s85, s87
	v_sub_u32_e32 v3, v3, v6
	v_add_u32_e32 v6, v5, v7
	v_lshrrev_b32_e32 v6, s25, v6
	v_mul_lo_u32 v7, v3, s40
	v_mul_hi_u32 v3, s27, v6
	v_mul_lo_u32 v23, v6, s23
	v_add_u32_e32 v3, v6, v3
	v_lshrrev_b32_e32 v22, s36, v3
	v_mul_hi_u32 v3, s38, v22
	v_sub_u32_e32 v5, v5, v23
	v_mul_lo_u32 v23, v22, s26
	v_mul_lo_u32 v5, v5, s41
	v_add_u32_e32 v3, v22, v3
	v_lshrrev_b32_e32 v3, s39, v3
	v_mul_lo_u32 v24, v3, s37
	v_sub_u32_e32 v6, v6, v23
	v_mul_lo_u32 v6, v6, s42
	v_add3_u32 v2, v7, v2, v5
	v_sub_u32_e32 v22, v22, v24
	v_mul_lo_u32 v22, v22, s43
	v_add3_u32 v2, v6, v2, v22
	s_cbranch_scc0 .LBB95_238
	s_branch .LBB95_242
.LBB95_239:
	s_mov_b64 s[20:21], -1
                                        ; implicit-def: $vgpr2
	s_branch .LBB95_246
.LBB95_240:
	v_mov_b32_e32 v2, 0
	s_branch .LBB95_245
.LBB95_241:
	v_mov_b32_e32 v2, 0
	s_mov_b32 s85, 0
	v_mov_b32_e32 v3, v8
.LBB95_242:
	s_and_b32 s24, s86, 3
	s_cmp_eq_u32 s24, 0
	s_cbranch_scc1 .LBB95_245
; %bb.243:
	s_lshl_b32 s20, s85, 2
	s_add_u32 s20, s34, s20
	s_addc_u32 s21, s35, 0
	s_add_u32 s20, s20, 0xc4
	s_addc_u32 s21, s21, 0
	s_mul_i32 s22, s85, 12
	s_add_u32 s22, s34, s22
	s_addc_u32 s23, s35, 0
.LBB95_244:                             ; =>This Inner Loop Header: Depth=1
	s_load_dwordx2 s[26:27], s[22:23], 0x4
	s_load_dword s25, s[22:23], 0xc
	s_add_u32 s22, s22, 12
	s_addc_u32 s23, s23, 0
	s_waitcnt lgkmcnt(0)
	v_mul_hi_u32 v5, s27, v3
	s_load_dword s27, s[20:21], 0x0
	s_add_u32 s20, s20, 4
	s_addc_u32 s21, s21, 0
	v_add_u32_e32 v5, v3, v5
	v_lshrrev_b32_e32 v5, s25, v5
	v_mul_lo_u32 v6, v5, s26
	s_add_i32 s24, s24, -1
	s_cmp_lg_u32 s24, 0
	v_sub_u32_e32 v3, v3, v6
	s_waitcnt lgkmcnt(0)
	v_mad_u64_u32 v[2:3], s[26:27], v3, s27, v[2:3]
	v_mov_b32_e32 v3, v5
	s_cbranch_scc1 .LBB95_244
.LBB95_245:
	s_mov_b64 s[20:21], 0
.LBB95_246:
	s_andn2_b64 vcc, exec, s[20:21]
	s_cbranch_vccnz .LBB95_249
; %bb.247:
	v_mul_hi_u32 v2, s29, v8
	s_andn2_b64 vcc, exec, s[60:61]
	v_add_u32_e32 v2, v8, v2
	v_lshrrev_b32_e32 v3, s30, v2
	v_mul_lo_u32 v2, v3, s28
	v_sub_u32_e32 v2, v8, v2
	v_mul_lo_u32 v2, v2, s56
	s_cbranch_vccnz .LBB95_249
; %bb.248:
	v_mul_hi_u32 v5, s58, v3
	v_add_u32_e32 v5, v3, v5
	v_lshrrev_b32_e32 v5, s59, v5
	v_mul_lo_u32 v5, v5, s31
	v_sub_u32_e32 v3, v3, v5
	v_mad_u64_u32 v[2:3], s[20:21], v3, s57, v[2:3]
.LBB95_249:
	v_mov_b32_e32 v3, s55
	s_and_b32 s26, 0xffff, s82
	v_add_co_u32_e32 v6, vcc, s54, v2
	s_cmp_lt_i32 s26, 11
	v_addc_co_u32_e32 v7, vcc, 0, v3, vcc
	s_cbranch_scc1 .LBB95_256
; %bb.250:
	s_cmp_gt_i32 s26, 25
	s_cbranch_scc0 .LBB95_257
; %bb.251:
	s_cmp_gt_i32 s26, 28
	s_cbranch_scc0 .LBB95_258
	;; [unrolled: 3-line block ×4, first 2 shown]
; %bb.254:
	s_mov_b64 s[24:25], 0
	s_mov_b64 s[20:21], -1
	s_cmp_eq_u32 s26, 46
	s_mov_b64 s[22:23], 0
	s_cbranch_scc0 .LBB95_261
; %bb.255:
	global_store_dword v[6:7], v10, off
	s_mov_b64 s[22:23], -1
	s_mov_b64 s[20:21], 0
	s_branch .LBB95_261
.LBB95_256:
	s_mov_b64 s[24:25], -1
	s_mov_b64 s[22:23], 0
	s_mov_b64 s[20:21], s[70:71]
	s_branch .LBB95_306
.LBB95_257:
	s_mov_b64 s[24:25], -1
	s_mov_b64 s[22:23], 0
	s_mov_b64 s[20:21], s[70:71]
	s_branch .LBB95_283
.LBB95_258:
	s_mov_b64 s[24:25], -1
	s_mov_b64 s[22:23], 0
	s_mov_b64 s[20:21], s[70:71]
	s_branch .LBB95_269
.LBB95_259:
	s_mov_b64 s[24:25], -1
	s_mov_b64 s[22:23], 0
	s_mov_b64 s[20:21], s[70:71]
	s_branch .LBB95_265
.LBB95_260:
	s_mov_b64 s[24:25], -1
	s_mov_b64 s[22:23], 0
	s_mov_b64 s[20:21], s[70:71]
.LBB95_261:
	s_and_b64 vcc, exec, s[24:25]
	s_cbranch_vccz .LBB95_264
; %bb.262:
	s_cmp_eq_u32 s26, 44
	s_mov_b64 s[20:21], -1
	s_cbranch_scc0 .LBB95_264
; %bb.263:
	v_mov_b32_e32 v2, 0xffff
	v_cndmask_b32_e64 v2, v21, v2, s[16:17]
	s_mov_b64 s[22:23], -1
	s_mov_b64 s[20:21], 0
	global_store_byte v[6:7], v2, off
.LBB95_264:
	s_mov_b64 s[24:25], 0
.LBB95_265:
	s_and_b64 vcc, exec, s[24:25]
	s_cbranch_vccz .LBB95_268
; %bb.266:
	s_cmp_eq_u32 s26, 29
	s_mov_b64 s[20:21], -1
	s_cbranch_scc0 .LBB95_268
; %bb.267:
	v_mov_b32_e32 v2, s48
	v_mov_b32_e32 v3, s49
	global_store_dwordx2 v[6:7], v[2:3], off
	s_mov_b64 s[22:23], -1
	s_mov_b64 s[20:21], 0
.LBB95_268:
	s_mov_b64 s[24:25], 0
.LBB95_269:
	s_and_b64 vcc, exec, s[24:25]
	s_cbranch_vccz .LBB95_282
; %bb.270:
	s_cmp_lt_i32 s26, 27
	s_mov_b64 s[22:23], -1
	s_cbranch_scc1 .LBB95_276
; %bb.271:
	s_cmp_gt_i32 s26, 27
	s_cbranch_scc0 .LBB95_273
; %bb.272:
	v_mov_b32_e32 v2, s48
	s_mov_b64 s[22:23], 0
	global_store_dword v[6:7], v2, off
.LBB95_273:
	s_andn2_b64 vcc, exec, s[22:23]
	s_cbranch_vccnz .LBB95_275
; %bb.274:
	v_mov_b32_e32 v2, s48
	global_store_short v[6:7], v2, off
.LBB95_275:
	s_mov_b64 s[22:23], 0
.LBB95_276:
	s_andn2_b64 vcc, exec, s[22:23]
	s_cbranch_vccnz .LBB95_281
; %bb.277:
	s_andn2_b64 vcc, exec, s[14:15]
	v_mov_b32_e32 v2, 0x80
	s_cbranch_vccnz .LBB95_280
; %bb.278:
	s_or_b64 s[22:23], s[12:13], s[52:53]
	s_andn2_b64 vcc, exec, s[22:23]
	v_mov_b32_e32 v2, 0
	s_cbranch_vccnz .LBB95_280
; %bb.279:
	v_cndmask_b32_e64 v2, v20, v19, s[12:13]
.LBB95_280:
	global_store_byte v[6:7], v2, off
.LBB95_281:
	s_mov_b64 s[22:23], -1
.LBB95_282:
	s_mov_b64 s[24:25], 0
.LBB95_283:
	s_and_b64 vcc, exec, s[24:25]
	s_cbranch_vccz .LBB95_305
; %bb.284:
	s_cmp_gt_i32 s26, 22
	s_mov_b64 s[24:25], -1
	s_cbranch_scc0 .LBB95_297
; %bb.285:
	s_cmp_lt_i32 s26, 24
	s_mov_b64 s[22:23], -1
	s_cbranch_scc1 .LBB95_294
; %bb.286:
	s_cmp_gt_i32 s26, 24
	s_cbranch_scc0 .LBB95_291
; %bb.287:
	s_andn2_b64 vcc, exec, s[10:11]
	v_mov_b32_e32 v2, 0x80
	s_cbranch_vccnz .LBB95_290
; %bb.288:
	s_or_b64 s[22:23], s[8:9], s[50:51]
	s_andn2_b64 vcc, exec, s[22:23]
	v_mov_b32_e32 v2, 0
	s_cbranch_vccnz .LBB95_290
; %bb.289:
	v_cndmask_b32_e64 v2, v17, v16, s[8:9]
.LBB95_290:
	s_mov_b64 s[22:23], 0
	global_store_byte v[6:7], v2, off
.LBB95_291:
	s_and_b64 vcc, exec, s[22:23]
	s_cbranch_vccz .LBB95_293
; %bb.292:
	v_cndmask_b32_e64 v2, v14, v15, s[6:7]
	v_cndmask_b32_e64 v2, v2, v18, s[4:5]
	global_store_byte v[6:7], v2, off
.LBB95_293:
	s_mov_b64 s[22:23], 0
.LBB95_294:
	s_andn2_b64 vcc, exec, s[22:23]
	s_cbranch_vccnz .LBB95_296
; %bb.295:
	v_cndmask_b32_e64 v2, v11, v12, s[2:3]
	v_cndmask_b32_e64 v2, v2, v13, s[0:1]
	global_store_byte v[6:7], v2, off
.LBB95_296:
	s_mov_b64 s[24:25], 0
	s_mov_b64 s[22:23], -1
.LBB95_297:
	s_andn2_b64 vcc, exec, s[24:25]
	s_cbranch_vccnz .LBB95_305
; %bb.298:
	s_cmp_gt_i32 s26, 14
	s_mov_b64 s[24:25], -1
	s_cbranch_scc0 .LBB95_302
; %bb.299:
	s_cmp_eq_u32 s26, 15
	s_mov_b64 s[20:21], -1
	s_cbranch_scc0 .LBB95_301
; %bb.300:
	global_store_short v[6:7], v10, off
	s_mov_b64 s[22:23], -1
	s_mov_b64 s[20:21], 0
.LBB95_301:
	s_mov_b64 s[24:25], 0
.LBB95_302:
	s_and_b64 vcc, exec, s[24:25]
	s_cbranch_vccz .LBB95_305
; %bb.303:
	s_cmp_eq_u32 s26, 11
	s_mov_b64 s[20:21], -1
	s_cbranch_scc0 .LBB95_305
; %bb.304:
	v_mov_b32_e32 v2, s81
	s_mov_b64 s[22:23], -1
	s_mov_b64 s[20:21], 0
	global_store_byte v[6:7], v2, off
.LBB95_305:
	s_mov_b64 s[24:25], 0
.LBB95_306:
	s_and_b64 vcc, exec, s[24:25]
	s_cbranch_vccz .LBB95_345
; %bb.307:
	s_cmp_lt_i32 s26, 5
	s_mov_b64 s[22:23], -1
	s_cbranch_scc1 .LBB95_328
; %bb.308:
	s_cmp_lt_i32 s26, 8
	s_cbranch_scc1 .LBB95_318
; %bb.309:
	s_cmp_lt_i32 s26, 9
	s_cbranch_scc1 .LBB95_315
; %bb.310:
	s_cmp_gt_i32 s26, 9
	s_cbranch_scc0 .LBB95_312
; %bb.311:
	v_mov_b32_e32 v2, 0
	v_mov_b32_e32 v3, v2
	s_mov_b64 s[22:23], 0
	global_store_dwordx4 v[6:7], v[0:3], off
.LBB95_312:
	s_andn2_b64 vcc, exec, s[22:23]
	s_cbranch_vccnz .LBB95_314
; %bb.313:
	v_mov_b32_e32 v5, 0
	global_store_dwordx2 v[6:7], v[4:5], off
.LBB95_314:
	s_mov_b64 s[22:23], 0
.LBB95_315:
	s_andn2_b64 vcc, exec, s[22:23]
	s_cbranch_vccnz .LBB95_317
; %bb.316:
	global_store_dword v[6:7], v9, off
.LBB95_317:
	s_mov_b64 s[22:23], 0
.LBB95_318:
	s_andn2_b64 vcc, exec, s[22:23]
	s_cbranch_vccnz .LBB95_327
; %bb.319:
	s_cmp_lt_i32 s26, 6
	s_mov_b64 s[22:23], -1
	s_cbranch_scc1 .LBB95_325
; %bb.320:
	s_cmp_gt_i32 s26, 6
	s_cbranch_scc0 .LBB95_322
; %bb.321:
	s_mov_b64 s[22:23], 0
	global_store_dwordx2 v[6:7], v[0:1], off
.LBB95_322:
	s_andn2_b64 vcc, exec, s[22:23]
	s_cbranch_vccnz .LBB95_324
; %bb.323:
	global_store_dword v[6:7], v4, off
.LBB95_324:
	s_mov_b64 s[22:23], 0
.LBB95_325:
	s_andn2_b64 vcc, exec, s[22:23]
	s_cbranch_vccnz .LBB95_327
; %bb.326:
	global_store_short v[6:7], v9, off
.LBB95_327:
	s_mov_b64 s[22:23], 0
.LBB95_328:
	s_andn2_b64 vcc, exec, s[22:23]
	s_cbranch_vccnz .LBB95_344
; %bb.329:
	s_cmp_lt_i32 s26, 2
	s_mov_b64 s[22:23], -1
	s_cbranch_scc1 .LBB95_339
; %bb.330:
	s_cmp_lt_i32 s26, 3
	s_cbranch_scc1 .LBB95_336
; %bb.331:
	s_cmp_gt_i32 s26, 3
	s_cbranch_scc0 .LBB95_333
; %bb.332:
	v_mov_b32_e32 v2, s48
	v_mov_b32_e32 v3, s49
	s_mov_b64 s[22:23], 0
	global_store_dwordx2 v[6:7], v[2:3], off
.LBB95_333:
	s_andn2_b64 vcc, exec, s[22:23]
	s_cbranch_vccnz .LBB95_335
; %bb.334:
	v_mov_b32_e32 v2, s48
	global_store_dword v[6:7], v2, off
.LBB95_335:
	s_mov_b64 s[22:23], 0
.LBB95_336:
	s_andn2_b64 vcc, exec, s[22:23]
	s_cbranch_vccnz .LBB95_338
; %bb.337:
	v_mov_b32_e32 v2, s48
	global_store_short v[6:7], v2, off
.LBB95_338:
	s_mov_b64 s[22:23], 0
.LBB95_339:
	s_andn2_b64 vcc, exec, s[22:23]
	s_cbranch_vccnz .LBB95_344
; %bb.340:
	s_cmp_gt_i32 s26, 0
	s_mov_b64 s[22:23], -1
	s_cbranch_scc0 .LBB95_342
; %bb.341:
	v_mov_b32_e32 v2, s81
	s_mov_b64 s[22:23], 0
	global_store_byte v[6:7], v2, off
.LBB95_342:
	s_andn2_b64 vcc, exec, s[22:23]
	s_cbranch_vccnz .LBB95_344
; %bb.343:
	v_mov_b32_e32 v2, s81
	global_store_byte v[6:7], v2, off
.LBB95_344:
	s_mov_b64 s[22:23], -1
.LBB95_345:
	s_andn2_b64 vcc, exec, s[22:23]
	s_cbranch_vccnz .LBB95_347
; %bb.346:
	v_add_u32_e32 v8, 0x80, v8
	s_mov_b64 s[22:23], -1
	s_branch .LBB95_348
.LBB95_347:
	s_mov_b64 s[22:23], 0
                                        ; implicit-def: $vgpr8
.LBB95_348:
	s_andn2_b64 s[24:25], s[70:71], exec
	s_and_b64 s[20:21], s[20:21], exec
	s_or_b64 s[76:77], s[24:25], s[20:21]
	s_orn2_b64 s[22:23], s[22:23], exec
.LBB95_349:
	s_or_b64 exec, exec, s[74:75]
	s_mov_b64 s[20:21], 0
	s_mov_b64 s[26:27], 0
                                        ; implicit-def: $vgpr6_vgpr7
	s_and_saveexec_b64 s[74:75], s[22:23]
	s_cbranch_execz .LBB95_420
; %bb.350:
	v_cmp_gt_i32_e32 vcc, s83, v8
	s_mov_b64 s[22:23], 0
	s_mov_b64 s[24:25], s[76:77]
                                        ; implicit-def: $vgpr6_vgpr7
	s_and_saveexec_b64 s[78:79], vcc
	s_cbranch_execz .LBB95_419
; %bb.351:
	s_andn2_b64 vcc, exec, s[44:45]
	s_cbranch_vccnz .LBB95_356
; %bb.352:
	s_andn2_b64 vcc, exec, s[64:65]
	s_cbranch_vccnz .LBB95_357
; %bb.353:
	s_add_i32 s84, s84, 1
	s_cmp_eq_u32 s80, 2
	s_cbranch_scc1 .LBB95_358
; %bb.354:
	s_and_b32 s83, s84, 28
	s_mov_b32 s85, 0
	v_mov_b32_e32 v2, 0
	s_mov_b64 s[64:65], s[34:35]
	v_mov_b32_e32 v3, v8
.LBB95_355:                             ; =>This Inner Loop Header: Depth=1
	s_load_dwordx8 s[20:27], s[64:65], 0x4
	s_load_dwordx4 s[36:39], s[64:65], 0x24
	s_load_dwordx4 s[40:43], s[62:63], 0x0
	s_add_u32 s64, s64, 48
	s_addc_u32 s65, s65, 0
	s_waitcnt lgkmcnt(0)
	v_mul_hi_u32 v5, s21, v3
	s_add_i32 s85, s85, 4
	s_add_u32 s62, s62, 16
	s_addc_u32 s63, s63, 0
	v_add_u32_e32 v5, v3, v5
	v_lshrrev_b32_e32 v5, s22, v5
	v_mul_lo_u32 v6, v5, s20
	v_mul_hi_u32 v7, s24, v5
	s_cmp_eq_u32 s83, s85
	v_sub_u32_e32 v3, v3, v6
	v_add_u32_e32 v6, v5, v7
	v_lshrrev_b32_e32 v6, s25, v6
	v_mul_lo_u32 v7, v3, s40
	v_mul_hi_u32 v3, s27, v6
	v_mul_lo_u32 v23, v6, s23
	v_add_u32_e32 v3, v6, v3
	v_lshrrev_b32_e32 v22, s36, v3
	v_mul_hi_u32 v3, s38, v22
	v_sub_u32_e32 v5, v5, v23
	v_mul_lo_u32 v23, v22, s26
	v_mul_lo_u32 v5, v5, s41
	v_add_u32_e32 v3, v22, v3
	v_lshrrev_b32_e32 v3, s39, v3
	v_mul_lo_u32 v24, v3, s37
	v_sub_u32_e32 v6, v6, v23
	v_mul_lo_u32 v6, v6, s42
	v_add3_u32 v2, v7, v2, v5
	v_sub_u32_e32 v22, v22, v24
	v_mul_lo_u32 v22, v22, s43
	v_add3_u32 v2, v6, v2, v22
	s_cbranch_scc0 .LBB95_355
	s_branch .LBB95_359
.LBB95_356:
	s_mov_b64 s[20:21], -1
                                        ; implicit-def: $vgpr2
	s_branch .LBB95_363
.LBB95_357:
	v_mov_b32_e32 v2, 0
	s_branch .LBB95_362
.LBB95_358:
	v_mov_b32_e32 v2, 0
	s_mov_b32 s83, 0
	v_mov_b32_e32 v3, v8
.LBB95_359:
	s_and_b32 s24, s84, 3
	s_cmp_eq_u32 s24, 0
	s_cbranch_scc1 .LBB95_362
; %bb.360:
	s_lshl_b32 s20, s83, 2
	s_add_u32 s20, s34, s20
	s_addc_u32 s21, s35, 0
	s_add_u32 s20, s20, 0xc4
	s_addc_u32 s21, s21, 0
	s_mul_i32 s22, s83, 12
	s_add_u32 s22, s34, s22
	s_addc_u32 s23, s35, 0
.LBB95_361:                             ; =>This Inner Loop Header: Depth=1
	s_load_dwordx2 s[26:27], s[22:23], 0x4
	s_load_dword s25, s[22:23], 0xc
	s_add_u32 s22, s22, 12
	s_addc_u32 s23, s23, 0
	s_waitcnt lgkmcnt(0)
	v_mul_hi_u32 v5, s27, v3
	s_load_dword s27, s[20:21], 0x0
	s_add_u32 s20, s20, 4
	s_addc_u32 s21, s21, 0
	v_add_u32_e32 v5, v3, v5
	v_lshrrev_b32_e32 v5, s25, v5
	v_mul_lo_u32 v6, v5, s26
	s_add_i32 s24, s24, -1
	s_cmp_lg_u32 s24, 0
	v_sub_u32_e32 v3, v3, v6
	s_waitcnt lgkmcnt(0)
	v_mad_u64_u32 v[2:3], s[26:27], v3, s27, v[2:3]
	v_mov_b32_e32 v3, v5
	s_cbranch_scc1 .LBB95_361
.LBB95_362:
	s_mov_b64 s[20:21], 0
.LBB95_363:
	s_andn2_b64 vcc, exec, s[20:21]
	s_cbranch_vccnz .LBB95_366
; %bb.364:
	v_mul_hi_u32 v2, s29, v8
	s_andn2_b64 vcc, exec, s[60:61]
	v_add_u32_e32 v2, v8, v2
	v_lshrrev_b32_e32 v3, s30, v2
	v_mul_lo_u32 v2, v3, s28
	v_sub_u32_e32 v2, v8, v2
	v_mul_lo_u32 v2, v2, s56
	s_cbranch_vccnz .LBB95_366
; %bb.365:
	v_mul_hi_u32 v5, s58, v3
	v_add_u32_e32 v5, v3, v5
	v_lshrrev_b32_e32 v5, s59, v5
	v_mul_lo_u32 v5, v5, s31
	v_sub_u32_e32 v3, v3, v5
	v_mad_u64_u32 v[2:3], s[20:21], v3, s57, v[2:3]
.LBB95_366:
	v_mov_b32_e32 v3, s55
	s_and_b32 s24, 0xffff, s82
	v_add_co_u32_e32 v6, vcc, s54, v2
	s_cmp_lt_i32 s24, 11
	v_addc_co_u32_e32 v7, vcc, 0, v3, vcc
	s_cbranch_scc1 .LBB95_416
; %bb.367:
	s_mov_b64 s[22:23], -1
	s_cmp_gt_i32 s24, 25
	s_mov_b64 s[20:21], s[76:77]
	s_cbranch_scc0 .LBB95_395
; %bb.368:
	s_cmp_gt_i32 s24, 28
	s_mov_b64 s[20:21], s[76:77]
	s_cbranch_scc0 .LBB95_382
; %bb.369:
	;; [unrolled: 4-line block ×4, first 2 shown]
	s_cmp_eq_u32 s24, 46
	s_mov_b64 s[20:21], -1
	s_cbranch_scc0 .LBB95_373
; %bb.372:
	global_store_dword v[6:7], v10, off
	s_mov_b64 s[20:21], 0
.LBB95_373:
	s_mov_b64 s[22:23], 0
.LBB95_374:
	s_and_b64 vcc, exec, s[22:23]
	s_cbranch_vccz .LBB95_377
; %bb.375:
	s_cmp_eq_u32 s24, 44
	s_mov_b64 s[20:21], -1
	s_cbranch_scc0 .LBB95_377
; %bb.376:
	v_mov_b32_e32 v2, 0xffff
	v_cndmask_b32_e64 v2, v21, v2, s[16:17]
	global_store_byte v[6:7], v2, off
	s_mov_b64 s[20:21], 0
.LBB95_377:
	s_mov_b64 s[22:23], 0
.LBB95_378:
	s_and_b64 vcc, exec, s[22:23]
	s_cbranch_vccz .LBB95_381
; %bb.379:
	s_cmp_eq_u32 s24, 29
	s_mov_b64 s[20:21], -1
	s_cbranch_scc0 .LBB95_381
; %bb.380:
	v_mov_b32_e32 v2, s48
	v_mov_b32_e32 v3, s49
	global_store_dwordx2 v[6:7], v[2:3], off
	s_mov_b64 s[20:21], 0
.LBB95_381:
	s_mov_b64 s[22:23], 0
.LBB95_382:
	s_and_b64 vcc, exec, s[22:23]
	s_cbranch_vccz .LBB95_394
; %bb.383:
	s_cmp_lt_i32 s24, 27
	s_mov_b64 s[16:17], -1
	s_cbranch_scc1 .LBB95_389
; %bb.384:
	s_cmp_gt_i32 s24, 27
	s_cbranch_scc0 .LBB95_386
; %bb.385:
	v_mov_b32_e32 v2, s48
	s_mov_b64 s[16:17], 0
	global_store_dword v[6:7], v2, off
.LBB95_386:
	s_andn2_b64 vcc, exec, s[16:17]
	s_cbranch_vccnz .LBB95_388
; %bb.387:
	v_mov_b32_e32 v2, s48
	global_store_short v[6:7], v2, off
.LBB95_388:
	s_mov_b64 s[16:17], 0
.LBB95_389:
	s_andn2_b64 vcc, exec, s[16:17]
	s_cbranch_vccnz .LBB95_394
; %bb.390:
	s_andn2_b64 vcc, exec, s[14:15]
	v_mov_b32_e32 v2, 0x80
	s_cbranch_vccnz .LBB95_393
; %bb.391:
	s_or_b64 s[14:15], s[12:13], s[52:53]
	s_andn2_b64 vcc, exec, s[14:15]
	v_mov_b32_e32 v2, 0
	s_cbranch_vccnz .LBB95_393
; %bb.392:
	v_cndmask_b32_e64 v2, v20, v19, s[12:13]
.LBB95_393:
	global_store_byte v[6:7], v2, off
.LBB95_394:
	s_mov_b64 s[22:23], 0
.LBB95_395:
	s_mov_b64 s[12:13], 0
	s_and_b64 vcc, exec, s[22:23]
	s_cbranch_vccz .LBB95_417
; %bb.396:
	s_cmp_gt_i32 s24, 22
	s_mov_b64 s[14:15], -1
	s_cbranch_scc0 .LBB95_409
; %bb.397:
	s_cmp_lt_i32 s24, 24
	s_cbranch_scc1 .LBB95_406
; %bb.398:
	s_cmp_gt_i32 s24, 24
	s_cbranch_scc0 .LBB95_403
; %bb.399:
	s_andn2_b64 vcc, exec, s[10:11]
	v_mov_b32_e32 v2, 0x80
	s_cbranch_vccnz .LBB95_402
; %bb.400:
	s_or_b64 s[10:11], s[8:9], s[50:51]
	s_andn2_b64 vcc, exec, s[10:11]
	v_mov_b32_e32 v2, 0
	s_cbranch_vccnz .LBB95_402
; %bb.401:
	v_cndmask_b32_e64 v2, v17, v16, s[8:9]
.LBB95_402:
	s_mov_b64 s[14:15], 0
	global_store_byte v[6:7], v2, off
.LBB95_403:
	s_and_b64 vcc, exec, s[14:15]
	s_cbranch_vccz .LBB95_405
; %bb.404:
	v_cndmask_b32_e64 v2, v14, v15, s[6:7]
	v_cndmask_b32_e64 v2, v2, v18, s[4:5]
	global_store_byte v[6:7], v2, off
.LBB95_405:
	s_mov_b64 s[14:15], 0
.LBB95_406:
	s_andn2_b64 vcc, exec, s[14:15]
	s_cbranch_vccnz .LBB95_408
; %bb.407:
	v_cndmask_b32_e64 v2, v11, v12, s[2:3]
	v_cndmask_b32_e64 v2, v2, v13, s[0:1]
	global_store_byte v[6:7], v2, off
.LBB95_408:
	s_mov_b64 s[14:15], 0
.LBB95_409:
	s_andn2_b64 vcc, exec, s[14:15]
	s_mov_b64 s[0:1], 0
	s_cbranch_vccnz .LBB95_418
; %bb.410:
	s_cmp_gt_i32 s24, 14
	s_mov_b64 s[2:3], -1
	s_cbranch_scc0 .LBB95_414
; %bb.411:
	s_cmp_eq_u32 s24, 15
	s_mov_b64 s[20:21], -1
	s_cbranch_scc0 .LBB95_413
; %bb.412:
	global_store_short v[6:7], v10, off
	s_mov_b64 s[20:21], 0
.LBB95_413:
	s_mov_b64 s[2:3], 0
.LBB95_414:
	s_and_b64 vcc, exec, s[2:3]
	s_cbranch_vccz .LBB95_418
; %bb.415:
	s_cmp_lg_u32 s24, 11
	s_cselect_b64 s[2:3], -1, 0
	s_andn2_b64 s[4:5], s[20:21], exec
	s_and_b64 s[2:3], s[2:3], exec
	s_mov_b64 s[0:1], -1
	s_or_b64 s[20:21], s[4:5], s[2:3]
	s_branch .LBB95_418
.LBB95_416:
	s_mov_b64 s[0:1], 0
	s_mov_b64 s[12:13], -1
	s_mov_b64 s[20:21], s[76:77]
	s_branch .LBB95_418
.LBB95_417:
	s_mov_b64 s[0:1], 0
.LBB95_418:
	s_and_b64 s[22:23], s[0:1], exec
	s_andn2_b64 s[0:1], s[76:77], exec
	s_and_b64 s[2:3], s[20:21], exec
	s_and_b64 s[26:27], s[12:13], exec
	s_or_b64 s[24:25], s[0:1], s[2:3]
.LBB95_419:
	s_or_b64 exec, exec, s[78:79]
	s_andn2_b64 s[0:1], s[76:77], exec
	s_and_b64 s[2:3], s[24:25], exec
	s_and_b64 s[26:27], s[26:27], exec
	;; [unrolled: 1-line block ×3, first 2 shown]
	s_or_b64 s[76:77], s[0:1], s[2:3]
.LBB95_420:
	s_or_b64 exec, exec, s[74:75]
	s_andn2_b64 s[0:1], s[70:71], exec
	s_and_b64 s[2:3], s[76:77], exec
	s_and_b64 s[24:25], s[26:27], exec
	;; [unrolled: 1-line block ×3, first 2 shown]
	s_or_b64 s[70:71], s[0:1], s[2:3]
.LBB95_421:
	s_or_b64 exec, exec, s[72:73]
	s_andn2_b64 s[0:1], s[66:67], exec
	s_and_b64 s[2:3], s[70:71], exec
	s_and_b64 s[20:21], s[24:25], exec
	;; [unrolled: 1-line block ×3, first 2 shown]
	s_or_b64 s[66:67], s[0:1], s[2:3]
	s_or_b64 exec, exec, s[68:69]
	s_mov_b64 s[0:1], 0
	s_and_saveexec_b64 s[2:3], s[66:67]
	s_cbranch_execz .LBB95_122
.LBB95_422:
	s_mov_b64 s[0:1], exec
	s_andn2_b64 s[72:73], s[72:73], exec
	s_trap 2
	s_or_b64 exec, exec, s[2:3]
	s_and_saveexec_b64 s[2:3], s[72:73]
	s_xor_b64 s[2:3], exec, s[2:3]
	s_cbranch_execnz .LBB95_123
.LBB95_423:
	s_or_b64 exec, exec, s[2:3]
	s_and_saveexec_b64 s[2:3], s[20:21]
	s_xor_b64 s[2:3], exec, s[2:3]
	s_cbranch_execz .LBB95_461
.LBB95_424:
	s_sext_i32_i16 s6, s82
	s_cmp_lt_i32 s6, 5
	s_mov_b64 s[4:5], -1
	s_cbranch_scc1 .LBB95_445
; %bb.425:
	s_cmp_lt_i32 s6, 8
	s_cbranch_scc1 .LBB95_435
; %bb.426:
	s_cmp_lt_i32 s6, 9
	s_cbranch_scc1 .LBB95_432
; %bb.427:
	s_cmp_gt_i32 s6, 9
	s_cbranch_scc0 .LBB95_429
; %bb.428:
	v_mov_b32_e32 v2, 0
	v_mov_b32_e32 v3, v2
	s_mov_b64 s[4:5], 0
	global_store_dwordx4 v[6:7], v[0:3], off
.LBB95_429:
	s_andn2_b64 vcc, exec, s[4:5]
	s_cbranch_vccnz .LBB95_431
; %bb.430:
	v_mov_b32_e32 v5, 0
	global_store_dwordx2 v[6:7], v[4:5], off
.LBB95_431:
	s_mov_b64 s[4:5], 0
.LBB95_432:
	s_andn2_b64 vcc, exec, s[4:5]
	s_cbranch_vccnz .LBB95_434
; %bb.433:
	global_store_dword v[6:7], v9, off
.LBB95_434:
	s_mov_b64 s[4:5], 0
.LBB95_435:
	s_andn2_b64 vcc, exec, s[4:5]
	s_cbranch_vccnz .LBB95_444
; %bb.436:
	s_sext_i32_i16 s6, s82
	s_cmp_lt_i32 s6, 6
	s_mov_b64 s[4:5], -1
	s_cbranch_scc1 .LBB95_442
; %bb.437:
	s_cmp_gt_i32 s6, 6
	s_cbranch_scc0 .LBB95_439
; %bb.438:
	s_mov_b64 s[4:5], 0
	global_store_dwordx2 v[6:7], v[0:1], off
.LBB95_439:
	s_andn2_b64 vcc, exec, s[4:5]
	s_cbranch_vccnz .LBB95_441
; %bb.440:
	global_store_dword v[6:7], v4, off
.LBB95_441:
	s_mov_b64 s[4:5], 0
.LBB95_442:
	s_andn2_b64 vcc, exec, s[4:5]
	s_cbranch_vccnz .LBB95_444
; %bb.443:
	global_store_short v[6:7], v9, off
.LBB95_444:
	s_mov_b64 s[4:5], 0
.LBB95_445:
	s_andn2_b64 vcc, exec, s[4:5]
	s_cbranch_vccnz .LBB95_461
; %bb.446:
	s_sext_i32_i16 s6, s82
	s_cmp_lt_i32 s6, 2
	s_mov_b64 s[4:5], -1
	s_cbranch_scc1 .LBB95_456
; %bb.447:
	s_cmp_lt_i32 s6, 3
	s_cbranch_scc1 .LBB95_453
; %bb.448:
	s_cmp_gt_i32 s6, 3
	s_cbranch_scc0 .LBB95_450
; %bb.449:
	v_mov_b32_e32 v0, s48
	v_mov_b32_e32 v1, s49
	s_mov_b64 s[4:5], 0
	global_store_dwordx2 v[6:7], v[0:1], off
.LBB95_450:
	s_andn2_b64 vcc, exec, s[4:5]
	s_cbranch_vccnz .LBB95_452
; %bb.451:
	v_mov_b32_e32 v0, s48
	global_store_dword v[6:7], v0, off
.LBB95_452:
	s_mov_b64 s[4:5], 0
.LBB95_453:
	s_andn2_b64 vcc, exec, s[4:5]
	s_cbranch_vccnz .LBB95_455
; %bb.454:
	v_mov_b32_e32 v0, s48
	global_store_short v[6:7], v0, off
.LBB95_455:
	s_mov_b64 s[4:5], 0
.LBB95_456:
	s_andn2_b64 vcc, exec, s[4:5]
	s_cbranch_vccnz .LBB95_461
; %bb.457:
	s_sext_i32_i16 s4, s82
	s_cmp_gt_i32 s4, 0
	s_mov_b64 s[4:5], -1
	s_cbranch_scc0 .LBB95_459
; %bb.458:
	v_mov_b32_e32 v0, s81
	s_mov_b64 s[4:5], 0
	global_store_byte v[6:7], v0, off
.LBB95_459:
	s_andn2_b64 vcc, exec, s[4:5]
	s_cbranch_vccnz .LBB95_461
; %bb.460:
	v_mov_b32_e32 v0, s81
	global_store_byte v[6:7], v0, off
.LBB95_461:
	s_or_b64 exec, exec, s[2:3]
	s_and_b64 s[20:21], s[0:1], exec
                                        ; implicit-def: $vgpr9
                                        ; implicit-def: $vgpr8
.LBB95_462:
	s_or_saveexec_b64 s[22:23], s[46:47]
	s_mov_b64 s[4:5], 0
                                        ; implicit-def: $sgpr15
                                        ; implicit-def: $vgpr0_vgpr1
                                        ; implicit-def: $sgpr0_sgpr1
                                        ; implicit-def: $sgpr14
	s_xor_b64 exec, exec, s[22:23]
	s_cbranch_execz .LBB95_945
; %bb.463:
	v_cndmask_b32_e64 v0, 0, 1, s[44:45]
	v_cmp_ne_u32_e64 s[0:1], 1, v0
	s_andn2_b64 vcc, exec, s[44:45]
	s_cbranch_vccnz .LBB95_469
; %bb.464:
	s_cmp_lg_u32 s33, 0
	s_mov_b32 s26, 0
	s_cbranch_scc0 .LBB95_470
; %bb.465:
	s_min_u32 s27, s80, 15
	s_add_i32 s27, s27, 1
	s_cmp_eq_u32 s80, 2
	s_cbranch_scc1 .LBB95_471
; %bb.466:
	s_and_b32 s26, s27, 28
	s_add_u32 s2, s34, 0xc4
	s_addc_u32 s3, s35, 0
	s_mov_b32 s28, 0
	v_mov_b32_e32 v6, 0
	s_mov_b64 s[24:25], s[34:35]
	v_mov_b32_e32 v0, v8
.LBB95_467:                             ; =>This Inner Loop Header: Depth=1
	s_load_dwordx8 s[4:11], s[24:25], 0x4
	s_load_dwordx4 s[12:15], s[24:25], 0x24
	s_load_dwordx4 s[16:19], s[2:3], 0x0
	s_add_u32 s24, s24, 48
	s_addc_u32 s25, s25, 0
	s_waitcnt lgkmcnt(0)
	v_mul_hi_u32 v1, s5, v0
	s_add_i32 s28, s28, 4
	s_add_u32 s2, s2, 16
	s_addc_u32 s3, s3, 0
	v_add_u32_e32 v1, v0, v1
	v_lshrrev_b32_e32 v1, s6, v1
	v_mul_lo_u32 v2, v1, s4
	v_mul_hi_u32 v3, s8, v1
	s_cmp_lg_u32 s26, s28
	v_sub_u32_e32 v0, v0, v2
	v_add_u32_e32 v2, v1, v3
	v_lshrrev_b32_e32 v2, s9, v2
	v_mul_lo_u32 v3, v0, s16
	v_mul_hi_u32 v0, s11, v2
	v_mul_lo_u32 v5, v2, s7
	v_add_u32_e32 v0, v2, v0
	v_lshrrev_b32_e32 v4, s12, v0
	v_mul_hi_u32 v0, s14, v4
	v_sub_u32_e32 v1, v1, v5
	v_mul_lo_u32 v5, v4, s10
	v_mul_lo_u32 v1, v1, s17
	v_add_u32_e32 v0, v4, v0
	v_lshrrev_b32_e32 v0, s15, v0
	v_mul_lo_u32 v7, v0, s13
	v_sub_u32_e32 v2, v2, v5
	v_mul_lo_u32 v2, v2, s18
	v_add3_u32 v1, v3, v6, v1
	v_sub_u32_e32 v4, v4, v7
	v_mul_lo_u32 v4, v4, s19
	v_add3_u32 v6, v2, v1, v4
	s_cbranch_scc1 .LBB95_467
; %bb.468:
	s_and_b32 s6, s27, 3
	s_cmp_eq_u32 s6, 0
	s_cbranch_scc0 .LBB95_472
	s_branch .LBB95_474
.LBB95_469:
                                        ; implicit-def: $vgpr6
	s_branch .LBB95_475
.LBB95_470:
	v_mov_b32_e32 v6, 0
	s_branch .LBB95_474
.LBB95_471:
	v_mov_b32_e32 v6, 0
	v_mov_b32_e32 v0, v8
	s_and_b32 s6, s27, 3
	s_cmp_eq_u32 s6, 0
	s_cbranch_scc1 .LBB95_474
.LBB95_472:
	s_lshl_b32 s2, s26, 2
	s_add_u32 s2, s34, s2
	s_addc_u32 s3, s35, 0
	s_add_u32 s2, s2, 0xc4
	s_addc_u32 s3, s3, 0
	s_mul_i32 s4, s26, 12
	s_add_u32 s4, s34, s4
	s_addc_u32 s5, s35, 0
.LBB95_473:                             ; =>This Inner Loop Header: Depth=1
	s_load_dwordx2 s[8:9], s[4:5], 0x4
	s_load_dword s7, s[4:5], 0xc
	s_add_u32 s4, s4, 12
	s_addc_u32 s5, s5, 0
	s_waitcnt lgkmcnt(0)
	v_mul_hi_u32 v1, s9, v0
	s_load_dword s9, s[2:3], 0x0
	s_add_u32 s2, s2, 4
	s_addc_u32 s3, s3, 0
	v_add_u32_e32 v1, v0, v1
	v_lshrrev_b32_e32 v1, s7, v1
	v_mul_lo_u32 v2, v1, s8
	s_add_i32 s6, s6, -1
	s_cmp_lg_u32 s6, 0
	v_sub_u32_e32 v0, v0, v2
	s_waitcnt lgkmcnt(0)
	v_mad_u64_u32 v[6:7], s[8:9], v0, s9, v[6:7]
	v_mov_b32_e32 v0, v1
	s_cbranch_scc1 .LBB95_473
.LBB95_474:
	s_cbranch_execnz .LBB95_477
.LBB95_475:
	s_load_dwordx4 s[4:7], s[34:35], 0x4
	s_load_dword s2, s[34:35], 0xc4
	s_cmp_lt_u32 s33, 2
	s_waitcnt lgkmcnt(0)
	v_mul_hi_u32 v0, s5, v8
	v_add_u32_e32 v0, v8, v0
	v_lshrrev_b32_e32 v0, s6, v0
	v_mul_lo_u32 v1, v0, s4
	v_sub_u32_e32 v1, v8, v1
	v_mul_lo_u32 v6, v1, s2
	s_cbranch_scc1 .LBB95_477
; %bb.476:
	s_load_dwordx4 s[4:7], s[34:35], 0x10
	s_load_dword s2, s[34:35], 0xc8
	s_waitcnt lgkmcnt(0)
	v_mul_hi_u32 v1, s5, v0
	v_add_u32_e32 v1, v0, v1
	v_lshrrev_b32_e32 v1, s6, v1
	v_mul_lo_u32 v1, v1, s4
	v_sub_u32_e32 v0, v0, v1
	v_mad_u64_u32 v[6:7], s[2:3], v0, s2, v[6:7]
.LBB95_477:
	s_and_b64 vcc, exec, s[0:1]
	v_add_u32_e32 v0, 0x80, v8
	s_cbranch_vccnz .LBB95_483
; %bb.478:
	s_cmp_lg_u32 s33, 0
	s_mov_b32 s26, 0
	s_cbranch_scc0 .LBB95_484
; %bb.479:
	s_min_u32 s27, s80, 15
	s_add_i32 s27, s27, 1
	s_cmp_eq_u32 s80, 2
	s_cbranch_scc1 .LBB95_485
; %bb.480:
	s_and_b32 s26, s27, 28
	s_add_u32 s2, s34, 0xc4
	s_addc_u32 s3, s35, 0
	s_mov_b32 s28, 0
	v_mov_b32_e32 v4, 0
	s_mov_b64 s[24:25], s[34:35]
	v_mov_b32_e32 v1, v0
.LBB95_481:                             ; =>This Inner Loop Header: Depth=1
	s_load_dwordx8 s[4:11], s[24:25], 0x4
	s_load_dwordx4 s[12:15], s[24:25], 0x24
	s_load_dwordx4 s[16:19], s[2:3], 0x0
	s_add_u32 s24, s24, 48
	s_addc_u32 s25, s25, 0
	s_waitcnt lgkmcnt(0)
	v_mul_hi_u32 v2, s5, v1
	s_add_i32 s28, s28, 4
	s_add_u32 s2, s2, 16
	s_addc_u32 s3, s3, 0
	v_add_u32_e32 v2, v1, v2
	v_lshrrev_b32_e32 v2, s6, v2
	v_mul_lo_u32 v3, v2, s4
	v_mul_hi_u32 v5, s8, v2
	s_cmp_lg_u32 s26, s28
	v_sub_u32_e32 v1, v1, v3
	v_add_u32_e32 v3, v2, v5
	v_lshrrev_b32_e32 v3, s9, v3
	v_mul_lo_u32 v5, v1, s16
	v_mul_hi_u32 v1, s11, v3
	v_mul_lo_u32 v10, v3, s7
	v_add_u32_e32 v1, v3, v1
	v_lshrrev_b32_e32 v7, s12, v1
	v_mul_hi_u32 v1, s14, v7
	v_sub_u32_e32 v2, v2, v10
	v_mul_lo_u32 v10, v7, s10
	v_mul_lo_u32 v2, v2, s17
	v_add_u32_e32 v1, v7, v1
	v_lshrrev_b32_e32 v1, s15, v1
	v_mul_lo_u32 v11, v1, s13
	v_sub_u32_e32 v3, v3, v10
	v_mul_lo_u32 v3, v3, s18
	v_add3_u32 v2, v5, v4, v2
	v_sub_u32_e32 v7, v7, v11
	v_mul_lo_u32 v7, v7, s19
	v_add3_u32 v4, v3, v2, v7
	s_cbranch_scc1 .LBB95_481
; %bb.482:
	s_and_b32 s6, s27, 3
	s_cmp_eq_u32 s6, 0
	s_cbranch_scc0 .LBB95_486
	s_branch .LBB95_488
.LBB95_483:
                                        ; implicit-def: $vgpr4
	s_branch .LBB95_489
.LBB95_484:
	v_mov_b32_e32 v4, 0
	s_branch .LBB95_488
.LBB95_485:
	v_mov_b32_e32 v4, 0
	v_mov_b32_e32 v1, v0
	s_and_b32 s6, s27, 3
	s_cmp_eq_u32 s6, 0
	s_cbranch_scc1 .LBB95_488
.LBB95_486:
	s_lshl_b32 s2, s26, 2
	s_add_u32 s2, s34, s2
	s_addc_u32 s3, s35, 0
	s_add_u32 s2, s2, 0xc4
	s_addc_u32 s3, s3, 0
	s_mul_i32 s4, s26, 12
	s_add_u32 s4, s34, s4
	s_addc_u32 s5, s35, 0
.LBB95_487:                             ; =>This Inner Loop Header: Depth=1
	s_load_dwordx2 s[8:9], s[4:5], 0x4
	s_load_dword s7, s[4:5], 0xc
	s_add_u32 s4, s4, 12
	s_addc_u32 s5, s5, 0
	s_waitcnt lgkmcnt(0)
	v_mul_hi_u32 v2, s9, v1
	s_load_dword s9, s[2:3], 0x0
	s_add_u32 s2, s2, 4
	s_addc_u32 s3, s3, 0
	v_add_u32_e32 v2, v1, v2
	v_lshrrev_b32_e32 v2, s7, v2
	v_mul_lo_u32 v3, v2, s8
	s_add_i32 s6, s6, -1
	s_cmp_lg_u32 s6, 0
	v_sub_u32_e32 v1, v1, v3
	s_waitcnt lgkmcnt(0)
	v_mad_u64_u32 v[4:5], s[8:9], v1, s9, v[4:5]
	v_mov_b32_e32 v1, v2
	s_cbranch_scc1 .LBB95_487
.LBB95_488:
	s_cbranch_execnz .LBB95_491
.LBB95_489:
	s_load_dwordx4 s[4:7], s[34:35], 0x4
	s_load_dword s2, s[34:35], 0xc4
	s_cmp_lt_u32 s33, 2
	s_waitcnt lgkmcnt(0)
	v_mul_hi_u32 v1, s5, v0
	v_add_u32_e32 v1, v0, v1
	v_lshrrev_b32_e32 v1, s6, v1
	v_mul_lo_u32 v2, v1, s4
	v_sub_u32_e32 v0, v0, v2
	v_mul_lo_u32 v4, v0, s2
	s_cbranch_scc1 .LBB95_491
; %bb.490:
	s_load_dwordx4 s[4:7], s[34:35], 0x10
	s_load_dword s2, s[34:35], 0xc8
	s_waitcnt lgkmcnt(0)
	v_mul_hi_u32 v0, s5, v1
	v_add_u32_e32 v0, v1, v0
	v_lshrrev_b32_e32 v0, s6, v0
	v_mul_lo_u32 v0, v0, s4
	v_sub_u32_e32 v0, v1, v0
	v_mad_u64_u32 v[4:5], s[2:3], v0, s2, v[4:5]
.LBB95_491:
	s_and_b64 vcc, exec, s[0:1]
	v_add_u32_e32 v0, 0x100, v8
	s_cbranch_vccnz .LBB95_497
; %bb.492:
	s_cmp_lg_u32 s33, 0
	s_mov_b32 s26, 0
	s_cbranch_scc0 .LBB95_498
; %bb.493:
	s_min_u32 s27, s80, 15
	s_add_i32 s27, s27, 1
	s_cmp_eq_u32 s80, 2
	s_cbranch_scc1 .LBB95_499
; %bb.494:
	s_and_b32 s26, s27, 28
	s_add_u32 s2, s34, 0xc4
	s_addc_u32 s3, s35, 0
	s_mov_b32 s28, 0
	v_mov_b32_e32 v2, 0
	s_mov_b64 s[24:25], s[34:35]
	v_mov_b32_e32 v1, v0
.LBB95_495:                             ; =>This Inner Loop Header: Depth=1
	s_load_dwordx8 s[4:11], s[24:25], 0x4
	s_load_dwordx4 s[12:15], s[24:25], 0x24
	s_load_dwordx4 s[16:19], s[2:3], 0x0
	s_add_u32 s24, s24, 48
	s_addc_u32 s25, s25, 0
	s_waitcnt lgkmcnt(0)
	v_mul_hi_u32 v3, s5, v1
	s_add_i32 s28, s28, 4
	s_add_u32 s2, s2, 16
	s_addc_u32 s3, s3, 0
	v_add_u32_e32 v3, v1, v3
	v_lshrrev_b32_e32 v3, s6, v3
	v_mul_lo_u32 v5, v3, s4
	v_mul_hi_u32 v7, s8, v3
	s_cmp_lg_u32 s26, s28
	v_sub_u32_e32 v1, v1, v5
	v_add_u32_e32 v5, v3, v7
	v_lshrrev_b32_e32 v5, s9, v5
	v_mul_lo_u32 v7, v1, s16
	v_mul_hi_u32 v1, s11, v5
	v_mul_lo_u32 v10, v5, s7
	v_add_u32_e32 v1, v5, v1
	v_lshrrev_b32_e32 v8, s12, v1
	v_mul_hi_u32 v1, s14, v8
	v_sub_u32_e32 v3, v3, v10
	v_mul_lo_u32 v10, v8, s10
	v_mul_lo_u32 v3, v3, s17
	v_add_u32_e32 v1, v8, v1
	v_lshrrev_b32_e32 v1, s15, v1
	v_mul_lo_u32 v11, v1, s13
	v_sub_u32_e32 v5, v5, v10
	v_mul_lo_u32 v5, v5, s18
	v_add3_u32 v2, v7, v2, v3
	v_sub_u32_e32 v8, v8, v11
	v_mul_lo_u32 v8, v8, s19
	v_add3_u32 v2, v5, v2, v8
	s_cbranch_scc1 .LBB95_495
; %bb.496:
	s_and_b32 s6, s27, 3
	s_cmp_eq_u32 s6, 0
	s_cbranch_scc0 .LBB95_500
	s_branch .LBB95_502
.LBB95_497:
                                        ; implicit-def: $vgpr2
	s_branch .LBB95_503
.LBB95_498:
	v_mov_b32_e32 v2, 0
	s_branch .LBB95_502
.LBB95_499:
	v_mov_b32_e32 v2, 0
	v_mov_b32_e32 v1, v0
	s_and_b32 s6, s27, 3
	s_cmp_eq_u32 s6, 0
	s_cbranch_scc1 .LBB95_502
.LBB95_500:
	s_lshl_b32 s2, s26, 2
	s_add_u32 s2, s34, s2
	s_addc_u32 s3, s35, 0
	s_add_u32 s2, s2, 0xc4
	s_addc_u32 s3, s3, 0
	s_mul_i32 s4, s26, 12
	s_add_u32 s4, s34, s4
	s_addc_u32 s5, s35, 0
.LBB95_501:                             ; =>This Inner Loop Header: Depth=1
	s_load_dwordx2 s[8:9], s[4:5], 0x4
	s_load_dword s7, s[4:5], 0xc
	s_add_u32 s4, s4, 12
	s_addc_u32 s5, s5, 0
	s_waitcnt lgkmcnt(0)
	v_mul_hi_u32 v3, s9, v1
	s_load_dword s9, s[2:3], 0x0
	s_add_u32 s2, s2, 4
	s_addc_u32 s3, s3, 0
	v_add_u32_e32 v3, v1, v3
	v_lshrrev_b32_e32 v5, s7, v3
	v_mul_lo_u32 v3, v5, s8
	s_add_i32 s6, s6, -1
	s_cmp_lg_u32 s6, 0
	v_sub_u32_e32 v1, v1, v3
	s_waitcnt lgkmcnt(0)
	v_mad_u64_u32 v[2:3], s[8:9], v1, s9, v[2:3]
	v_mov_b32_e32 v1, v5
	s_cbranch_scc1 .LBB95_501
.LBB95_502:
	s_cbranch_execnz .LBB95_505
.LBB95_503:
	s_load_dwordx4 s[4:7], s[34:35], 0x4
	s_load_dword s2, s[34:35], 0xc4
	s_cmp_lt_u32 s33, 2
	s_waitcnt lgkmcnt(0)
	v_mul_hi_u32 v1, s5, v0
	v_add_u32_e32 v1, v0, v1
	v_lshrrev_b32_e32 v1, s6, v1
	v_mul_lo_u32 v2, v1, s4
	v_sub_u32_e32 v0, v0, v2
	v_mul_lo_u32 v2, v0, s2
	s_cbranch_scc1 .LBB95_505
; %bb.504:
	s_load_dwordx4 s[4:7], s[34:35], 0x10
	s_load_dword s2, s[34:35], 0xc8
	s_waitcnt lgkmcnt(0)
	v_mul_hi_u32 v0, s5, v1
	v_add_u32_e32 v0, v1, v0
	v_lshrrev_b32_e32 v0, s6, v0
	v_mul_lo_u32 v0, v0, s4
	v_sub_u32_e32 v0, v1, v0
	v_mad_u64_u32 v[2:3], s[2:3], v0, s2, v[2:3]
.LBB95_505:
	s_and_b64 vcc, exec, s[0:1]
	s_cbranch_vccnz .LBB95_511
; %bb.506:
	s_cmp_lg_u32 s33, 0
	s_mov_b32 s24, 0
	s_cbranch_scc0 .LBB95_512
; %bb.507:
	s_min_u32 s25, s80, 15
	s_add_i32 s25, s25, 1
	s_cmp_eq_u32 s80, 2
	s_cbranch_scc1 .LBB95_513
; %bb.508:
	s_and_b32 s24, s25, 28
	s_add_u32 s16, s34, 0xc4
	s_addc_u32 s17, s35, 0
	s_mov_b32 s26, 0
	v_mov_b32_e32 v0, 0
	s_mov_b64 s[18:19], s[34:35]
	v_mov_b32_e32 v1, v9
.LBB95_509:                             ; =>This Inner Loop Header: Depth=1
	s_load_dwordx8 s[0:7], s[18:19], 0x4
	s_load_dwordx4 s[8:11], s[18:19], 0x24
	s_load_dwordx4 s[12:15], s[16:17], 0x0
	s_add_u32 s18, s18, 48
	s_addc_u32 s19, s19, 0
	s_waitcnt lgkmcnt(0)
	v_mul_hi_u32 v3, s1, v1
	s_add_i32 s26, s26, 4
	s_add_u32 s16, s16, 16
	s_addc_u32 s17, s17, 0
	v_add_u32_e32 v3, v1, v3
	v_lshrrev_b32_e32 v3, s2, v3
	v_mul_lo_u32 v5, v3, s0
	v_mul_hi_u32 v7, s4, v3
	s_cmp_lg_u32 s24, s26
	v_sub_u32_e32 v1, v1, v5
	v_add_u32_e32 v5, v3, v7
	v_lshrrev_b32_e32 v5, s5, v5
	v_mul_lo_u32 v7, v1, s12
	v_mul_hi_u32 v1, s7, v5
	v_mul_lo_u32 v10, v5, s3
	v_add_u32_e32 v1, v5, v1
	v_lshrrev_b32_e32 v8, s8, v1
	v_mul_hi_u32 v1, s10, v8
	v_sub_u32_e32 v3, v3, v10
	v_mul_lo_u32 v10, v8, s6
	v_mul_lo_u32 v3, v3, s13
	v_add_u32_e32 v1, v8, v1
	v_lshrrev_b32_e32 v1, s11, v1
	v_mul_lo_u32 v11, v1, s9
	v_sub_u32_e32 v5, v5, v10
	v_mul_lo_u32 v5, v5, s14
	v_add3_u32 v0, v7, v0, v3
	v_sub_u32_e32 v8, v8, v11
	v_mul_lo_u32 v8, v8, s15
	v_add3_u32 v0, v5, v0, v8
	s_cbranch_scc1 .LBB95_509
; %bb.510:
	s_and_b32 s4, s25, 3
	s_cmp_eq_u32 s4, 0
	s_cbranch_scc0 .LBB95_514
	s_branch .LBB95_516
.LBB95_511:
                                        ; implicit-def: $vgpr0
	s_branch .LBB95_517
.LBB95_512:
	v_mov_b32_e32 v0, 0
	s_branch .LBB95_516
.LBB95_513:
	v_mov_b32_e32 v0, 0
	v_mov_b32_e32 v1, v9
	s_and_b32 s4, s25, 3
	s_cmp_eq_u32 s4, 0
	s_cbranch_scc1 .LBB95_516
.LBB95_514:
	s_lshl_b32 s0, s24, 2
	s_add_u32 s0, s34, s0
	s_addc_u32 s1, s35, 0
	s_add_u32 s0, s0, 0xc4
	s_addc_u32 s1, s1, 0
	s_mul_i32 s2, s24, 12
	s_add_u32 s2, s34, s2
	s_addc_u32 s3, s35, 0
.LBB95_515:                             ; =>This Inner Loop Header: Depth=1
	s_load_dwordx2 s[6:7], s[2:3], 0x4
	s_load_dword s5, s[2:3], 0xc
	s_add_u32 s2, s2, 12
	s_addc_u32 s3, s3, 0
	s_waitcnt lgkmcnt(0)
	v_mul_hi_u32 v3, s7, v1
	s_load_dword s7, s[0:1], 0x0
	s_add_u32 s0, s0, 4
	s_addc_u32 s1, s1, 0
	v_add_u32_e32 v3, v1, v3
	v_lshrrev_b32_e32 v3, s5, v3
	v_mul_lo_u32 v5, v3, s6
	s_add_i32 s4, s4, -1
	s_cmp_lg_u32 s4, 0
	v_sub_u32_e32 v1, v1, v5
	s_waitcnt lgkmcnt(0)
	v_mad_u64_u32 v[0:1], s[6:7], v1, s7, v[0:1]
	v_mov_b32_e32 v1, v3
	s_cbranch_scc1 .LBB95_515
.LBB95_516:
	s_cbranch_execnz .LBB95_519
.LBB95_517:
	s_load_dwordx4 s[0:3], s[34:35], 0x4
	s_waitcnt lgkmcnt(0)
	s_load_dword s3, s[34:35], 0xc4
	s_cmp_lt_u32 s33, 2
	v_mul_hi_u32 v0, s1, v9
	v_add_u32_e32 v0, v9, v0
	v_lshrrev_b32_e32 v1, s2, v0
	v_mul_lo_u32 v0, v1, s0
	v_sub_u32_e32 v0, v9, v0
	s_waitcnt lgkmcnt(0)
	v_mul_lo_u32 v0, v0, s3
	s_cbranch_scc1 .LBB95_519
; %bb.518:
	s_load_dwordx4 s[0:3], s[34:35], 0x10
	s_waitcnt lgkmcnt(0)
	s_load_dword s3, s[34:35], 0xc8
	v_mul_hi_u32 v3, s1, v1
	v_add_u32_e32 v3, v1, v3
	v_lshrrev_b32_e32 v3, s2, v3
	v_mul_lo_u32 v3, v3, s0
	v_sub_u32_e32 v1, v1, v3
	s_waitcnt lgkmcnt(0)
	v_mad_u64_u32 v[0:1], s[0:1], v1, s3, v[0:1]
.LBB95_519:
	s_load_dwordx2 s[4:5], s[34:35], 0x108
	s_load_dword s14, s[34:35], 0x110
	s_waitcnt lgkmcnt(0)
	v_mov_b32_e32 v1, s5
	s_bfe_u32 s15, s14, 0x80008
	s_bitcmp1_b32 s14, 0
	v_add_co_u32_e32 v5, vcc, s4, v6
	s_cselect_b64 s[0:1], -1, 0
	s_cmp_lt_i32 s15, 11
	v_addc_co_u32_e32 v6, vcc, 0, v1, vcc
	s_cbranch_scc1 .LBB95_547
; %bb.520:
	s_and_b32 s12, 0xffff, s15
	s_mov_b64 s[10:11], -1
	s_mov_b64 s[6:7], 0
	s_cmp_gt_i32 s12, 25
	s_mov_b64 s[8:9], 0
	s_mov_b64 s[2:3], 0
	s_cbranch_scc0 .LBB95_557
; %bb.521:
	s_cmp_gt_i32 s12, 28
	s_cbranch_scc0 .LBB95_536
; %bb.522:
	s_cmp_gt_i32 s12, 43
	;; [unrolled: 3-line block ×3, first 2 shown]
	s_cbranch_scc0 .LBB95_526
; %bb.524:
	s_mov_b64 s[2:3], -1
	s_mov_b64 s[10:11], 0
	s_cmp_eq_u32 s12, 46
	s_cbranch_scc0 .LBB95_526
; %bb.525:
	v_cndmask_b32_e64 v1, 0, 1.0, s[0:1]
	v_bfe_u32 v3, v1, 16, 1
	v_add_u32_e32 v1, v1, v3
	v_add_u32_e32 v1, 0x7fff, v1
	v_lshrrev_b32_e32 v1, 16, v1
	global_store_dword v[5:6], v1, off
	s_mov_b64 s[2:3], 0
	s_mov_b64 s[8:9], -1
.LBB95_526:
	s_and_b64 vcc, exec, s[10:11]
	s_cbranch_vccz .LBB95_531
; %bb.527:
	s_cmp_eq_u32 s12, 44
	s_mov_b64 s[2:3], -1
	s_cbranch_scc0 .LBB95_531
; %bb.528:
	v_cndmask_b32_e64 v1, 0, 1.0, s[0:1]
	v_readfirstlane_b32 s3, v1
	s_lshr_b32 s2, s3, 23
	s_cmpk_eq_i32 s2, 0xff
	v_mov_b32_e32 v1, 0xff
	s_cbranch_scc1 .LBB95_530
; %bb.529:
	s_bitcmp1_b32 s3, 22
	s_cselect_b64 s[8:9], -1, 0
	s_and_b32 s3, s3, 0x3fffff
	s_or_b32 s3, s2, s3
	s_cmp_lg_u32 s3, 0
	s_cselect_b64 s[10:11], -1, 0
	s_and_b64 s[8:9], s[8:9], s[10:11]
	v_cndmask_b32_e64 v1, 0, 1, s[8:9]
	v_add_u32_e32 v1, s2, v1
.LBB95_530:
	s_mov_b64 s[2:3], 0
	s_mov_b64 s[8:9], -1
	global_store_byte v[5:6], v1, off
.LBB95_531:
	s_mov_b64 s[10:11], 0
.LBB95_532:
	s_and_b64 vcc, exec, s[10:11]
	s_cbranch_vccz .LBB95_535
; %bb.533:
	s_cmp_eq_u32 s12, 29
	s_mov_b64 s[2:3], -1
	s_cbranch_scc0 .LBB95_535
; %bb.534:
	s_and_b32 s2, s14, 0xff
	v_mov_b32_e32 v7, s2
	v_mov_b32_e32 v8, 0
	global_store_dwordx2 v[5:6], v[7:8], off
	s_mov_b64 s[2:3], 0
	s_mov_b64 s[8:9], -1
.LBB95_535:
	s_mov_b64 s[10:11], 0
.LBB95_536:
	s_and_b64 vcc, exec, s[10:11]
	s_cbranch_vccz .LBB95_556
; %bb.537:
	s_cmp_lt_i32 s12, 27
	s_mov_b64 s[8:9], -1
	s_cbranch_scc1 .LBB95_543
; %bb.538:
	s_cmp_gt_i32 s12, 27
	s_cbranch_scc0 .LBB95_540
; %bb.539:
	s_and_b32 s8, s14, 0xff
	v_mov_b32_e32 v1, s8
	s_mov_b64 s[8:9], 0
	global_store_dword v[5:6], v1, off
.LBB95_540:
	s_andn2_b64 vcc, exec, s[8:9]
	s_cbranch_vccnz .LBB95_542
; %bb.541:
	s_and_b32 s8, s14, 0xff
	v_mov_b32_e32 v1, s8
	global_store_short v[5:6], v1, off
.LBB95_542:
	s_mov_b64 s[8:9], 0
.LBB95_543:
	s_andn2_b64 vcc, exec, s[8:9]
	s_cbranch_vccnz .LBB95_555
; %bb.544:
	v_cndmask_b32_e64 v1, 0, 1.0, s[0:1]
	s_mov_b32 s9, 0x437fffff
	v_cmp_lt_u32_e32 vcc, s9, v1
	v_readfirstlane_b32 s8, v1
	v_mov_b32_e32 v7, 0x80
	s_cbranch_vccnz .LBB95_554
; %bb.545:
	s_cmp_gt_u32 s8, 0x3bffffff
	s_cbranch_scc0 .LBB95_549
; %bb.546:
	s_bfe_u32 s9, s8, 0x10014
	s_add_i32 s8, s8, s9
	s_add_i32 s8, s8, 0x487ffff
	s_lshr_b32 s13, s8, 20
	s_mov_b64 s[10:11], 0
	s_mov_b64 s[8:9], -1
	s_branch .LBB95_550
.LBB95_547:
	s_mov_b64 s[8:9], 0
	s_mov_b64 s[2:3], s[20:21]
	s_cbranch_execnz .LBB95_607
.LBB95_548:
	s_andn2_b64 vcc, exec, s[8:9]
	s_cbranch_vccz .LBB95_645
	s_branch .LBB95_943
.LBB95_549:
	s_mov_b64 s[10:11], -1
	s_mov_b64 s[8:9], 0
                                        ; implicit-def: $sgpr13
.LBB95_550:
	s_andn2_b64 vcc, exec, s[10:11]
	v_mov_b32_e32 v3, s13
	s_cbranch_vccnz .LBB95_552
; %bb.551:
	v_add_f32_e32 v1, 0x46000000, v1
	v_and_b32_e32 v3, 0xff, v1
	v_cmp_ne_u32_e64 s[8:9], 0, v3
.LBB95_552:
	s_andn2_b64 vcc, exec, s[8:9]
	v_mov_b32_e32 v7, 0
	s_cbranch_vccnz .LBB95_554
; %bb.553:
	v_mov_b32_e32 v7, v3
.LBB95_554:
	global_store_byte v[5:6], v7, off
.LBB95_555:
	s_mov_b64 s[8:9], -1
.LBB95_556:
	s_mov_b64 s[10:11], 0
.LBB95_557:
	s_and_b64 vcc, exec, s[10:11]
	s_cbranch_vccz .LBB95_603
; %bb.558:
	s_cmp_gt_i32 s12, 22
	s_mov_b64 s[6:7], -1
	s_cbranch_scc0 .LBB95_596
; %bb.559:
	s_cmp_lt_i32 s12, 24
	s_cbranch_scc1 .LBB95_583
; %bb.560:
	s_cmp_gt_i32 s12, 24
	s_cbranch_scc0 .LBB95_570
; %bb.561:
	v_cndmask_b32_e64 v1, 0, 1.0, s[0:1]
	s_mov_b32 s7, 0x477fffff
	v_cmp_lt_u32_e32 vcc, s7, v1
	v_readfirstlane_b32 s6, v1
	v_mov_b32_e32 v7, 0x80
	s_cbranch_vccnz .LBB95_569
; %bb.562:
	s_cmp_gt_u32 s6, 0x37ffffff
	s_cbranch_scc0 .LBB95_564
; %bb.563:
	s_bfe_u32 s7, s6, 0x10015
	s_add_i32 s6, s6, s7
	s_add_i32 s6, s6, 0x88fffff
	s_lshr_b32 s10, s6, 21
	s_mov_b64 s[8:9], 0
	s_mov_b64 s[6:7], -1
	s_branch .LBB95_565
.LBB95_564:
	s_mov_b64 s[8:9], -1
	s_mov_b64 s[6:7], 0
                                        ; implicit-def: $sgpr10
.LBB95_565:
	s_andn2_b64 vcc, exec, s[8:9]
	v_mov_b32_e32 v3, s10
	s_cbranch_vccnz .LBB95_567
; %bb.566:
	v_add_f32_e32 v1, 0x42800000, v1
	v_and_b32_e32 v3, 0xff, v1
	v_cmp_ne_u32_e64 s[6:7], 0, v3
.LBB95_567:
	s_andn2_b64 vcc, exec, s[6:7]
	v_mov_b32_e32 v7, 0
	s_cbranch_vccnz .LBB95_569
; %bb.568:
	v_mov_b32_e32 v7, v3
.LBB95_569:
	s_mov_b64 s[6:7], 0
	global_store_byte v[5:6], v7, off
.LBB95_570:
	s_and_b64 vcc, exec, s[6:7]
	s_cbranch_vccz .LBB95_582
; %bb.571:
	v_cndmask_b32_e64 v1, 0, 1.0, s[0:1]
	s_mov_b32 s6, 0x43f00000
	v_cmp_gt_u32_e32 vcc, s6, v1
	v_readfirstlane_b32 s8, v1
	s_cbranch_vccz .LBB95_574
; %bb.572:
	s_cmp_gt_u32 s8, 0x3c7fffff
	s_cbranch_scc0 .LBB95_575
; %bb.573:
	s_bfe_u32 s6, s8, 0x10014
	s_add_i32 s6, s8, s6
	s_add_i32 s6, s6, 0x407ffff
	s_lshr_b32 s7, s6, 20
	s_and_b32 s6, s6, 0xff00000
	s_cmp_lg_u32 s6, 0x7f00000
	s_cselect_b32 s9, s7, 0x7e
	s_mov_b64 s[6:7], 0
	s_branch .LBB95_576
.LBB95_574:
	s_mov_b64 s[6:7], -1
                                        ; implicit-def: $vgpr3
	s_branch .LBB95_579
.LBB95_575:
	s_mov_b64 s[6:7], -1
                                        ; implicit-def: $sgpr9
.LBB95_576:
	s_andn2_b64 vcc, exec, s[6:7]
	v_mov_b32_e32 v3, s9
	s_cbranch_vccnz .LBB95_578
; %bb.577:
	v_add_f32_e32 v3, 0x46800000, v1
.LBB95_578:
	s_mov_b64 s[6:7], 0
.LBB95_579:
	s_andn2_b64 vcc, exec, s[6:7]
	s_cbranch_vccnz .LBB95_581
; %bb.580:
	s_cmp_gt_u32 s8, 0x7f800000
	s_movk_i32 s6, 0x7f
	s_cselect_b32 s6, s6, 0x7e
	v_mov_b32_e32 v3, s6
.LBB95_581:
	global_store_byte v[5:6], v3, off
.LBB95_582:
	s_mov_b64 s[6:7], 0
.LBB95_583:
	s_andn2_b64 vcc, exec, s[6:7]
	s_cbranch_vccnz .LBB95_595
; %bb.584:
	v_cndmask_b32_e64 v1, 0, 1.0, s[0:1]
	s_mov_b32 s6, 0x47800000
	v_cmp_gt_u32_e32 vcc, s6, v1
	v_readfirstlane_b32 s8, v1
	s_cbranch_vccz .LBB95_587
; %bb.585:
	s_cmp_gt_u32 s8, 0x387fffff
	s_cbranch_scc0 .LBB95_588
; %bb.586:
	s_bfe_u32 s6, s8, 0x10015
	s_add_i32 s6, s8, s6
	s_add_i32 s6, s6, 0x80fffff
	s_lshr_b32 s9, s6, 21
	s_mov_b64 s[6:7], 0
	s_branch .LBB95_589
.LBB95_587:
	s_mov_b64 s[6:7], -1
                                        ; implicit-def: $vgpr3
	s_branch .LBB95_592
.LBB95_588:
	s_mov_b64 s[6:7], -1
                                        ; implicit-def: $sgpr9
.LBB95_589:
	s_andn2_b64 vcc, exec, s[6:7]
	v_mov_b32_e32 v3, s9
	s_cbranch_vccnz .LBB95_591
; %bb.590:
	v_add_f32_e32 v3, 0x43000000, v1
.LBB95_591:
	s_mov_b64 s[6:7], 0
.LBB95_592:
	s_andn2_b64 vcc, exec, s[6:7]
	s_cbranch_vccnz .LBB95_594
; %bb.593:
	s_cmp_gt_u32 s8, 0x7f800000
	s_movk_i32 s6, 0x7f
	s_cselect_b32 s6, s6, 0x7c
	v_mov_b32_e32 v3, s6
.LBB95_594:
	global_store_byte v[5:6], v3, off
.LBB95_595:
	s_mov_b64 s[6:7], 0
	s_mov_b64 s[8:9], -1
.LBB95_596:
	s_andn2_b64 vcc, exec, s[6:7]
	s_mov_b64 s[6:7], 0
	s_cbranch_vccnz .LBB95_603
; %bb.597:
	s_cmp_gt_i32 s12, 14
	s_mov_b64 s[10:11], -1
	s_cbranch_scc0 .LBB95_601
; %bb.598:
	s_cmp_eq_u32 s12, 15
	s_mov_b64 s[2:3], -1
	s_cbranch_scc0 .LBB95_600
; %bb.599:
	v_cndmask_b32_e64 v1, 0, 1.0, s[0:1]
	v_bfe_u32 v3, v1, 16, 1
	v_add_u32_e32 v1, v1, v3
	v_add_u32_e32 v1, 0x7fff, v1
	global_store_short_d16_hi v[5:6], v1, off
	s_mov_b64 s[2:3], 0
	s_mov_b64 s[8:9], -1
.LBB95_600:
	s_mov_b64 s[10:11], 0
.LBB95_601:
	s_and_b64 vcc, exec, s[10:11]
	s_cbranch_vccz .LBB95_603
; %bb.602:
	s_cmp_lg_u32 s12, 11
	s_mov_b64 s[6:7], -1
	s_cselect_b64 s[2:3], -1, 0
.LBB95_603:
	s_and_b64 vcc, exec, s[2:3]
	s_mov_b64 s[2:3], s[20:21]
	s_cbranch_vccnz .LBB95_675
; %bb.604:
	s_andn2_b64 vcc, exec, s[6:7]
	s_cbranch_vccnz .LBB95_606
.LBB95_605:
	v_mov_b32_e32 v1, s14
	global_store_byte v[5:6], v1, off
	s_mov_b64 s[8:9], -1
.LBB95_606:
	s_branch .LBB95_548
.LBB95_607:
	s_and_b32 s8, 0xffff, s15
	s_cmp_lt_i32 s8, 5
	s_mov_b64 s[6:7], -1
	s_cbranch_scc1 .LBB95_628
; %bb.608:
	s_cmp_lt_i32 s8, 8
	s_cbranch_scc1 .LBB95_618
; %bb.609:
	s_cmp_lt_i32 s8, 9
	s_cbranch_scc1 .LBB95_615
; %bb.610:
	s_cmp_gt_i32 s8, 9
	s_cbranch_scc0 .LBB95_612
; %bb.611:
	v_cndmask_b32_e64 v1, 0, 1, s[0:1]
	v_cvt_f64_u32_e32 v[7:8], v1
	v_mov_b32_e32 v9, 0
	v_mov_b32_e32 v10, v9
	s_mov_b64 s[6:7], 0
	global_store_dwordx4 v[5:6], v[7:10], off
.LBB95_612:
	s_andn2_b64 vcc, exec, s[6:7]
	s_cbranch_vccnz .LBB95_614
; %bb.613:
	v_cndmask_b32_e64 v7, 0, 1.0, s[0:1]
	v_mov_b32_e32 v8, 0
	global_store_dwordx2 v[5:6], v[7:8], off
.LBB95_614:
	s_mov_b64 s[6:7], 0
.LBB95_615:
	s_andn2_b64 vcc, exec, s[6:7]
	s_cbranch_vccnz .LBB95_617
; %bb.616:
	v_cndmask_b32_e64 v1, 0, 1.0, s[0:1]
	v_cvt_f16_f32_e32 v1, v1
	global_store_dword v[5:6], v1, off
.LBB95_617:
	s_mov_b64 s[6:7], 0
.LBB95_618:
	s_andn2_b64 vcc, exec, s[6:7]
	s_cbranch_vccnz .LBB95_627
; %bb.619:
	s_cmp_lt_i32 s8, 6
	s_mov_b64 s[6:7], -1
	s_cbranch_scc1 .LBB95_625
; %bb.620:
	s_cmp_gt_i32 s8, 6
	s_cbranch_scc0 .LBB95_622
; %bb.621:
	v_cndmask_b32_e64 v1, 0, 1, s[0:1]
	v_cvt_f64_u32_e32 v[7:8], v1
	s_mov_b64 s[6:7], 0
	global_store_dwordx2 v[5:6], v[7:8], off
.LBB95_622:
	s_andn2_b64 vcc, exec, s[6:7]
	s_cbranch_vccnz .LBB95_624
; %bb.623:
	v_cndmask_b32_e64 v1, 0, 1.0, s[0:1]
	global_store_dword v[5:6], v1, off
.LBB95_624:
	s_mov_b64 s[6:7], 0
.LBB95_625:
	s_andn2_b64 vcc, exec, s[6:7]
	s_cbranch_vccnz .LBB95_627
; %bb.626:
	v_cndmask_b32_e64 v1, 0, 1.0, s[0:1]
	v_cvt_f16_f32_e32 v1, v1
	global_store_short v[5:6], v1, off
.LBB95_627:
	s_mov_b64 s[6:7], 0
.LBB95_628:
	s_andn2_b64 vcc, exec, s[6:7]
	s_cbranch_vccnz .LBB95_644
; %bb.629:
	s_cmp_lt_i32 s8, 2
	s_mov_b64 s[6:7], -1
	s_cbranch_scc1 .LBB95_639
; %bb.630:
	s_cmp_lt_i32 s8, 3
	s_cbranch_scc1 .LBB95_636
; %bb.631:
	s_cmp_gt_i32 s8, 3
	s_cbranch_scc0 .LBB95_633
; %bb.632:
	s_and_b32 s6, s14, 0xff
	v_mov_b32_e32 v7, s6
	v_mov_b32_e32 v8, 0
	global_store_dwordx2 v[5:6], v[7:8], off
	s_mov_b64 s[6:7], 0
.LBB95_633:
	s_andn2_b64 vcc, exec, s[6:7]
	s_cbranch_vccnz .LBB95_635
; %bb.634:
	s_and_b32 s6, s14, 0xff
	v_mov_b32_e32 v1, s6
	global_store_dword v[5:6], v1, off
.LBB95_635:
	s_mov_b64 s[6:7], 0
.LBB95_636:
	s_andn2_b64 vcc, exec, s[6:7]
	s_cbranch_vccnz .LBB95_638
; %bb.637:
	s_and_b32 s6, s14, 0xff
	v_mov_b32_e32 v1, s6
	global_store_short v[5:6], v1, off
.LBB95_638:
	s_mov_b64 s[6:7], 0
.LBB95_639:
	s_andn2_b64 vcc, exec, s[6:7]
	s_cbranch_vccnz .LBB95_644
; %bb.640:
	s_cmp_gt_i32 s8, 0
	s_mov_b64 s[6:7], -1
	s_cbranch_scc0 .LBB95_642
; %bb.641:
	v_mov_b32_e32 v1, s14
	global_store_byte v[5:6], v1, off
	s_mov_b64 s[6:7], 0
.LBB95_642:
	s_andn2_b64 vcc, exec, s[6:7]
	s_cbranch_vccnz .LBB95_644
; %bb.643:
	v_mov_b32_e32 v1, s14
	global_store_byte v[5:6], v1, off
.LBB95_644:
.LBB95_645:
	v_mov_b32_e32 v1, s5
	s_and_b32 s16, 0xffff, s15
	v_add_co_u32_e32 v3, vcc, s4, v4
	s_cmp_lt_i32 s16, 11
	v_addc_co_u32_e32 v4, vcc, 0, v1, vcc
	s_cbranch_scc1 .LBB95_673
; %bb.646:
	s_mov_b64 s[12:13], -1
	s_mov_b64 s[8:9], 0
	s_cmp_gt_i32 s16, 25
	s_mov_b64 s[10:11], 0
	s_mov_b64 s[6:7], 0
	s_cbranch_scc0 .LBB95_684
; %bb.647:
	s_cmp_gt_i32 s16, 28
	s_cbranch_scc0 .LBB95_662
; %bb.648:
	s_cmp_gt_i32 s16, 43
	s_cbranch_scc0 .LBB95_658
; %bb.649:
	s_cmp_gt_i32 s16, 45
	s_cbranch_scc0 .LBB95_652
; %bb.650:
	s_mov_b64 s[6:7], -1
	s_mov_b64 s[12:13], 0
	s_cmp_eq_u32 s16, 46
	s_cbranch_scc0 .LBB95_652
; %bb.651:
	v_cndmask_b32_e64 v1, 0, 1.0, s[0:1]
	v_bfe_u32 v5, v1, 16, 1
	v_add_u32_e32 v1, v1, v5
	v_add_u32_e32 v1, 0x7fff, v1
	v_lshrrev_b32_e32 v1, 16, v1
	global_store_dword v[3:4], v1, off
	s_mov_b64 s[6:7], 0
	s_mov_b64 s[10:11], -1
.LBB95_652:
	s_and_b64 vcc, exec, s[12:13]
	s_cbranch_vccz .LBB95_657
; %bb.653:
	s_cmp_eq_u32 s16, 44
	s_mov_b64 s[6:7], -1
	s_cbranch_scc0 .LBB95_657
; %bb.654:
	v_cndmask_b32_e64 v1, 0, 1.0, s[0:1]
	v_readfirstlane_b32 s7, v1
	s_lshr_b32 s6, s7, 23
	s_cmpk_eq_i32 s6, 0xff
	v_mov_b32_e32 v1, 0xff
	s_cbranch_scc1 .LBB95_656
; %bb.655:
	s_bitcmp1_b32 s7, 22
	s_cselect_b64 s[10:11], -1, 0
	s_and_b32 s7, s7, 0x3fffff
	s_or_b32 s7, s6, s7
	s_cmp_lg_u32 s7, 0
	s_cselect_b64 s[12:13], -1, 0
	s_and_b64 s[10:11], s[10:11], s[12:13]
	v_cndmask_b32_e64 v1, 0, 1, s[10:11]
	v_add_u32_e32 v1, s6, v1
.LBB95_656:
	s_mov_b64 s[6:7], 0
	s_mov_b64 s[10:11], -1
	global_store_byte v[3:4], v1, off
.LBB95_657:
	s_mov_b64 s[12:13], 0
.LBB95_658:
	s_and_b64 vcc, exec, s[12:13]
	s_cbranch_vccz .LBB95_661
; %bb.659:
	s_cmp_eq_u32 s16, 29
	s_mov_b64 s[6:7], -1
	s_cbranch_scc0 .LBB95_661
; %bb.660:
	s_and_b32 s6, s14, 0xff
	v_mov_b32_e32 v5, s6
	v_mov_b32_e32 v6, 0
	global_store_dwordx2 v[3:4], v[5:6], off
	s_mov_b64 s[6:7], 0
	s_mov_b64 s[10:11], -1
.LBB95_661:
	s_mov_b64 s[12:13], 0
.LBB95_662:
	s_and_b64 vcc, exec, s[12:13]
	s_cbranch_vccz .LBB95_683
; %bb.663:
	s_cmp_lt_i32 s16, 27
	s_mov_b64 s[10:11], -1
	s_cbranch_scc1 .LBB95_669
; %bb.664:
	s_cmp_gt_i32 s16, 27
	s_cbranch_scc0 .LBB95_666
; %bb.665:
	s_and_b32 s10, s14, 0xff
	v_mov_b32_e32 v1, s10
	s_mov_b64 s[10:11], 0
	global_store_dword v[3:4], v1, off
.LBB95_666:
	s_andn2_b64 vcc, exec, s[10:11]
	s_cbranch_vccnz .LBB95_668
; %bb.667:
	s_and_b32 s10, s14, 0xff
	v_mov_b32_e32 v1, s10
	global_store_short v[3:4], v1, off
.LBB95_668:
	s_mov_b64 s[10:11], 0
.LBB95_669:
	s_andn2_b64 vcc, exec, s[10:11]
	s_cbranch_vccnz .LBB95_682
; %bb.670:
	v_cndmask_b32_e64 v1, 0, 1.0, s[0:1]
	s_mov_b32 s11, 0x437fffff
	v_cmp_lt_u32_e32 vcc, s11, v1
	v_readfirstlane_b32 s10, v1
	v_mov_b32_e32 v6, 0x80
	s_cbranch_vccnz .LBB95_681
; %bb.671:
	s_cmp_gt_u32 s10, 0x3bffffff
	s_cbranch_scc0 .LBB95_676
; %bb.672:
	s_bfe_u32 s11, s10, 0x10014
	s_add_i32 s10, s10, s11
	s_add_i32 s10, s10, 0x487ffff
	s_lshr_b32 s17, s10, 20
	s_mov_b64 s[12:13], 0
	s_mov_b64 s[10:11], -1
	s_branch .LBB95_677
.LBB95_673:
	s_mov_b64 s[10:11], 0
	s_cbranch_execnz .LBB95_734
.LBB95_674:
	s_andn2_b64 vcc, exec, s[10:11]
	s_cbranch_vccz .LBB95_772
	s_branch .LBB95_943
.LBB95_675:
	s_or_b64 s[2:3], s[20:21], exec
	s_trap 2
	s_cbranch_execz .LBB95_605
	s_branch .LBB95_606
.LBB95_676:
	s_mov_b64 s[12:13], -1
	s_mov_b64 s[10:11], 0
                                        ; implicit-def: $sgpr17
.LBB95_677:
	s_andn2_b64 vcc, exec, s[12:13]
	v_mov_b32_e32 v5, s17
	s_cbranch_vccnz .LBB95_679
; %bb.678:
	v_add_f32_e32 v1, 0x46000000, v1
	v_and_b32_e32 v5, 0xff, v1
	v_cmp_ne_u32_e64 s[10:11], 0, v5
.LBB95_679:
	s_andn2_b64 vcc, exec, s[10:11]
	v_mov_b32_e32 v6, 0
	s_cbranch_vccnz .LBB95_681
; %bb.680:
	v_mov_b32_e32 v6, v5
.LBB95_681:
	global_store_byte v[3:4], v6, off
.LBB95_682:
	s_mov_b64 s[10:11], -1
.LBB95_683:
	s_mov_b64 s[12:13], 0
.LBB95_684:
	s_and_b64 vcc, exec, s[12:13]
	s_cbranch_vccz .LBB95_730
; %bb.685:
	s_cmp_gt_i32 s16, 22
	s_mov_b64 s[8:9], -1
	s_cbranch_scc0 .LBB95_723
; %bb.686:
	s_cmp_lt_i32 s16, 24
	s_cbranch_scc1 .LBB95_710
; %bb.687:
	s_cmp_gt_i32 s16, 24
	s_cbranch_scc0 .LBB95_697
; %bb.688:
	v_cndmask_b32_e64 v1, 0, 1.0, s[0:1]
	s_mov_b32 s9, 0x477fffff
	v_cmp_lt_u32_e32 vcc, s9, v1
	v_readfirstlane_b32 s8, v1
	v_mov_b32_e32 v6, 0x80
	s_cbranch_vccnz .LBB95_696
; %bb.689:
	s_cmp_gt_u32 s8, 0x37ffffff
	s_cbranch_scc0 .LBB95_691
; %bb.690:
	s_bfe_u32 s9, s8, 0x10015
	s_add_i32 s8, s8, s9
	s_add_i32 s8, s8, 0x88fffff
	s_lshr_b32 s12, s8, 21
	s_mov_b64 s[10:11], 0
	s_mov_b64 s[8:9], -1
	s_branch .LBB95_692
.LBB95_691:
	s_mov_b64 s[10:11], -1
	s_mov_b64 s[8:9], 0
                                        ; implicit-def: $sgpr12
.LBB95_692:
	s_andn2_b64 vcc, exec, s[10:11]
	v_mov_b32_e32 v5, s12
	s_cbranch_vccnz .LBB95_694
; %bb.693:
	v_add_f32_e32 v1, 0x42800000, v1
	v_and_b32_e32 v5, 0xff, v1
	v_cmp_ne_u32_e64 s[8:9], 0, v5
.LBB95_694:
	s_andn2_b64 vcc, exec, s[8:9]
	v_mov_b32_e32 v6, 0
	s_cbranch_vccnz .LBB95_696
; %bb.695:
	v_mov_b32_e32 v6, v5
.LBB95_696:
	s_mov_b64 s[8:9], 0
	global_store_byte v[3:4], v6, off
.LBB95_697:
	s_and_b64 vcc, exec, s[8:9]
	s_cbranch_vccz .LBB95_709
; %bb.698:
	v_cndmask_b32_e64 v1, 0, 1.0, s[0:1]
	s_mov_b32 s8, 0x43f00000
	v_cmp_gt_u32_e32 vcc, s8, v1
	v_readfirstlane_b32 s10, v1
	s_cbranch_vccz .LBB95_701
; %bb.699:
	s_cmp_gt_u32 s10, 0x3c7fffff
	s_cbranch_scc0 .LBB95_702
; %bb.700:
	s_bfe_u32 s8, s10, 0x10014
	s_add_i32 s8, s10, s8
	s_add_i32 s8, s8, 0x407ffff
	s_lshr_b32 s9, s8, 20
	s_and_b32 s8, s8, 0xff00000
	s_cmp_lg_u32 s8, 0x7f00000
	s_cselect_b32 s11, s9, 0x7e
	s_mov_b64 s[8:9], 0
	s_branch .LBB95_703
.LBB95_701:
	s_mov_b64 s[8:9], -1
                                        ; implicit-def: $vgpr5
	s_branch .LBB95_706
.LBB95_702:
	s_mov_b64 s[8:9], -1
                                        ; implicit-def: $sgpr11
.LBB95_703:
	s_andn2_b64 vcc, exec, s[8:9]
	v_mov_b32_e32 v5, s11
	s_cbranch_vccnz .LBB95_705
; %bb.704:
	v_add_f32_e32 v5, 0x46800000, v1
.LBB95_705:
	s_mov_b64 s[8:9], 0
.LBB95_706:
	s_andn2_b64 vcc, exec, s[8:9]
	s_cbranch_vccnz .LBB95_708
; %bb.707:
	s_cmp_gt_u32 s10, 0x7f800000
	s_movk_i32 s8, 0x7f
	s_cselect_b32 s8, s8, 0x7e
	v_mov_b32_e32 v5, s8
.LBB95_708:
	global_store_byte v[3:4], v5, off
.LBB95_709:
	s_mov_b64 s[8:9], 0
.LBB95_710:
	s_andn2_b64 vcc, exec, s[8:9]
	s_cbranch_vccnz .LBB95_722
; %bb.711:
	v_cndmask_b32_e64 v1, 0, 1.0, s[0:1]
	s_mov_b32 s8, 0x47800000
	v_cmp_gt_u32_e32 vcc, s8, v1
	v_readfirstlane_b32 s10, v1
	s_cbranch_vccz .LBB95_714
; %bb.712:
	s_cmp_gt_u32 s10, 0x387fffff
	s_cbranch_scc0 .LBB95_715
; %bb.713:
	s_bfe_u32 s8, s10, 0x10015
	s_add_i32 s8, s10, s8
	s_add_i32 s8, s8, 0x80fffff
	s_lshr_b32 s11, s8, 21
	s_mov_b64 s[8:9], 0
	s_branch .LBB95_716
.LBB95_714:
	s_mov_b64 s[8:9], -1
                                        ; implicit-def: $vgpr5
	s_branch .LBB95_719
.LBB95_715:
	s_mov_b64 s[8:9], -1
                                        ; implicit-def: $sgpr11
.LBB95_716:
	s_andn2_b64 vcc, exec, s[8:9]
	v_mov_b32_e32 v5, s11
	s_cbranch_vccnz .LBB95_718
; %bb.717:
	v_add_f32_e32 v5, 0x43000000, v1
.LBB95_718:
	s_mov_b64 s[8:9], 0
.LBB95_719:
	s_andn2_b64 vcc, exec, s[8:9]
	s_cbranch_vccnz .LBB95_721
; %bb.720:
	s_cmp_gt_u32 s10, 0x7f800000
	s_movk_i32 s8, 0x7f
	s_cselect_b32 s8, s8, 0x7c
	v_mov_b32_e32 v5, s8
.LBB95_721:
	global_store_byte v[3:4], v5, off
.LBB95_722:
	s_mov_b64 s[8:9], 0
	s_mov_b64 s[10:11], -1
.LBB95_723:
	s_andn2_b64 vcc, exec, s[8:9]
	s_mov_b64 s[8:9], 0
	s_cbranch_vccnz .LBB95_730
; %bb.724:
	s_cmp_gt_i32 s16, 14
	s_mov_b64 s[12:13], -1
	s_cbranch_scc0 .LBB95_728
; %bb.725:
	s_cmp_eq_u32 s16, 15
	s_mov_b64 s[6:7], -1
	s_cbranch_scc0 .LBB95_727
; %bb.726:
	v_cndmask_b32_e64 v1, 0, 1.0, s[0:1]
	v_bfe_u32 v5, v1, 16, 1
	v_add_u32_e32 v1, v1, v5
	v_add_u32_e32 v1, 0x7fff, v1
	global_store_short_d16_hi v[3:4], v1, off
	s_mov_b64 s[6:7], 0
	s_mov_b64 s[10:11], -1
.LBB95_727:
	s_mov_b64 s[12:13], 0
.LBB95_728:
	s_and_b64 vcc, exec, s[12:13]
	s_cbranch_vccz .LBB95_730
; %bb.729:
	s_cmp_lg_u32 s16, 11
	s_mov_b64 s[8:9], -1
	s_cselect_b64 s[6:7], -1, 0
.LBB95_730:
	s_and_b64 vcc, exec, s[6:7]
	s_cbranch_vccnz .LBB95_832
; %bb.731:
	s_andn2_b64 vcc, exec, s[8:9]
	s_cbranch_vccnz .LBB95_733
.LBB95_732:
	v_mov_b32_e32 v1, s14
	s_mov_b64 s[10:11], -1
	global_store_byte v[3:4], v1, off
.LBB95_733:
	s_branch .LBB95_674
.LBB95_734:
	s_cmp_lt_i32 s16, 5
	s_mov_b64 s[6:7], -1
	s_cbranch_scc1 .LBB95_755
; %bb.735:
	s_cmp_lt_i32 s16, 8
	s_cbranch_scc1 .LBB95_745
; %bb.736:
	s_cmp_lt_i32 s16, 9
	s_cbranch_scc1 .LBB95_742
; %bb.737:
	s_cmp_gt_i32 s16, 9
	s_cbranch_scc0 .LBB95_739
; %bb.738:
	v_cndmask_b32_e64 v1, 0, 1, s[0:1]
	v_cvt_f64_u32_e32 v[5:6], v1
	v_mov_b32_e32 v7, 0
	v_mov_b32_e32 v8, v7
	s_mov_b64 s[6:7], 0
	global_store_dwordx4 v[3:4], v[5:8], off
.LBB95_739:
	s_andn2_b64 vcc, exec, s[6:7]
	s_cbranch_vccnz .LBB95_741
; %bb.740:
	v_cndmask_b32_e64 v5, 0, 1.0, s[0:1]
	v_mov_b32_e32 v6, 0
	global_store_dwordx2 v[3:4], v[5:6], off
.LBB95_741:
	s_mov_b64 s[6:7], 0
.LBB95_742:
	s_andn2_b64 vcc, exec, s[6:7]
	s_cbranch_vccnz .LBB95_744
; %bb.743:
	v_cndmask_b32_e64 v1, 0, 1.0, s[0:1]
	v_cvt_f16_f32_e32 v1, v1
	global_store_dword v[3:4], v1, off
.LBB95_744:
	s_mov_b64 s[6:7], 0
.LBB95_745:
	s_andn2_b64 vcc, exec, s[6:7]
	s_cbranch_vccnz .LBB95_754
; %bb.746:
	s_cmp_lt_i32 s16, 6
	s_mov_b64 s[6:7], -1
	s_cbranch_scc1 .LBB95_752
; %bb.747:
	s_cmp_gt_i32 s16, 6
	s_cbranch_scc0 .LBB95_749
; %bb.748:
	v_cndmask_b32_e64 v1, 0, 1, s[0:1]
	v_cvt_f64_u32_e32 v[5:6], v1
	s_mov_b64 s[6:7], 0
	global_store_dwordx2 v[3:4], v[5:6], off
.LBB95_749:
	s_andn2_b64 vcc, exec, s[6:7]
	s_cbranch_vccnz .LBB95_751
; %bb.750:
	v_cndmask_b32_e64 v1, 0, 1.0, s[0:1]
	global_store_dword v[3:4], v1, off
.LBB95_751:
	s_mov_b64 s[6:7], 0
.LBB95_752:
	s_andn2_b64 vcc, exec, s[6:7]
	s_cbranch_vccnz .LBB95_754
; %bb.753:
	v_cndmask_b32_e64 v1, 0, 1.0, s[0:1]
	v_cvt_f16_f32_e32 v1, v1
	global_store_short v[3:4], v1, off
.LBB95_754:
	s_mov_b64 s[6:7], 0
.LBB95_755:
	s_andn2_b64 vcc, exec, s[6:7]
	s_cbranch_vccnz .LBB95_771
; %bb.756:
	s_cmp_lt_i32 s16, 2
	s_mov_b64 s[6:7], -1
	s_cbranch_scc1 .LBB95_766
; %bb.757:
	s_cmp_lt_i32 s16, 3
	s_cbranch_scc1 .LBB95_763
; %bb.758:
	s_cmp_gt_i32 s16, 3
	s_cbranch_scc0 .LBB95_760
; %bb.759:
	s_and_b32 s6, s14, 0xff
	v_mov_b32_e32 v5, s6
	v_mov_b32_e32 v6, 0
	global_store_dwordx2 v[3:4], v[5:6], off
	s_mov_b64 s[6:7], 0
.LBB95_760:
	s_andn2_b64 vcc, exec, s[6:7]
	s_cbranch_vccnz .LBB95_762
; %bb.761:
	s_and_b32 s6, s14, 0xff
	v_mov_b32_e32 v1, s6
	global_store_dword v[3:4], v1, off
.LBB95_762:
	s_mov_b64 s[6:7], 0
.LBB95_763:
	s_andn2_b64 vcc, exec, s[6:7]
	s_cbranch_vccnz .LBB95_765
; %bb.764:
	s_and_b32 s6, s14, 0xff
	v_mov_b32_e32 v1, s6
	global_store_short v[3:4], v1, off
.LBB95_765:
	s_mov_b64 s[6:7], 0
.LBB95_766:
	s_andn2_b64 vcc, exec, s[6:7]
	s_cbranch_vccnz .LBB95_771
; %bb.767:
	s_cmp_gt_i32 s16, 0
	s_mov_b64 s[6:7], -1
	s_cbranch_scc0 .LBB95_769
; %bb.768:
	v_mov_b32_e32 v1, s14
	global_store_byte v[3:4], v1, off
	s_mov_b64 s[6:7], 0
.LBB95_769:
	s_andn2_b64 vcc, exec, s[6:7]
	s_cbranch_vccnz .LBB95_771
; %bb.770:
	v_mov_b32_e32 v1, s14
	global_store_byte v[3:4], v1, off
.LBB95_771:
.LBB95_772:
	v_mov_b32_e32 v3, s5
	v_add_co_u32_e32 v1, vcc, s4, v2
	s_cmp_lt_i32 s16, 11
	v_addc_co_u32_e32 v2, vcc, 0, v3, vcc
	s_cbranch_scc1 .LBB95_800
; %bb.773:
	s_mov_b64 s[12:13], -1
	s_mov_b64 s[8:9], 0
	s_cmp_gt_i32 s16, 25
	s_mov_b64 s[10:11], 0
	s_mov_b64 s[6:7], 0
	s_cbranch_scc0 .LBB95_841
; %bb.774:
	s_cmp_gt_i32 s16, 28
	s_cbranch_scc0 .LBB95_789
; %bb.775:
	s_cmp_gt_i32 s16, 43
	;; [unrolled: 3-line block ×3, first 2 shown]
	s_cbranch_scc0 .LBB95_779
; %bb.777:
	s_mov_b64 s[6:7], -1
	s_mov_b64 s[12:13], 0
	s_cmp_eq_u32 s16, 46
	s_cbranch_scc0 .LBB95_779
; %bb.778:
	v_cndmask_b32_e64 v3, 0, 1.0, s[0:1]
	v_bfe_u32 v4, v3, 16, 1
	v_add_u32_e32 v3, v3, v4
	v_add_u32_e32 v3, 0x7fff, v3
	v_lshrrev_b32_e32 v3, 16, v3
	global_store_dword v[1:2], v3, off
	s_mov_b64 s[6:7], 0
	s_mov_b64 s[10:11], -1
.LBB95_779:
	s_and_b64 vcc, exec, s[12:13]
	s_cbranch_vccz .LBB95_784
; %bb.780:
	s_cmp_eq_u32 s16, 44
	s_mov_b64 s[6:7], -1
	s_cbranch_scc0 .LBB95_784
; %bb.781:
	v_cndmask_b32_e64 v3, 0, 1.0, s[0:1]
	v_readfirstlane_b32 s7, v3
	s_lshr_b32 s6, s7, 23
	s_cmpk_eq_i32 s6, 0xff
	v_mov_b32_e32 v3, 0xff
	s_cbranch_scc1 .LBB95_783
; %bb.782:
	s_bitcmp1_b32 s7, 22
	s_cselect_b64 s[10:11], -1, 0
	s_and_b32 s7, s7, 0x3fffff
	s_or_b32 s7, s6, s7
	s_cmp_lg_u32 s7, 0
	s_cselect_b64 s[12:13], -1, 0
	s_and_b64 s[10:11], s[10:11], s[12:13]
	v_cndmask_b32_e64 v3, 0, 1, s[10:11]
	v_add_u32_e32 v3, s6, v3
.LBB95_783:
	s_mov_b64 s[6:7], 0
	s_mov_b64 s[10:11], -1
	global_store_byte v[1:2], v3, off
.LBB95_784:
	s_mov_b64 s[12:13], 0
.LBB95_785:
	s_and_b64 vcc, exec, s[12:13]
	s_cbranch_vccz .LBB95_788
; %bb.786:
	s_cmp_eq_u32 s16, 29
	s_mov_b64 s[6:7], -1
	s_cbranch_scc0 .LBB95_788
; %bb.787:
	s_and_b32 s6, s14, 0xff
	v_mov_b32_e32 v3, s6
	v_mov_b32_e32 v4, 0
	global_store_dwordx2 v[1:2], v[3:4], off
	s_mov_b64 s[6:7], 0
	s_mov_b64 s[10:11], -1
.LBB95_788:
	s_mov_b64 s[12:13], 0
.LBB95_789:
	s_and_b64 vcc, exec, s[12:13]
	s_cbranch_vccz .LBB95_840
; %bb.790:
	s_cmp_lt_i32 s16, 27
	s_mov_b64 s[10:11], -1
	s_cbranch_scc1 .LBB95_796
; %bb.791:
	s_cmp_gt_i32 s16, 27
	s_cbranch_scc0 .LBB95_793
; %bb.792:
	s_and_b32 s10, s14, 0xff
	v_mov_b32_e32 v3, s10
	s_mov_b64 s[10:11], 0
	global_store_dword v[1:2], v3, off
.LBB95_793:
	s_andn2_b64 vcc, exec, s[10:11]
	s_cbranch_vccnz .LBB95_795
; %bb.794:
	s_and_b32 s10, s14, 0xff
	v_mov_b32_e32 v3, s10
	global_store_short v[1:2], v3, off
.LBB95_795:
	s_mov_b64 s[10:11], 0
.LBB95_796:
	s_andn2_b64 vcc, exec, s[10:11]
	s_cbranch_vccnz .LBB95_839
; %bb.797:
	v_cndmask_b32_e64 v3, 0, 1.0, s[0:1]
	s_mov_b32 s11, 0x437fffff
	v_cmp_lt_u32_e32 vcc, s11, v3
	v_readfirstlane_b32 s10, v3
	v_mov_b32_e32 v5, 0x80
	s_cbranch_vccnz .LBB95_838
; %bb.798:
	s_cmp_gt_u32 s10, 0x3bffffff
	s_cbranch_scc0 .LBB95_833
; %bb.799:
	s_bfe_u32 s11, s10, 0x10014
	s_add_i32 s10, s10, s11
	s_add_i32 s10, s10, 0x487ffff
	s_lshr_b32 s17, s10, 20
	s_mov_b64 s[12:13], 0
	s_mov_b64 s[10:11], -1
	s_branch .LBB95_834
.LBB95_800:
	s_mov_b64 s[10:11], 0
	s_cbranch_execnz .LBB95_905
.LBB95_801:
	s_andn2_b64 vcc, exec, s[10:11]
	s_cbranch_vccnz .LBB95_943
.LBB95_802:
	v_mov_b32_e32 v1, s5
	v_add_co_u32_e32 v0, vcc, s4, v0
	s_cmp_lt_i32 s16, 11
	v_addc_co_u32_e32 v1, vcc, 0, v1, vcc
	s_cbranch_scc1 .LBB95_831
; %bb.803:
	s_mov_b64 s[8:9], -1
	s_mov_b64 s[6:7], 0
	s_cmp_gt_i32 s16, 25
	s_mov_b64 s[4:5], 0
	s_cbranch_scc0 .LBB95_855
; %bb.804:
	s_cmp_gt_i32 s16, 28
	s_cbranch_scc0 .LBB95_820
; %bb.805:
	s_cmp_gt_i32 s16, 43
	;; [unrolled: 3-line block ×3, first 2 shown]
	s_cbranch_scc0 .LBB95_810
; %bb.807:
	s_cmp_eq_u32 s16, 46
	s_mov_b64 s[4:5], -1
	s_cbranch_scc0 .LBB95_809
; %bb.808:
	v_cndmask_b32_e64 v2, 0, 1.0, s[0:1]
	v_bfe_u32 v3, v2, 16, 1
	v_add_u32_e32 v2, v2, v3
	v_add_u32_e32 v2, 0x7fff, v2
	v_lshrrev_b32_e32 v2, 16, v2
	global_store_dword v[0:1], v2, off
	s_mov_b64 s[4:5], 0
.LBB95_809:
	s_mov_b64 s[8:9], 0
.LBB95_810:
	s_and_b64 vcc, exec, s[8:9]
	s_cbranch_vccz .LBB95_815
; %bb.811:
	s_cmp_eq_u32 s16, 44
	s_mov_b64 s[4:5], -1
	s_cbranch_scc0 .LBB95_815
; %bb.812:
	v_cndmask_b32_e64 v2, 0, 1.0, s[0:1]
	v_readfirstlane_b32 s5, v2
	s_lshr_b32 s4, s5, 23
	s_cmpk_eq_i32 s4, 0xff
	v_mov_b32_e32 v2, 0xff
	s_cbranch_scc1 .LBB95_814
; %bb.813:
	s_bitcmp1_b32 s5, 22
	s_cselect_b64 s[8:9], -1, 0
	s_and_b32 s5, s5, 0x3fffff
	s_or_b32 s5, s4, s5
	s_cmp_lg_u32 s5, 0
	s_cselect_b64 s[10:11], -1, 0
	s_and_b64 s[8:9], s[8:9], s[10:11]
	v_cndmask_b32_e64 v2, 0, 1, s[8:9]
	v_add_u32_e32 v2, s4, v2
.LBB95_814:
	s_mov_b64 s[4:5], 0
	global_store_byte v[0:1], v2, off
.LBB95_815:
	s_mov_b64 s[8:9], 0
.LBB95_816:
	s_and_b64 vcc, exec, s[8:9]
	s_cbranch_vccz .LBB95_819
; %bb.817:
	s_cmp_eq_u32 s16, 29
	s_mov_b64 s[4:5], -1
	s_cbranch_scc0 .LBB95_819
; %bb.818:
	s_and_b32 s4, s14, 0xff
	v_mov_b32_e32 v2, s4
	v_mov_b32_e32 v3, 0
	global_store_dwordx2 v[0:1], v[2:3], off
	s_mov_b64 s[4:5], 0
.LBB95_819:
	s_mov_b64 s[8:9], 0
.LBB95_820:
	s_and_b64 vcc, exec, s[8:9]
	s_cbranch_vccz .LBB95_854
; %bb.821:
	s_cmp_lt_i32 s16, 27
	s_mov_b64 s[8:9], -1
	s_cbranch_scc1 .LBB95_827
; %bb.822:
	s_cmp_gt_i32 s16, 27
	s_cbranch_scc0 .LBB95_824
; %bb.823:
	s_and_b32 s8, s14, 0xff
	v_mov_b32_e32 v2, s8
	global_store_dword v[0:1], v2, off
	s_mov_b64 s[8:9], 0
.LBB95_824:
	s_andn2_b64 vcc, exec, s[8:9]
	s_cbranch_vccnz .LBB95_826
; %bb.825:
	s_and_b32 s8, s14, 0xff
	v_mov_b32_e32 v2, s8
	global_store_short v[0:1], v2, off
.LBB95_826:
	s_mov_b64 s[8:9], 0
.LBB95_827:
	s_andn2_b64 vcc, exec, s[8:9]
	s_cbranch_vccnz .LBB95_854
; %bb.828:
	v_cndmask_b32_e64 v2, 0, 1.0, s[0:1]
	s_mov_b32 s9, 0x437fffff
	v_cmp_lt_u32_e32 vcc, s9, v2
	v_readfirstlane_b32 s8, v2
	v_mov_b32_e32 v4, 0x80
	s_cbranch_vccnz .LBB95_853
; %bb.829:
	s_cmp_gt_u32 s8, 0x3bffffff
	s_cbranch_scc0 .LBB95_848
; %bb.830:
	s_bfe_u32 s9, s8, 0x10014
	s_add_i32 s8, s8, s9
	s_add_i32 s8, s8, 0x487ffff
	s_lshr_b32 s12, s8, 20
	s_mov_b64 s[10:11], 0
	s_mov_b64 s[8:9], -1
	s_branch .LBB95_849
.LBB95_831:
	s_mov_b64 s[6:7], 0
	s_mov_b64 s[4:5], -1
	s_branch .LBB95_944
.LBB95_832:
	s_trap 2
	s_or_b64 s[2:3], s[2:3], exec
	s_cbranch_execz .LBB95_732
	s_branch .LBB95_733
.LBB95_833:
	s_mov_b64 s[12:13], -1
	s_mov_b64 s[10:11], 0
                                        ; implicit-def: $sgpr17
.LBB95_834:
	s_andn2_b64 vcc, exec, s[12:13]
	v_mov_b32_e32 v4, s17
	s_cbranch_vccnz .LBB95_836
; %bb.835:
	v_add_f32_e32 v3, 0x46000000, v3
	v_and_b32_e32 v4, 0xff, v3
	v_cmp_ne_u32_e64 s[10:11], 0, v4
.LBB95_836:
	s_andn2_b64 vcc, exec, s[10:11]
	v_mov_b32_e32 v5, 0
	s_cbranch_vccnz .LBB95_838
; %bb.837:
	v_mov_b32_e32 v5, v4
.LBB95_838:
	global_store_byte v[1:2], v5, off
.LBB95_839:
	s_mov_b64 s[10:11], -1
.LBB95_840:
	s_mov_b64 s[12:13], 0
.LBB95_841:
	s_and_b64 vcc, exec, s[12:13]
	s_cbranch_vccz .LBB95_901
; %bb.842:
	s_cmp_gt_i32 s16, 22
	s_mov_b64 s[8:9], -1
	s_cbranch_scc0 .LBB95_894
; %bb.843:
	s_cmp_lt_i32 s16, 24
	s_cbranch_scc1 .LBB95_881
; %bb.844:
	s_cmp_gt_i32 s16, 24
	s_cbranch_scc0 .LBB95_868
; %bb.845:
	v_cndmask_b32_e64 v3, 0, 1.0, s[0:1]
	s_mov_b32 s9, 0x477fffff
	v_cmp_lt_u32_e32 vcc, s9, v3
	v_readfirstlane_b32 s8, v3
	v_mov_b32_e32 v5, 0x80
	s_cbranch_vccnz .LBB95_867
; %bb.846:
	s_cmp_gt_u32 s8, 0x37ffffff
	s_cbranch_scc0 .LBB95_862
; %bb.847:
	s_bfe_u32 s9, s8, 0x10015
	s_add_i32 s8, s8, s9
	s_add_i32 s8, s8, 0x88fffff
	s_lshr_b32 s12, s8, 21
	s_mov_b64 s[10:11], 0
	s_mov_b64 s[8:9], -1
	s_branch .LBB95_863
.LBB95_848:
	s_mov_b64 s[10:11], -1
	s_mov_b64 s[8:9], 0
                                        ; implicit-def: $sgpr12
.LBB95_849:
	s_andn2_b64 vcc, exec, s[10:11]
	v_mov_b32_e32 v3, s12
	s_cbranch_vccnz .LBB95_851
; %bb.850:
	v_add_f32_e32 v2, 0x46000000, v2
	v_and_b32_e32 v3, 0xff, v2
	v_cmp_ne_u32_e64 s[8:9], 0, v3
.LBB95_851:
	s_andn2_b64 vcc, exec, s[8:9]
	v_mov_b32_e32 v4, 0
	s_cbranch_vccnz .LBB95_853
; %bb.852:
	v_mov_b32_e32 v4, v3
.LBB95_853:
	global_store_byte v[0:1], v4, off
.LBB95_854:
	s_mov_b64 s[8:9], 0
.LBB95_855:
	s_and_b64 vcc, exec, s[8:9]
	s_cbranch_vccz .LBB95_1028
; %bb.856:
	s_cmp_gt_i32 s16, 22
	s_mov_b64 s[6:7], -1
	s_cbranch_scc0 .LBB95_1021
; %bb.857:
	s_cmp_lt_i32 s16, 24
	s_cbranch_scc1 .LBB95_1008
; %bb.858:
	s_cmp_gt_i32 s16, 24
	s_cbranch_scc0 .LBB95_995
; %bb.859:
	v_cndmask_b32_e64 v2, 0, 1.0, s[0:1]
	s_mov_b32 s7, 0x477fffff
	v_cmp_lt_u32_e32 vcc, s7, v2
	v_readfirstlane_b32 s6, v2
	v_mov_b32_e32 v4, 0x80
	s_cbranch_vccnz .LBB95_994
; %bb.860:
	s_cmp_gt_u32 s6, 0x37ffffff
	s_cbranch_scc0 .LBB95_989
; %bb.861:
	s_bfe_u32 s7, s6, 0x10015
	s_add_i32 s6, s6, s7
	s_add_i32 s6, s6, 0x88fffff
	s_lshr_b32 s10, s6, 21
	s_mov_b64 s[8:9], 0
	s_mov_b64 s[6:7], -1
	s_branch .LBB95_990
.LBB95_862:
	s_mov_b64 s[10:11], -1
	s_mov_b64 s[8:9], 0
                                        ; implicit-def: $sgpr12
.LBB95_863:
	s_andn2_b64 vcc, exec, s[10:11]
	v_mov_b32_e32 v4, s12
	s_cbranch_vccnz .LBB95_865
; %bb.864:
	v_add_f32_e32 v3, 0x42800000, v3
	v_and_b32_e32 v4, 0xff, v3
	v_cmp_ne_u32_e64 s[8:9], 0, v4
.LBB95_865:
	s_andn2_b64 vcc, exec, s[8:9]
	v_mov_b32_e32 v5, 0
	s_cbranch_vccnz .LBB95_867
; %bb.866:
	v_mov_b32_e32 v5, v4
.LBB95_867:
	s_mov_b64 s[8:9], 0
	global_store_byte v[1:2], v5, off
.LBB95_868:
	s_and_b64 vcc, exec, s[8:9]
	s_cbranch_vccz .LBB95_880
; %bb.869:
	v_cndmask_b32_e64 v3, 0, 1.0, s[0:1]
	s_mov_b32 s8, 0x43f00000
	v_cmp_gt_u32_e32 vcc, s8, v3
	v_readfirstlane_b32 s10, v3
	s_cbranch_vccz .LBB95_872
; %bb.870:
	s_cmp_gt_u32 s10, 0x3c7fffff
	s_cbranch_scc0 .LBB95_873
; %bb.871:
	s_bfe_u32 s8, s10, 0x10014
	s_add_i32 s8, s10, s8
	s_add_i32 s8, s8, 0x407ffff
	s_lshr_b32 s9, s8, 20
	s_and_b32 s8, s8, 0xff00000
	s_cmp_lg_u32 s8, 0x7f00000
	s_cselect_b32 s11, s9, 0x7e
	s_mov_b64 s[8:9], 0
	s_branch .LBB95_874
.LBB95_872:
	s_mov_b64 s[8:9], -1
                                        ; implicit-def: $vgpr4
	s_branch .LBB95_877
.LBB95_873:
	s_mov_b64 s[8:9], -1
                                        ; implicit-def: $sgpr11
.LBB95_874:
	s_andn2_b64 vcc, exec, s[8:9]
	v_mov_b32_e32 v4, s11
	s_cbranch_vccnz .LBB95_876
; %bb.875:
	v_add_f32_e32 v4, 0x46800000, v3
.LBB95_876:
	s_mov_b64 s[8:9], 0
.LBB95_877:
	s_andn2_b64 vcc, exec, s[8:9]
	s_cbranch_vccnz .LBB95_879
; %bb.878:
	s_cmp_gt_u32 s10, 0x7f800000
	s_movk_i32 s8, 0x7f
	s_cselect_b32 s8, s8, 0x7e
	v_mov_b32_e32 v4, s8
.LBB95_879:
	global_store_byte v[1:2], v4, off
.LBB95_880:
	s_mov_b64 s[8:9], 0
.LBB95_881:
	s_andn2_b64 vcc, exec, s[8:9]
	s_cbranch_vccnz .LBB95_893
; %bb.882:
	v_cndmask_b32_e64 v3, 0, 1.0, s[0:1]
	s_mov_b32 s8, 0x47800000
	v_cmp_gt_u32_e32 vcc, s8, v3
	v_readfirstlane_b32 s10, v3
	s_cbranch_vccz .LBB95_885
; %bb.883:
	s_cmp_gt_u32 s10, 0x387fffff
	s_cbranch_scc0 .LBB95_886
; %bb.884:
	s_bfe_u32 s8, s10, 0x10015
	s_add_i32 s8, s10, s8
	s_add_i32 s8, s8, 0x80fffff
	s_lshr_b32 s11, s8, 21
	s_mov_b64 s[8:9], 0
	s_branch .LBB95_887
.LBB95_885:
	s_mov_b64 s[8:9], -1
                                        ; implicit-def: $vgpr4
	s_branch .LBB95_890
.LBB95_886:
	s_mov_b64 s[8:9], -1
                                        ; implicit-def: $sgpr11
.LBB95_887:
	s_andn2_b64 vcc, exec, s[8:9]
	v_mov_b32_e32 v4, s11
	s_cbranch_vccnz .LBB95_889
; %bb.888:
	v_add_f32_e32 v4, 0x43000000, v3
.LBB95_889:
	s_mov_b64 s[8:9], 0
.LBB95_890:
	s_andn2_b64 vcc, exec, s[8:9]
	s_cbranch_vccnz .LBB95_892
; %bb.891:
	s_cmp_gt_u32 s10, 0x7f800000
	s_movk_i32 s8, 0x7f
	s_cselect_b32 s8, s8, 0x7c
	v_mov_b32_e32 v4, s8
.LBB95_892:
	global_store_byte v[1:2], v4, off
.LBB95_893:
	s_mov_b64 s[8:9], 0
	s_mov_b64 s[10:11], -1
.LBB95_894:
	s_andn2_b64 vcc, exec, s[8:9]
	s_mov_b64 s[8:9], 0
	s_cbranch_vccnz .LBB95_901
; %bb.895:
	s_cmp_gt_i32 s16, 14
	s_mov_b64 s[12:13], -1
	s_cbranch_scc0 .LBB95_899
; %bb.896:
	s_cmp_eq_u32 s16, 15
	s_mov_b64 s[6:7], -1
	s_cbranch_scc0 .LBB95_898
; %bb.897:
	v_cndmask_b32_e64 v3, 0, 1.0, s[0:1]
	v_bfe_u32 v4, v3, 16, 1
	v_add_u32_e32 v3, v3, v4
	v_add_u32_e32 v3, 0x7fff, v3
	global_store_short_d16_hi v[1:2], v3, off
	s_mov_b64 s[6:7], 0
	s_mov_b64 s[10:11], -1
.LBB95_898:
	s_mov_b64 s[12:13], 0
.LBB95_899:
	s_and_b64 vcc, exec, s[12:13]
	s_cbranch_vccz .LBB95_901
; %bb.900:
	s_cmp_lg_u32 s16, 11
	s_mov_b64 s[8:9], -1
	s_cselect_b64 s[6:7], -1, 0
.LBB95_901:
	s_and_b64 vcc, exec, s[6:7]
	s_cbranch_vccnz .LBB95_988
; %bb.902:
	s_andn2_b64 vcc, exec, s[8:9]
	s_cbranch_vccnz .LBB95_904
.LBB95_903:
	v_mov_b32_e32 v3, s14
	s_mov_b64 s[10:11], -1
	global_store_byte v[1:2], v3, off
.LBB95_904:
	s_branch .LBB95_801
.LBB95_905:
	s_cmp_lt_i32 s16, 5
	s_mov_b64 s[6:7], -1
	s_cbranch_scc1 .LBB95_926
; %bb.906:
	s_cmp_lt_i32 s16, 8
	s_cbranch_scc1 .LBB95_916
; %bb.907:
	s_cmp_lt_i32 s16, 9
	s_cbranch_scc1 .LBB95_913
; %bb.908:
	s_cmp_gt_i32 s16, 9
	s_cbranch_scc0 .LBB95_910
; %bb.909:
	v_cndmask_b32_e64 v3, 0, 1, s[0:1]
	v_cvt_f64_u32_e32 v[3:4], v3
	v_mov_b32_e32 v5, 0
	v_mov_b32_e32 v6, v5
	s_mov_b64 s[6:7], 0
	global_store_dwordx4 v[1:2], v[3:6], off
.LBB95_910:
	s_andn2_b64 vcc, exec, s[6:7]
	s_cbranch_vccnz .LBB95_912
; %bb.911:
	v_cndmask_b32_e64 v3, 0, 1.0, s[0:1]
	v_mov_b32_e32 v4, 0
	global_store_dwordx2 v[1:2], v[3:4], off
.LBB95_912:
	s_mov_b64 s[6:7], 0
.LBB95_913:
	s_andn2_b64 vcc, exec, s[6:7]
	s_cbranch_vccnz .LBB95_915
; %bb.914:
	v_cndmask_b32_e64 v3, 0, 1.0, s[0:1]
	v_cvt_f16_f32_e32 v3, v3
	global_store_dword v[1:2], v3, off
.LBB95_915:
	s_mov_b64 s[6:7], 0
.LBB95_916:
	s_andn2_b64 vcc, exec, s[6:7]
	s_cbranch_vccnz .LBB95_925
; %bb.917:
	s_cmp_lt_i32 s16, 6
	s_mov_b64 s[6:7], -1
	s_cbranch_scc1 .LBB95_923
; %bb.918:
	s_cmp_gt_i32 s16, 6
	s_cbranch_scc0 .LBB95_920
; %bb.919:
	v_cndmask_b32_e64 v3, 0, 1, s[0:1]
	v_cvt_f64_u32_e32 v[3:4], v3
	s_mov_b64 s[6:7], 0
	global_store_dwordx2 v[1:2], v[3:4], off
.LBB95_920:
	s_andn2_b64 vcc, exec, s[6:7]
	s_cbranch_vccnz .LBB95_922
; %bb.921:
	v_cndmask_b32_e64 v3, 0, 1.0, s[0:1]
	global_store_dword v[1:2], v3, off
.LBB95_922:
	s_mov_b64 s[6:7], 0
.LBB95_923:
	s_andn2_b64 vcc, exec, s[6:7]
	s_cbranch_vccnz .LBB95_925
; %bb.924:
	v_cndmask_b32_e64 v3, 0, 1.0, s[0:1]
	v_cvt_f16_f32_e32 v3, v3
	global_store_short v[1:2], v3, off
.LBB95_925:
	s_mov_b64 s[6:7], 0
.LBB95_926:
	s_andn2_b64 vcc, exec, s[6:7]
	s_cbranch_vccnz .LBB95_942
; %bb.927:
	s_cmp_lt_i32 s16, 2
	s_mov_b64 s[6:7], -1
	s_cbranch_scc1 .LBB95_937
; %bb.928:
	s_cmp_lt_i32 s16, 3
	s_cbranch_scc1 .LBB95_934
; %bb.929:
	s_cmp_gt_i32 s16, 3
	s_cbranch_scc0 .LBB95_931
; %bb.930:
	s_and_b32 s6, s14, 0xff
	v_mov_b32_e32 v3, s6
	v_mov_b32_e32 v4, 0
	global_store_dwordx2 v[1:2], v[3:4], off
	s_mov_b64 s[6:7], 0
.LBB95_931:
	s_andn2_b64 vcc, exec, s[6:7]
	s_cbranch_vccnz .LBB95_933
; %bb.932:
	s_and_b32 s6, s14, 0xff
	v_mov_b32_e32 v3, s6
	global_store_dword v[1:2], v3, off
.LBB95_933:
	s_mov_b64 s[6:7], 0
.LBB95_934:
	s_andn2_b64 vcc, exec, s[6:7]
	s_cbranch_vccnz .LBB95_936
; %bb.935:
	s_and_b32 s6, s14, 0xff
	v_mov_b32_e32 v3, s6
	global_store_short v[1:2], v3, off
.LBB95_936:
	s_mov_b64 s[6:7], 0
.LBB95_937:
	s_andn2_b64 vcc, exec, s[6:7]
	s_cbranch_vccnz .LBB95_942
; %bb.938:
	s_cmp_gt_i32 s16, 0
	s_mov_b64 s[6:7], -1
	s_cbranch_scc0 .LBB95_940
; %bb.939:
	v_mov_b32_e32 v3, s14
	global_store_byte v[1:2], v3, off
	s_mov_b64 s[6:7], 0
.LBB95_940:
	s_andn2_b64 vcc, exec, s[6:7]
	s_cbranch_vccnz .LBB95_942
; %bb.941:
	v_mov_b32_e32 v3, s14
	global_store_byte v[1:2], v3, off
.LBB95_942:
	s_branch .LBB95_802
.LBB95_943:
	s_mov_b64 s[4:5], 0
	s_mov_b64 s[6:7], 0
                                        ; implicit-def: $sgpr15
                                        ; implicit-def: $vgpr0_vgpr1
.LBB95_944:
	s_and_b64 s[18:19], s[6:7], exec
	s_andn2_b64 s[6:7], s[20:21], exec
	s_and_b64 s[2:3], s[2:3], exec
	s_and_b64 s[4:5], s[4:5], exec
	s_or_b64 s[20:21], s[6:7], s[2:3]
.LBB95_945:
	s_or_b64 exec, exec, s[22:23]
	s_and_saveexec_b64 s[2:3], s[20:21]
	s_cbranch_execz .LBB95_948
; %bb.946:
	; divergent unreachable
	s_or_b64 exec, exec, s[2:3]
	s_and_saveexec_b64 s[2:3], s[18:19]
	s_xor_b64 s[2:3], exec, s[2:3]
	s_cbranch_execnz .LBB95_949
.LBB95_947:
	s_or_b64 exec, exec, s[2:3]
	s_and_saveexec_b64 s[2:3], s[4:5]
	s_cbranch_execnz .LBB95_950
	s_branch .LBB95_987
.LBB95_948:
	s_or_b64 exec, exec, s[2:3]
	s_and_saveexec_b64 s[2:3], s[18:19]
	s_xor_b64 s[2:3], exec, s[2:3]
	s_cbranch_execz .LBB95_947
.LBB95_949:
	v_mov_b32_e32 v2, s14
	global_store_byte v[0:1], v2, off
	s_or_b64 exec, exec, s[2:3]
	s_and_saveexec_b64 s[2:3], s[4:5]
	s_cbranch_execz .LBB95_987
.LBB95_950:
	s_sext_i32_i16 s4, s15
	s_cmp_lt_i32 s4, 5
	s_mov_b64 s[2:3], -1
	s_cbranch_scc1 .LBB95_971
; %bb.951:
	s_cmp_lt_i32 s4, 8
	s_cbranch_scc1 .LBB95_961
; %bb.952:
	s_cmp_lt_i32 s4, 9
	s_cbranch_scc1 .LBB95_958
; %bb.953:
	s_cmp_gt_i32 s4, 9
	s_cbranch_scc0 .LBB95_955
; %bb.954:
	v_cndmask_b32_e64 v2, 0, 1, s[0:1]
	v_cvt_f64_u32_e32 v[2:3], v2
	v_mov_b32_e32 v4, 0
	v_mov_b32_e32 v5, v4
	s_mov_b64 s[2:3], 0
	global_store_dwordx4 v[0:1], v[2:5], off
.LBB95_955:
	s_andn2_b64 vcc, exec, s[2:3]
	s_cbranch_vccnz .LBB95_957
; %bb.956:
	v_cndmask_b32_e64 v2, 0, 1.0, s[0:1]
	v_mov_b32_e32 v3, 0
	global_store_dwordx2 v[0:1], v[2:3], off
.LBB95_957:
	s_mov_b64 s[2:3], 0
.LBB95_958:
	s_andn2_b64 vcc, exec, s[2:3]
	s_cbranch_vccnz .LBB95_960
; %bb.959:
	v_cndmask_b32_e64 v2, 0, 1.0, s[0:1]
	v_cvt_f16_f32_e32 v2, v2
	global_store_dword v[0:1], v2, off
.LBB95_960:
	s_mov_b64 s[2:3], 0
.LBB95_961:
	s_andn2_b64 vcc, exec, s[2:3]
	s_cbranch_vccnz .LBB95_970
; %bb.962:
	s_sext_i32_i16 s4, s15
	s_cmp_lt_i32 s4, 6
	s_mov_b64 s[2:3], -1
	s_cbranch_scc1 .LBB95_968
; %bb.963:
	s_cmp_gt_i32 s4, 6
	s_cbranch_scc0 .LBB95_965
; %bb.964:
	v_cndmask_b32_e64 v2, 0, 1, s[0:1]
	v_cvt_f64_u32_e32 v[2:3], v2
	s_mov_b64 s[2:3], 0
	global_store_dwordx2 v[0:1], v[2:3], off
.LBB95_965:
	s_andn2_b64 vcc, exec, s[2:3]
	s_cbranch_vccnz .LBB95_967
; %bb.966:
	v_cndmask_b32_e64 v2, 0, 1.0, s[0:1]
	global_store_dword v[0:1], v2, off
.LBB95_967:
	s_mov_b64 s[2:3], 0
.LBB95_968:
	s_andn2_b64 vcc, exec, s[2:3]
	s_cbranch_vccnz .LBB95_970
; %bb.969:
	v_cndmask_b32_e64 v2, 0, 1.0, s[0:1]
	v_cvt_f16_f32_e32 v2, v2
	global_store_short v[0:1], v2, off
.LBB95_970:
	s_mov_b64 s[2:3], 0
.LBB95_971:
	s_andn2_b64 vcc, exec, s[2:3]
	s_cbranch_vccnz .LBB95_987
; %bb.972:
	s_sext_i32_i16 s2, s15
	s_cmp_lt_i32 s2, 2
	s_mov_b64 s[0:1], -1
	s_cbranch_scc1 .LBB95_982
; %bb.973:
	s_cmp_lt_i32 s2, 3
	s_cbranch_scc1 .LBB95_979
; %bb.974:
	s_cmp_gt_i32 s2, 3
	s_cbranch_scc0 .LBB95_976
; %bb.975:
	s_and_b32 s0, s14, 0xff
	v_mov_b32_e32 v2, s0
	v_mov_b32_e32 v3, 0
	global_store_dwordx2 v[0:1], v[2:3], off
	s_mov_b64 s[0:1], 0
.LBB95_976:
	s_andn2_b64 vcc, exec, s[0:1]
	s_cbranch_vccnz .LBB95_978
; %bb.977:
	s_and_b32 s0, s14, 0xff
	v_mov_b32_e32 v2, s0
	global_store_dword v[0:1], v2, off
.LBB95_978:
	s_mov_b64 s[0:1], 0
.LBB95_979:
	s_andn2_b64 vcc, exec, s[0:1]
	s_cbranch_vccnz .LBB95_981
; %bb.980:
	s_and_b32 s0, s14, 0xff
	v_mov_b32_e32 v2, s0
	global_store_short v[0:1], v2, off
.LBB95_981:
	s_mov_b64 s[0:1], 0
.LBB95_982:
	s_andn2_b64 vcc, exec, s[0:1]
	s_cbranch_vccnz .LBB95_987
; %bb.983:
	s_sext_i32_i16 s0, s15
	s_cmp_gt_i32 s0, 0
	s_mov_b64 s[0:1], -1
	s_cbranch_scc0 .LBB95_985
; %bb.984:
	v_mov_b32_e32 v2, s14
	global_store_byte v[0:1], v2, off
	s_mov_b64 s[0:1], 0
.LBB95_985:
	s_andn2_b64 vcc, exec, s[0:1]
	s_cbranch_vccnz .LBB95_987
; %bb.986:
	v_mov_b32_e32 v2, s14
	global_store_byte v[0:1], v2, off
	s_endpgm
.LBB95_987:
	s_endpgm
.LBB95_988:
	s_trap 2
	s_or_b64 s[2:3], s[2:3], exec
	s_cbranch_execz .LBB95_903
	s_branch .LBB95_904
.LBB95_989:
	s_mov_b64 s[8:9], -1
	s_mov_b64 s[6:7], 0
                                        ; implicit-def: $sgpr10
.LBB95_990:
	s_andn2_b64 vcc, exec, s[8:9]
	v_mov_b32_e32 v3, s10
	s_cbranch_vccnz .LBB95_992
; %bb.991:
	v_add_f32_e32 v2, 0x42800000, v2
	v_and_b32_e32 v3, 0xff, v2
	v_cmp_ne_u32_e64 s[6:7], 0, v3
.LBB95_992:
	s_andn2_b64 vcc, exec, s[6:7]
	v_mov_b32_e32 v4, 0
	s_cbranch_vccnz .LBB95_994
; %bb.993:
	v_mov_b32_e32 v4, v3
.LBB95_994:
	s_mov_b64 s[6:7], 0
	global_store_byte v[0:1], v4, off
.LBB95_995:
	s_and_b64 vcc, exec, s[6:7]
	s_cbranch_vccz .LBB95_1007
; %bb.996:
	v_cndmask_b32_e64 v2, 0, 1.0, s[0:1]
	s_mov_b32 s6, 0x43f00000
	v_cmp_gt_u32_e32 vcc, s6, v2
	v_readfirstlane_b32 s8, v2
	s_cbranch_vccz .LBB95_999
; %bb.997:
	s_cmp_gt_u32 s8, 0x3c7fffff
	s_cbranch_scc0 .LBB95_1000
; %bb.998:
	s_bfe_u32 s6, s8, 0x10014
	s_add_i32 s6, s8, s6
	s_add_i32 s6, s6, 0x407ffff
	s_lshr_b32 s7, s6, 20
	s_and_b32 s6, s6, 0xff00000
	s_cmp_lg_u32 s6, 0x7f00000
	s_cselect_b32 s9, s7, 0x7e
	s_mov_b64 s[6:7], 0
	s_branch .LBB95_1001
.LBB95_999:
	s_mov_b64 s[6:7], -1
                                        ; implicit-def: $vgpr3
	s_branch .LBB95_1004
.LBB95_1000:
	s_mov_b64 s[6:7], -1
                                        ; implicit-def: $sgpr9
.LBB95_1001:
	s_andn2_b64 vcc, exec, s[6:7]
	v_mov_b32_e32 v3, s9
	s_cbranch_vccnz .LBB95_1003
; %bb.1002:
	v_add_f32_e32 v3, 0x46800000, v2
.LBB95_1003:
	s_mov_b64 s[6:7], 0
.LBB95_1004:
	s_andn2_b64 vcc, exec, s[6:7]
	s_cbranch_vccnz .LBB95_1006
; %bb.1005:
	s_cmp_gt_u32 s8, 0x7f800000
	s_movk_i32 s6, 0x7f
	s_cselect_b32 s6, s6, 0x7e
	v_mov_b32_e32 v3, s6
.LBB95_1006:
	global_store_byte v[0:1], v3, off
.LBB95_1007:
	s_mov_b64 s[6:7], 0
.LBB95_1008:
	s_andn2_b64 vcc, exec, s[6:7]
	s_cbranch_vccnz .LBB95_1020
; %bb.1009:
	v_cndmask_b32_e64 v2, 0, 1.0, s[0:1]
	s_mov_b32 s6, 0x47800000
	v_cmp_gt_u32_e32 vcc, s6, v2
	v_readfirstlane_b32 s8, v2
	s_cbranch_vccz .LBB95_1012
; %bb.1010:
	s_cmp_gt_u32 s8, 0x387fffff
	s_cbranch_scc0 .LBB95_1013
; %bb.1011:
	s_bfe_u32 s6, s8, 0x10015
	s_add_i32 s6, s8, s6
	s_add_i32 s6, s6, 0x80fffff
	s_lshr_b32 s9, s6, 21
	s_mov_b64 s[6:7], 0
	s_branch .LBB95_1014
.LBB95_1012:
	s_mov_b64 s[6:7], -1
                                        ; implicit-def: $vgpr3
	s_branch .LBB95_1017
.LBB95_1013:
	s_mov_b64 s[6:7], -1
                                        ; implicit-def: $sgpr9
.LBB95_1014:
	s_andn2_b64 vcc, exec, s[6:7]
	v_mov_b32_e32 v3, s9
	s_cbranch_vccnz .LBB95_1016
; %bb.1015:
	v_add_f32_e32 v3, 0x43000000, v2
.LBB95_1016:
	s_mov_b64 s[6:7], 0
.LBB95_1017:
	s_andn2_b64 vcc, exec, s[6:7]
	s_cbranch_vccnz .LBB95_1019
; %bb.1018:
	s_cmp_gt_u32 s8, 0x7f800000
	s_movk_i32 s6, 0x7f
	s_cselect_b32 s6, s6, 0x7c
	v_mov_b32_e32 v3, s6
.LBB95_1019:
	global_store_byte v[0:1], v3, off
.LBB95_1020:
	s_mov_b64 s[6:7], 0
.LBB95_1021:
	s_andn2_b64 vcc, exec, s[6:7]
	s_mov_b64 s[6:7], 0
	s_cbranch_vccnz .LBB95_1028
; %bb.1022:
	s_cmp_gt_i32 s16, 14
	s_mov_b64 s[8:9], -1
	s_cbranch_scc0 .LBB95_1026
; %bb.1023:
	s_cmp_eq_u32 s16, 15
	s_mov_b64 s[4:5], -1
	s_cbranch_scc0 .LBB95_1025
; %bb.1024:
	v_cndmask_b32_e64 v2, 0, 1.0, s[0:1]
	v_bfe_u32 v3, v2, 16, 1
	v_add_u32_e32 v2, v2, v3
	v_add_u32_e32 v2, 0x7fff, v2
	global_store_short_d16_hi v[0:1], v2, off
	s_mov_b64 s[4:5], 0
.LBB95_1025:
	s_mov_b64 s[8:9], 0
.LBB95_1026:
	s_and_b64 vcc, exec, s[8:9]
	s_cbranch_vccz .LBB95_1028
; %bb.1027:
	s_cmp_lg_u32 s16, 11
	s_mov_b64 s[6:7], -1
	s_cselect_b64 s[4:5], -1, 0
.LBB95_1028:
	s_and_b64 vcc, exec, s[4:5]
	s_cbranch_vccnz .LBB95_1030
.LBB95_1029:
	s_mov_b64 s[4:5], 0
	s_branch .LBB95_944
.LBB95_1030:
	s_mov_b64 s[6:7], 0
	s_or_b64 s[2:3], s[2:3], exec
	s_trap 2
	s_branch .LBB95_1029
	.section	.rodata,"a",@progbits
	.p2align	6, 0x0
	.amdhsa_kernel _ZN2at6native32elementwise_kernel_manual_unrollILi128ELi4EZNS0_15gpu_kernel_implINS0_11FillFunctorIbEEEEvRNS_18TensorIteratorBaseERKT_EUlibE0_EEviT1_
		.amdhsa_group_segment_fixed_size 0
		.amdhsa_private_segment_fixed_size 0
		.amdhsa_kernarg_size 288
		.amdhsa_user_sgpr_count 6
		.amdhsa_user_sgpr_private_segment_buffer 1
		.amdhsa_user_sgpr_dispatch_ptr 0
		.amdhsa_user_sgpr_queue_ptr 0
		.amdhsa_user_sgpr_kernarg_segment_ptr 1
		.amdhsa_user_sgpr_dispatch_id 0
		.amdhsa_user_sgpr_flat_scratch_init 0
		.amdhsa_user_sgpr_private_segment_size 0
		.amdhsa_uses_dynamic_stack 0
		.amdhsa_system_sgpr_private_segment_wavefront_offset 0
		.amdhsa_system_sgpr_workgroup_id_x 1
		.amdhsa_system_sgpr_workgroup_id_y 0
		.amdhsa_system_sgpr_workgroup_id_z 0
		.amdhsa_system_sgpr_workgroup_info 0
		.amdhsa_system_vgpr_workitem_id 0
		.amdhsa_next_free_vgpr 25
		.amdhsa_next_free_sgpr 88
		.amdhsa_reserve_vcc 1
		.amdhsa_reserve_flat_scratch 0
		.amdhsa_float_round_mode_32 0
		.amdhsa_float_round_mode_16_64 0
		.amdhsa_float_denorm_mode_32 3
		.amdhsa_float_denorm_mode_16_64 3
		.amdhsa_dx10_clamp 1
		.amdhsa_ieee_mode 1
		.amdhsa_fp16_overflow 0
		.amdhsa_exception_fp_ieee_invalid_op 0
		.amdhsa_exception_fp_denorm_src 0
		.amdhsa_exception_fp_ieee_div_zero 0
		.amdhsa_exception_fp_ieee_overflow 0
		.amdhsa_exception_fp_ieee_underflow 0
		.amdhsa_exception_fp_ieee_inexact 0
		.amdhsa_exception_int_div_zero 0
	.end_amdhsa_kernel
	.section	.text._ZN2at6native32elementwise_kernel_manual_unrollILi128ELi4EZNS0_15gpu_kernel_implINS0_11FillFunctorIbEEEEvRNS_18TensorIteratorBaseERKT_EUlibE0_EEviT1_,"axG",@progbits,_ZN2at6native32elementwise_kernel_manual_unrollILi128ELi4EZNS0_15gpu_kernel_implINS0_11FillFunctorIbEEEEvRNS_18TensorIteratorBaseERKT_EUlibE0_EEviT1_,comdat
.Lfunc_end95:
	.size	_ZN2at6native32elementwise_kernel_manual_unrollILi128ELi4EZNS0_15gpu_kernel_implINS0_11FillFunctorIbEEEEvRNS_18TensorIteratorBaseERKT_EUlibE0_EEviT1_, .Lfunc_end95-_ZN2at6native32elementwise_kernel_manual_unrollILi128ELi4EZNS0_15gpu_kernel_implINS0_11FillFunctorIbEEEEvRNS_18TensorIteratorBaseERKT_EUlibE0_EEviT1_
                                        ; -- End function
	.set _ZN2at6native32elementwise_kernel_manual_unrollILi128ELi4EZNS0_15gpu_kernel_implINS0_11FillFunctorIbEEEEvRNS_18TensorIteratorBaseERKT_EUlibE0_EEviT1_.num_vgpr, 25
	.set _ZN2at6native32elementwise_kernel_manual_unrollILi128ELi4EZNS0_15gpu_kernel_implINS0_11FillFunctorIbEEEEvRNS_18TensorIteratorBaseERKT_EUlibE0_EEviT1_.num_agpr, 0
	.set _ZN2at6native32elementwise_kernel_manual_unrollILi128ELi4EZNS0_15gpu_kernel_implINS0_11FillFunctorIbEEEEvRNS_18TensorIteratorBaseERKT_EUlibE0_EEviT1_.numbered_sgpr, 88
	.set _ZN2at6native32elementwise_kernel_manual_unrollILi128ELi4EZNS0_15gpu_kernel_implINS0_11FillFunctorIbEEEEvRNS_18TensorIteratorBaseERKT_EUlibE0_EEviT1_.num_named_barrier, 0
	.set _ZN2at6native32elementwise_kernel_manual_unrollILi128ELi4EZNS0_15gpu_kernel_implINS0_11FillFunctorIbEEEEvRNS_18TensorIteratorBaseERKT_EUlibE0_EEviT1_.private_seg_size, 0
	.set _ZN2at6native32elementwise_kernel_manual_unrollILi128ELi4EZNS0_15gpu_kernel_implINS0_11FillFunctorIbEEEEvRNS_18TensorIteratorBaseERKT_EUlibE0_EEviT1_.uses_vcc, 1
	.set _ZN2at6native32elementwise_kernel_manual_unrollILi128ELi4EZNS0_15gpu_kernel_implINS0_11FillFunctorIbEEEEvRNS_18TensorIteratorBaseERKT_EUlibE0_EEviT1_.uses_flat_scratch, 0
	.set _ZN2at6native32elementwise_kernel_manual_unrollILi128ELi4EZNS0_15gpu_kernel_implINS0_11FillFunctorIbEEEEvRNS_18TensorIteratorBaseERKT_EUlibE0_EEviT1_.has_dyn_sized_stack, 0
	.set _ZN2at6native32elementwise_kernel_manual_unrollILi128ELi4EZNS0_15gpu_kernel_implINS0_11FillFunctorIbEEEEvRNS_18TensorIteratorBaseERKT_EUlibE0_EEviT1_.has_recursion, 0
	.set _ZN2at6native32elementwise_kernel_manual_unrollILi128ELi4EZNS0_15gpu_kernel_implINS0_11FillFunctorIbEEEEvRNS_18TensorIteratorBaseERKT_EUlibE0_EEviT1_.has_indirect_call, 0
	.section	.AMDGPU.csdata,"",@progbits
; Kernel info:
; codeLenInByte = 16648
; TotalNumSgprs: 92
; NumVgprs: 25
; ScratchSize: 0
; MemoryBound: 0
; FloatMode: 240
; IeeeMode: 1
; LDSByteSize: 0 bytes/workgroup (compile time only)
; SGPRBlocks: 11
; VGPRBlocks: 6
; NumSGPRsForWavesPerEU: 92
; NumVGPRsForWavesPerEU: 25
; Occupancy: 8
; WaveLimiterHint : 1
; COMPUTE_PGM_RSRC2:SCRATCH_EN: 0
; COMPUTE_PGM_RSRC2:USER_SGPR: 6
; COMPUTE_PGM_RSRC2:TRAP_HANDLER: 0
; COMPUTE_PGM_RSRC2:TGID_X_EN: 1
; COMPUTE_PGM_RSRC2:TGID_Y_EN: 0
; COMPUTE_PGM_RSRC2:TGID_Z_EN: 0
; COMPUTE_PGM_RSRC2:TIDIG_COMP_CNT: 0
	.section	.text._ZN2at6native29vectorized_elementwise_kernelILi16ENS0_11FillFunctorIN3c104HalfEEESt5arrayIPcLm1EEEEviT0_T1_,"axG",@progbits,_ZN2at6native29vectorized_elementwise_kernelILi16ENS0_11FillFunctorIN3c104HalfEEESt5arrayIPcLm1EEEEviT0_T1_,comdat
	.protected	_ZN2at6native29vectorized_elementwise_kernelILi16ENS0_11FillFunctorIN3c104HalfEEESt5arrayIPcLm1EEEEviT0_T1_ ; -- Begin function _ZN2at6native29vectorized_elementwise_kernelILi16ENS0_11FillFunctorIN3c104HalfEEESt5arrayIPcLm1EEEEviT0_T1_
	.globl	_ZN2at6native29vectorized_elementwise_kernelILi16ENS0_11FillFunctorIN3c104HalfEEESt5arrayIPcLm1EEEEviT0_T1_
	.p2align	8
	.type	_ZN2at6native29vectorized_elementwise_kernelILi16ENS0_11FillFunctorIN3c104HalfEEESt5arrayIPcLm1EEEEviT0_T1_,@function
_ZN2at6native29vectorized_elementwise_kernelILi16ENS0_11FillFunctorIN3c104HalfEEESt5arrayIPcLm1EEEEviT0_T1_: ; @_ZN2at6native29vectorized_elementwise_kernelILi16ENS0_11FillFunctorIN3c104HalfEEESt5arrayIPcLm1EEEEviT0_T1_
; %bb.0:
	s_load_dwordx4 s[0:3], s[4:5], 0x0
	s_lshl_b32 s4, s6, 11
	s_mov_b64 s[6:7], -1
	s_waitcnt lgkmcnt(0)
	s_sub_i32 s0, s0, s4
	s_cmpk_gt_i32 s0, 0x7ff
	s_cbranch_scc0 .LBB96_2
; %bb.1:
	s_ashr_i32 s5, s4, 31
	s_lshl_b64 s[6:7], s[4:5], 1
	s_add_u32 s6, s2, s6
	s_pack_ll_b32_b16 s5, s1, s1
	s_addc_u32 s7, s3, s7
	v_lshlrev_b32_e32 v5, 4, v0
	v_mov_b32_e32 v1, s5
	v_mov_b32_e32 v2, s5
	;; [unrolled: 1-line block ×4, first 2 shown]
	global_store_dwordx4 v5, v[1:4], s[6:7]
	s_mov_b64 s[6:7], 0
.LBB96_2:
	s_andn2_b64 vcc, exec, s[6:7]
	s_cbranch_vccnz .LBB96_12
; %bb.3:
	v_cmp_gt_i32_e32 vcc, s0, v0
	s_and_saveexec_b64 s[6:7], vcc
	s_cbranch_execnz .LBB96_13
; %bb.4:
	s_or_b64 exec, exec, s[6:7]
	v_cmp_gt_i32_e32 vcc, s0, v0
	s_and_saveexec_b64 s[6:7], vcc
	s_cbranch_execnz .LBB96_14
.LBB96_5:
	s_or_b64 exec, exec, s[6:7]
	v_cmp_gt_i32_e32 vcc, s0, v0
	s_and_saveexec_b64 s[6:7], vcc
	s_cbranch_execnz .LBB96_15
.LBB96_6:
	s_or_b64 exec, exec, s[6:7]
	v_cmp_gt_i32_e32 vcc, s0, v0
	s_and_saveexec_b64 s[6:7], vcc
	s_cbranch_execnz .LBB96_16
.LBB96_7:
	s_or_b64 exec, exec, s[6:7]
	v_cmp_gt_i32_e32 vcc, s0, v0
	s_and_saveexec_b64 s[6:7], vcc
	s_cbranch_execnz .LBB96_17
.LBB96_8:
	s_or_b64 exec, exec, s[6:7]
	v_cmp_gt_i32_e32 vcc, s0, v0
	s_and_saveexec_b64 s[6:7], vcc
	s_cbranch_execnz .LBB96_18
.LBB96_9:
	s_or_b64 exec, exec, s[6:7]
	v_cmp_gt_i32_e32 vcc, s0, v0
	s_and_saveexec_b64 s[6:7], vcc
	s_cbranch_execnz .LBB96_19
.LBB96_10:
	s_or_b64 exec, exec, s[6:7]
	v_cmp_gt_i32_e32 vcc, s0, v0
	s_and_saveexec_b64 s[6:7], vcc
	s_cbranch_execz .LBB96_12
.LBB96_11:
	v_add_u32_e32 v0, s4, v0
	v_mov_b32_e32 v1, 0
	v_lshlrev_b64 v[0:1], 1, v[0:1]
	v_mov_b32_e32 v2, s3
	v_add_co_u32_e32 v0, vcc, s2, v0
	v_addc_co_u32_e32 v1, vcc, v2, v1, vcc
	v_mov_b32_e32 v2, s1
	global_store_short v[0:1], v2, off
.LBB96_12:
	s_endpgm
.LBB96_13:
	v_or_b32_e32 v2, 0x100, v0
	v_or_b32_e32 v0, s4, v0
	v_mov_b32_e32 v1, 0
	v_lshlrev_b64 v[0:1], 1, v[0:1]
	v_mov_b32_e32 v3, s3
	v_add_co_u32_e32 v0, vcc, s2, v0
	v_addc_co_u32_e32 v1, vcc, v3, v1, vcc
	v_mov_b32_e32 v3, s1
	global_store_short v[0:1], v3, off
	v_mov_b32_e32 v0, v2
	s_or_b64 exec, exec, s[6:7]
	v_cmp_gt_i32_e32 vcc, s0, v0
	s_and_saveexec_b64 s[6:7], vcc
	s_cbranch_execz .LBB96_5
.LBB96_14:
	v_add_u32_e32 v1, s4, v0
	v_mov_b32_e32 v2, 0
	v_lshlrev_b64 v[1:2], 1, v[1:2]
	v_mov_b32_e32 v3, s3
	v_add_co_u32_e32 v1, vcc, s2, v1
	v_addc_co_u32_e32 v2, vcc, v3, v2, vcc
	v_add_u32_e32 v0, 0x100, v0
	v_mov_b32_e32 v3, s1
	global_store_short v[1:2], v3, off
	s_or_b64 exec, exec, s[6:7]
	v_cmp_gt_i32_e32 vcc, s0, v0
	s_and_saveexec_b64 s[6:7], vcc
	s_cbranch_execz .LBB96_6
.LBB96_15:
	v_add_u32_e32 v1, s4, v0
	v_mov_b32_e32 v2, 0
	v_lshlrev_b64 v[1:2], 1, v[1:2]
	v_mov_b32_e32 v3, s3
	v_add_co_u32_e32 v1, vcc, s2, v1
	v_addc_co_u32_e32 v2, vcc, v3, v2, vcc
	v_add_u32_e32 v0, 0x100, v0
	v_mov_b32_e32 v3, s1
	global_store_short v[1:2], v3, off
	s_or_b64 exec, exec, s[6:7]
	v_cmp_gt_i32_e32 vcc, s0, v0
	s_and_saveexec_b64 s[6:7], vcc
	s_cbranch_execz .LBB96_7
.LBB96_16:
	v_add_u32_e32 v1, s4, v0
	v_mov_b32_e32 v2, 0
	v_lshlrev_b64 v[1:2], 1, v[1:2]
	v_mov_b32_e32 v3, s3
	v_add_co_u32_e32 v1, vcc, s2, v1
	v_addc_co_u32_e32 v2, vcc, v3, v2, vcc
	v_add_u32_e32 v0, 0x100, v0
	v_mov_b32_e32 v3, s1
	global_store_short v[1:2], v3, off
	s_or_b64 exec, exec, s[6:7]
	v_cmp_gt_i32_e32 vcc, s0, v0
	s_and_saveexec_b64 s[6:7], vcc
	s_cbranch_execz .LBB96_8
.LBB96_17:
	v_add_u32_e32 v1, s4, v0
	v_mov_b32_e32 v2, 0
	v_lshlrev_b64 v[1:2], 1, v[1:2]
	v_mov_b32_e32 v3, s3
	v_add_co_u32_e32 v1, vcc, s2, v1
	v_addc_co_u32_e32 v2, vcc, v3, v2, vcc
	v_add_u32_e32 v0, 0x100, v0
	v_mov_b32_e32 v3, s1
	global_store_short v[1:2], v3, off
	s_or_b64 exec, exec, s[6:7]
	v_cmp_gt_i32_e32 vcc, s0, v0
	s_and_saveexec_b64 s[6:7], vcc
	s_cbranch_execz .LBB96_9
.LBB96_18:
	v_add_u32_e32 v1, s4, v0
	v_mov_b32_e32 v2, 0
	v_lshlrev_b64 v[1:2], 1, v[1:2]
	v_mov_b32_e32 v3, s3
	v_add_co_u32_e32 v1, vcc, s2, v1
	v_addc_co_u32_e32 v2, vcc, v3, v2, vcc
	v_add_u32_e32 v0, 0x100, v0
	v_mov_b32_e32 v3, s1
	global_store_short v[1:2], v3, off
	s_or_b64 exec, exec, s[6:7]
	v_cmp_gt_i32_e32 vcc, s0, v0
	s_and_saveexec_b64 s[6:7], vcc
	s_cbranch_execz .LBB96_10
.LBB96_19:
	v_add_u32_e32 v1, s4, v0
	v_mov_b32_e32 v2, 0
	v_lshlrev_b64 v[1:2], 1, v[1:2]
	v_mov_b32_e32 v3, s3
	v_add_co_u32_e32 v1, vcc, s2, v1
	v_addc_co_u32_e32 v2, vcc, v3, v2, vcc
	v_add_u32_e32 v0, 0x100, v0
	v_mov_b32_e32 v3, s1
	global_store_short v[1:2], v3, off
	s_or_b64 exec, exec, s[6:7]
	v_cmp_gt_i32_e32 vcc, s0, v0
	s_and_saveexec_b64 s[6:7], vcc
	s_cbranch_execnz .LBB96_11
	s_branch .LBB96_12
	.section	.rodata,"a",@progbits
	.p2align	6, 0x0
	.amdhsa_kernel _ZN2at6native29vectorized_elementwise_kernelILi16ENS0_11FillFunctorIN3c104HalfEEESt5arrayIPcLm1EEEEviT0_T1_
		.amdhsa_group_segment_fixed_size 0
		.amdhsa_private_segment_fixed_size 0
		.amdhsa_kernarg_size 16
		.amdhsa_user_sgpr_count 6
		.amdhsa_user_sgpr_private_segment_buffer 1
		.amdhsa_user_sgpr_dispatch_ptr 0
		.amdhsa_user_sgpr_queue_ptr 0
		.amdhsa_user_sgpr_kernarg_segment_ptr 1
		.amdhsa_user_sgpr_dispatch_id 0
		.amdhsa_user_sgpr_flat_scratch_init 0
		.amdhsa_user_sgpr_private_segment_size 0
		.amdhsa_uses_dynamic_stack 0
		.amdhsa_system_sgpr_private_segment_wavefront_offset 0
		.amdhsa_system_sgpr_workgroup_id_x 1
		.amdhsa_system_sgpr_workgroup_id_y 0
		.amdhsa_system_sgpr_workgroup_id_z 0
		.amdhsa_system_sgpr_workgroup_info 0
		.amdhsa_system_vgpr_workitem_id 0
		.amdhsa_next_free_vgpr 6
		.amdhsa_next_free_sgpr 8
		.amdhsa_reserve_vcc 1
		.amdhsa_reserve_flat_scratch 0
		.amdhsa_float_round_mode_32 0
		.amdhsa_float_round_mode_16_64 0
		.amdhsa_float_denorm_mode_32 3
		.amdhsa_float_denorm_mode_16_64 3
		.amdhsa_dx10_clamp 1
		.amdhsa_ieee_mode 1
		.amdhsa_fp16_overflow 0
		.amdhsa_exception_fp_ieee_invalid_op 0
		.amdhsa_exception_fp_denorm_src 0
		.amdhsa_exception_fp_ieee_div_zero 0
		.amdhsa_exception_fp_ieee_overflow 0
		.amdhsa_exception_fp_ieee_underflow 0
		.amdhsa_exception_fp_ieee_inexact 0
		.amdhsa_exception_int_div_zero 0
	.end_amdhsa_kernel
	.section	.text._ZN2at6native29vectorized_elementwise_kernelILi16ENS0_11FillFunctorIN3c104HalfEEESt5arrayIPcLm1EEEEviT0_T1_,"axG",@progbits,_ZN2at6native29vectorized_elementwise_kernelILi16ENS0_11FillFunctorIN3c104HalfEEESt5arrayIPcLm1EEEEviT0_T1_,comdat
.Lfunc_end96:
	.size	_ZN2at6native29vectorized_elementwise_kernelILi16ENS0_11FillFunctorIN3c104HalfEEESt5arrayIPcLm1EEEEviT0_T1_, .Lfunc_end96-_ZN2at6native29vectorized_elementwise_kernelILi16ENS0_11FillFunctorIN3c104HalfEEESt5arrayIPcLm1EEEEviT0_T1_
                                        ; -- End function
	.set _ZN2at6native29vectorized_elementwise_kernelILi16ENS0_11FillFunctorIN3c104HalfEEESt5arrayIPcLm1EEEEviT0_T1_.num_vgpr, 6
	.set _ZN2at6native29vectorized_elementwise_kernelILi16ENS0_11FillFunctorIN3c104HalfEEESt5arrayIPcLm1EEEEviT0_T1_.num_agpr, 0
	.set _ZN2at6native29vectorized_elementwise_kernelILi16ENS0_11FillFunctorIN3c104HalfEEESt5arrayIPcLm1EEEEviT0_T1_.numbered_sgpr, 8
	.set _ZN2at6native29vectorized_elementwise_kernelILi16ENS0_11FillFunctorIN3c104HalfEEESt5arrayIPcLm1EEEEviT0_T1_.num_named_barrier, 0
	.set _ZN2at6native29vectorized_elementwise_kernelILi16ENS0_11FillFunctorIN3c104HalfEEESt5arrayIPcLm1EEEEviT0_T1_.private_seg_size, 0
	.set _ZN2at6native29vectorized_elementwise_kernelILi16ENS0_11FillFunctorIN3c104HalfEEESt5arrayIPcLm1EEEEviT0_T1_.uses_vcc, 1
	.set _ZN2at6native29vectorized_elementwise_kernelILi16ENS0_11FillFunctorIN3c104HalfEEESt5arrayIPcLm1EEEEviT0_T1_.uses_flat_scratch, 0
	.set _ZN2at6native29vectorized_elementwise_kernelILi16ENS0_11FillFunctorIN3c104HalfEEESt5arrayIPcLm1EEEEviT0_T1_.has_dyn_sized_stack, 0
	.set _ZN2at6native29vectorized_elementwise_kernelILi16ENS0_11FillFunctorIN3c104HalfEEESt5arrayIPcLm1EEEEviT0_T1_.has_recursion, 0
	.set _ZN2at6native29vectorized_elementwise_kernelILi16ENS0_11FillFunctorIN3c104HalfEEESt5arrayIPcLm1EEEEviT0_T1_.has_indirect_call, 0
	.section	.AMDGPU.csdata,"",@progbits
; Kernel info:
; codeLenInByte = 716
; TotalNumSgprs: 12
; NumVgprs: 6
; ScratchSize: 0
; MemoryBound: 0
; FloatMode: 240
; IeeeMode: 1
; LDSByteSize: 0 bytes/workgroup (compile time only)
; SGPRBlocks: 1
; VGPRBlocks: 1
; NumSGPRsForWavesPerEU: 12
; NumVGPRsForWavesPerEU: 6
; Occupancy: 10
; WaveLimiterHint : 0
; COMPUTE_PGM_RSRC2:SCRATCH_EN: 0
; COMPUTE_PGM_RSRC2:USER_SGPR: 6
; COMPUTE_PGM_RSRC2:TRAP_HANDLER: 0
; COMPUTE_PGM_RSRC2:TGID_X_EN: 1
; COMPUTE_PGM_RSRC2:TGID_Y_EN: 0
; COMPUTE_PGM_RSRC2:TGID_Z_EN: 0
; COMPUTE_PGM_RSRC2:TIDIG_COMP_CNT: 0
	.section	.text._ZN2at6native29vectorized_elementwise_kernelILi8ENS0_11FillFunctorIN3c104HalfEEESt5arrayIPcLm1EEEEviT0_T1_,"axG",@progbits,_ZN2at6native29vectorized_elementwise_kernelILi8ENS0_11FillFunctorIN3c104HalfEEESt5arrayIPcLm1EEEEviT0_T1_,comdat
	.protected	_ZN2at6native29vectorized_elementwise_kernelILi8ENS0_11FillFunctorIN3c104HalfEEESt5arrayIPcLm1EEEEviT0_T1_ ; -- Begin function _ZN2at6native29vectorized_elementwise_kernelILi8ENS0_11FillFunctorIN3c104HalfEEESt5arrayIPcLm1EEEEviT0_T1_
	.globl	_ZN2at6native29vectorized_elementwise_kernelILi8ENS0_11FillFunctorIN3c104HalfEEESt5arrayIPcLm1EEEEviT0_T1_
	.p2align	8
	.type	_ZN2at6native29vectorized_elementwise_kernelILi8ENS0_11FillFunctorIN3c104HalfEEESt5arrayIPcLm1EEEEviT0_T1_,@function
_ZN2at6native29vectorized_elementwise_kernelILi8ENS0_11FillFunctorIN3c104HalfEEESt5arrayIPcLm1EEEEviT0_T1_: ; @_ZN2at6native29vectorized_elementwise_kernelILi8ENS0_11FillFunctorIN3c104HalfEEESt5arrayIPcLm1EEEEviT0_T1_
; %bb.0:
	s_load_dwordx4 s[0:3], s[4:5], 0x0
	s_lshl_b32 s4, s6, 11
	s_mov_b64 s[6:7], -1
	s_waitcnt lgkmcnt(0)
	s_sub_i32 s0, s0, s4
	s_cmpk_gt_i32 s0, 0x7ff
	s_cbranch_scc0 .LBB97_2
; %bb.1:
	s_ashr_i32 s5, s4, 31
	s_lshl_b64 s[6:7], s[4:5], 1
	s_add_u32 s6, s2, s6
	s_pack_ll_b32_b16 s5, s1, s1
	s_addc_u32 s7, s3, s7
	v_lshlrev_b32_e32 v5, 4, v0
	v_mov_b32_e32 v1, s5
	v_mov_b32_e32 v2, s5
	;; [unrolled: 1-line block ×4, first 2 shown]
	global_store_dwordx4 v5, v[1:4], s[6:7]
	s_mov_b64 s[6:7], 0
.LBB97_2:
	s_andn2_b64 vcc, exec, s[6:7]
	s_cbranch_vccnz .LBB97_12
; %bb.3:
	v_cmp_gt_i32_e32 vcc, s0, v0
	s_and_saveexec_b64 s[6:7], vcc
	s_cbranch_execnz .LBB97_13
; %bb.4:
	s_or_b64 exec, exec, s[6:7]
	v_cmp_gt_i32_e32 vcc, s0, v0
	s_and_saveexec_b64 s[6:7], vcc
	s_cbranch_execnz .LBB97_14
.LBB97_5:
	s_or_b64 exec, exec, s[6:7]
	v_cmp_gt_i32_e32 vcc, s0, v0
	s_and_saveexec_b64 s[6:7], vcc
	s_cbranch_execnz .LBB97_15
.LBB97_6:
	s_or_b64 exec, exec, s[6:7]
	v_cmp_gt_i32_e32 vcc, s0, v0
	s_and_saveexec_b64 s[6:7], vcc
	s_cbranch_execnz .LBB97_16
.LBB97_7:
	s_or_b64 exec, exec, s[6:7]
	v_cmp_gt_i32_e32 vcc, s0, v0
	s_and_saveexec_b64 s[6:7], vcc
	s_cbranch_execnz .LBB97_17
.LBB97_8:
	s_or_b64 exec, exec, s[6:7]
	v_cmp_gt_i32_e32 vcc, s0, v0
	s_and_saveexec_b64 s[6:7], vcc
	s_cbranch_execnz .LBB97_18
.LBB97_9:
	s_or_b64 exec, exec, s[6:7]
	v_cmp_gt_i32_e32 vcc, s0, v0
	s_and_saveexec_b64 s[6:7], vcc
	s_cbranch_execnz .LBB97_19
.LBB97_10:
	s_or_b64 exec, exec, s[6:7]
	v_cmp_gt_i32_e32 vcc, s0, v0
	s_and_saveexec_b64 s[6:7], vcc
	s_cbranch_execz .LBB97_12
.LBB97_11:
	v_add_u32_e32 v0, s4, v0
	v_mov_b32_e32 v1, 0
	v_lshlrev_b64 v[0:1], 1, v[0:1]
	v_mov_b32_e32 v2, s3
	v_add_co_u32_e32 v0, vcc, s2, v0
	v_addc_co_u32_e32 v1, vcc, v2, v1, vcc
	v_mov_b32_e32 v2, s1
	global_store_short v[0:1], v2, off
.LBB97_12:
	s_endpgm
.LBB97_13:
	v_or_b32_e32 v2, 0x100, v0
	v_or_b32_e32 v0, s4, v0
	v_mov_b32_e32 v1, 0
	v_lshlrev_b64 v[0:1], 1, v[0:1]
	v_mov_b32_e32 v3, s3
	v_add_co_u32_e32 v0, vcc, s2, v0
	v_addc_co_u32_e32 v1, vcc, v3, v1, vcc
	v_mov_b32_e32 v3, s1
	global_store_short v[0:1], v3, off
	v_mov_b32_e32 v0, v2
	s_or_b64 exec, exec, s[6:7]
	v_cmp_gt_i32_e32 vcc, s0, v0
	s_and_saveexec_b64 s[6:7], vcc
	s_cbranch_execz .LBB97_5
.LBB97_14:
	v_add_u32_e32 v1, s4, v0
	v_mov_b32_e32 v2, 0
	v_lshlrev_b64 v[1:2], 1, v[1:2]
	v_mov_b32_e32 v3, s3
	v_add_co_u32_e32 v1, vcc, s2, v1
	v_addc_co_u32_e32 v2, vcc, v3, v2, vcc
	v_add_u32_e32 v0, 0x100, v0
	v_mov_b32_e32 v3, s1
	global_store_short v[1:2], v3, off
	s_or_b64 exec, exec, s[6:7]
	v_cmp_gt_i32_e32 vcc, s0, v0
	s_and_saveexec_b64 s[6:7], vcc
	s_cbranch_execz .LBB97_6
.LBB97_15:
	v_add_u32_e32 v1, s4, v0
	v_mov_b32_e32 v2, 0
	v_lshlrev_b64 v[1:2], 1, v[1:2]
	v_mov_b32_e32 v3, s3
	v_add_co_u32_e32 v1, vcc, s2, v1
	v_addc_co_u32_e32 v2, vcc, v3, v2, vcc
	v_add_u32_e32 v0, 0x100, v0
	v_mov_b32_e32 v3, s1
	global_store_short v[1:2], v3, off
	s_or_b64 exec, exec, s[6:7]
	v_cmp_gt_i32_e32 vcc, s0, v0
	s_and_saveexec_b64 s[6:7], vcc
	s_cbranch_execz .LBB97_7
.LBB97_16:
	v_add_u32_e32 v1, s4, v0
	v_mov_b32_e32 v2, 0
	v_lshlrev_b64 v[1:2], 1, v[1:2]
	v_mov_b32_e32 v3, s3
	v_add_co_u32_e32 v1, vcc, s2, v1
	v_addc_co_u32_e32 v2, vcc, v3, v2, vcc
	v_add_u32_e32 v0, 0x100, v0
	v_mov_b32_e32 v3, s1
	global_store_short v[1:2], v3, off
	s_or_b64 exec, exec, s[6:7]
	v_cmp_gt_i32_e32 vcc, s0, v0
	s_and_saveexec_b64 s[6:7], vcc
	s_cbranch_execz .LBB97_8
.LBB97_17:
	v_add_u32_e32 v1, s4, v0
	v_mov_b32_e32 v2, 0
	v_lshlrev_b64 v[1:2], 1, v[1:2]
	v_mov_b32_e32 v3, s3
	v_add_co_u32_e32 v1, vcc, s2, v1
	v_addc_co_u32_e32 v2, vcc, v3, v2, vcc
	v_add_u32_e32 v0, 0x100, v0
	v_mov_b32_e32 v3, s1
	global_store_short v[1:2], v3, off
	s_or_b64 exec, exec, s[6:7]
	v_cmp_gt_i32_e32 vcc, s0, v0
	s_and_saveexec_b64 s[6:7], vcc
	s_cbranch_execz .LBB97_9
.LBB97_18:
	v_add_u32_e32 v1, s4, v0
	v_mov_b32_e32 v2, 0
	v_lshlrev_b64 v[1:2], 1, v[1:2]
	v_mov_b32_e32 v3, s3
	v_add_co_u32_e32 v1, vcc, s2, v1
	v_addc_co_u32_e32 v2, vcc, v3, v2, vcc
	v_add_u32_e32 v0, 0x100, v0
	v_mov_b32_e32 v3, s1
	global_store_short v[1:2], v3, off
	s_or_b64 exec, exec, s[6:7]
	v_cmp_gt_i32_e32 vcc, s0, v0
	s_and_saveexec_b64 s[6:7], vcc
	s_cbranch_execz .LBB97_10
.LBB97_19:
	v_add_u32_e32 v1, s4, v0
	v_mov_b32_e32 v2, 0
	v_lshlrev_b64 v[1:2], 1, v[1:2]
	v_mov_b32_e32 v3, s3
	v_add_co_u32_e32 v1, vcc, s2, v1
	v_addc_co_u32_e32 v2, vcc, v3, v2, vcc
	v_add_u32_e32 v0, 0x100, v0
	v_mov_b32_e32 v3, s1
	global_store_short v[1:2], v3, off
	s_or_b64 exec, exec, s[6:7]
	v_cmp_gt_i32_e32 vcc, s0, v0
	s_and_saveexec_b64 s[6:7], vcc
	s_cbranch_execnz .LBB97_11
	s_branch .LBB97_12
	.section	.rodata,"a",@progbits
	.p2align	6, 0x0
	.amdhsa_kernel _ZN2at6native29vectorized_elementwise_kernelILi8ENS0_11FillFunctorIN3c104HalfEEESt5arrayIPcLm1EEEEviT0_T1_
		.amdhsa_group_segment_fixed_size 0
		.amdhsa_private_segment_fixed_size 0
		.amdhsa_kernarg_size 16
		.amdhsa_user_sgpr_count 6
		.amdhsa_user_sgpr_private_segment_buffer 1
		.amdhsa_user_sgpr_dispatch_ptr 0
		.amdhsa_user_sgpr_queue_ptr 0
		.amdhsa_user_sgpr_kernarg_segment_ptr 1
		.amdhsa_user_sgpr_dispatch_id 0
		.amdhsa_user_sgpr_flat_scratch_init 0
		.amdhsa_user_sgpr_private_segment_size 0
		.amdhsa_uses_dynamic_stack 0
		.amdhsa_system_sgpr_private_segment_wavefront_offset 0
		.amdhsa_system_sgpr_workgroup_id_x 1
		.amdhsa_system_sgpr_workgroup_id_y 0
		.amdhsa_system_sgpr_workgroup_id_z 0
		.amdhsa_system_sgpr_workgroup_info 0
		.amdhsa_system_vgpr_workitem_id 0
		.amdhsa_next_free_vgpr 6
		.amdhsa_next_free_sgpr 8
		.amdhsa_reserve_vcc 1
		.amdhsa_reserve_flat_scratch 0
		.amdhsa_float_round_mode_32 0
		.amdhsa_float_round_mode_16_64 0
		.amdhsa_float_denorm_mode_32 3
		.amdhsa_float_denorm_mode_16_64 3
		.amdhsa_dx10_clamp 1
		.amdhsa_ieee_mode 1
		.amdhsa_fp16_overflow 0
		.amdhsa_exception_fp_ieee_invalid_op 0
		.amdhsa_exception_fp_denorm_src 0
		.amdhsa_exception_fp_ieee_div_zero 0
		.amdhsa_exception_fp_ieee_overflow 0
		.amdhsa_exception_fp_ieee_underflow 0
		.amdhsa_exception_fp_ieee_inexact 0
		.amdhsa_exception_int_div_zero 0
	.end_amdhsa_kernel
	.section	.text._ZN2at6native29vectorized_elementwise_kernelILi8ENS0_11FillFunctorIN3c104HalfEEESt5arrayIPcLm1EEEEviT0_T1_,"axG",@progbits,_ZN2at6native29vectorized_elementwise_kernelILi8ENS0_11FillFunctorIN3c104HalfEEESt5arrayIPcLm1EEEEviT0_T1_,comdat
.Lfunc_end97:
	.size	_ZN2at6native29vectorized_elementwise_kernelILi8ENS0_11FillFunctorIN3c104HalfEEESt5arrayIPcLm1EEEEviT0_T1_, .Lfunc_end97-_ZN2at6native29vectorized_elementwise_kernelILi8ENS0_11FillFunctorIN3c104HalfEEESt5arrayIPcLm1EEEEviT0_T1_
                                        ; -- End function
	.set _ZN2at6native29vectorized_elementwise_kernelILi8ENS0_11FillFunctorIN3c104HalfEEESt5arrayIPcLm1EEEEviT0_T1_.num_vgpr, 6
	.set _ZN2at6native29vectorized_elementwise_kernelILi8ENS0_11FillFunctorIN3c104HalfEEESt5arrayIPcLm1EEEEviT0_T1_.num_agpr, 0
	.set _ZN2at6native29vectorized_elementwise_kernelILi8ENS0_11FillFunctorIN3c104HalfEEESt5arrayIPcLm1EEEEviT0_T1_.numbered_sgpr, 8
	.set _ZN2at6native29vectorized_elementwise_kernelILi8ENS0_11FillFunctorIN3c104HalfEEESt5arrayIPcLm1EEEEviT0_T1_.num_named_barrier, 0
	.set _ZN2at6native29vectorized_elementwise_kernelILi8ENS0_11FillFunctorIN3c104HalfEEESt5arrayIPcLm1EEEEviT0_T1_.private_seg_size, 0
	.set _ZN2at6native29vectorized_elementwise_kernelILi8ENS0_11FillFunctorIN3c104HalfEEESt5arrayIPcLm1EEEEviT0_T1_.uses_vcc, 1
	.set _ZN2at6native29vectorized_elementwise_kernelILi8ENS0_11FillFunctorIN3c104HalfEEESt5arrayIPcLm1EEEEviT0_T1_.uses_flat_scratch, 0
	.set _ZN2at6native29vectorized_elementwise_kernelILi8ENS0_11FillFunctorIN3c104HalfEEESt5arrayIPcLm1EEEEviT0_T1_.has_dyn_sized_stack, 0
	.set _ZN2at6native29vectorized_elementwise_kernelILi8ENS0_11FillFunctorIN3c104HalfEEESt5arrayIPcLm1EEEEviT0_T1_.has_recursion, 0
	.set _ZN2at6native29vectorized_elementwise_kernelILi8ENS0_11FillFunctorIN3c104HalfEEESt5arrayIPcLm1EEEEviT0_T1_.has_indirect_call, 0
	.section	.AMDGPU.csdata,"",@progbits
; Kernel info:
; codeLenInByte = 716
; TotalNumSgprs: 12
; NumVgprs: 6
; ScratchSize: 0
; MemoryBound: 0
; FloatMode: 240
; IeeeMode: 1
; LDSByteSize: 0 bytes/workgroup (compile time only)
; SGPRBlocks: 1
; VGPRBlocks: 1
; NumSGPRsForWavesPerEU: 12
; NumVGPRsForWavesPerEU: 6
; Occupancy: 10
; WaveLimiterHint : 0
; COMPUTE_PGM_RSRC2:SCRATCH_EN: 0
; COMPUTE_PGM_RSRC2:USER_SGPR: 6
; COMPUTE_PGM_RSRC2:TRAP_HANDLER: 0
; COMPUTE_PGM_RSRC2:TGID_X_EN: 1
; COMPUTE_PGM_RSRC2:TGID_Y_EN: 0
; COMPUTE_PGM_RSRC2:TGID_Z_EN: 0
; COMPUTE_PGM_RSRC2:TIDIG_COMP_CNT: 0
	.section	.text._ZN2at6native29vectorized_elementwise_kernelILi4ENS0_11FillFunctorIN3c104HalfEEESt5arrayIPcLm1EEEEviT0_T1_,"axG",@progbits,_ZN2at6native29vectorized_elementwise_kernelILi4ENS0_11FillFunctorIN3c104HalfEEESt5arrayIPcLm1EEEEviT0_T1_,comdat
	.protected	_ZN2at6native29vectorized_elementwise_kernelILi4ENS0_11FillFunctorIN3c104HalfEEESt5arrayIPcLm1EEEEviT0_T1_ ; -- Begin function _ZN2at6native29vectorized_elementwise_kernelILi4ENS0_11FillFunctorIN3c104HalfEEESt5arrayIPcLm1EEEEviT0_T1_
	.globl	_ZN2at6native29vectorized_elementwise_kernelILi4ENS0_11FillFunctorIN3c104HalfEEESt5arrayIPcLm1EEEEviT0_T1_
	.p2align	8
	.type	_ZN2at6native29vectorized_elementwise_kernelILi4ENS0_11FillFunctorIN3c104HalfEEESt5arrayIPcLm1EEEEviT0_T1_,@function
_ZN2at6native29vectorized_elementwise_kernelILi4ENS0_11FillFunctorIN3c104HalfEEESt5arrayIPcLm1EEEEviT0_T1_: ; @_ZN2at6native29vectorized_elementwise_kernelILi4ENS0_11FillFunctorIN3c104HalfEEESt5arrayIPcLm1EEEEviT0_T1_
; %bb.0:
	s_load_dwordx4 s[0:3], s[4:5], 0x0
	s_lshl_b32 s4, s6, 11
	s_mov_b64 s[6:7], -1
	s_waitcnt lgkmcnt(0)
	s_sub_i32 s0, s0, s4
	s_cmpk_gt_i32 s0, 0x7ff
	s_cbranch_scc0 .LBB98_2
; %bb.1:
	s_and_b32 s5, 0xffff, s1
	s_mul_i32 s6, s5, 0x10001
	s_ashr_i32 s5, s4, 31
	s_lshl_b64 s[8:9], s[4:5], 1
	s_mov_b32 s7, s6
	s_add_u32 s8, s2, s8
	v_mov_b32_e32 v1, s6
	s_addc_u32 s9, s3, s9
	v_lshlrev_b32_e32 v3, 3, v0
	v_mov_b32_e32 v2, s7
	global_store_dwordx2 v3, v[1:2], s[8:9]
	global_store_dwordx2 v3, v[1:2], s[8:9] offset:2048
	s_mov_b64 s[6:7], 0
.LBB98_2:
	s_andn2_b64 vcc, exec, s[6:7]
	s_cbranch_vccnz .LBB98_12
; %bb.3:
	v_cmp_gt_i32_e32 vcc, s0, v0
	s_and_saveexec_b64 s[6:7], vcc
	s_cbranch_execnz .LBB98_13
; %bb.4:
	s_or_b64 exec, exec, s[6:7]
	v_cmp_gt_i32_e32 vcc, s0, v0
	s_and_saveexec_b64 s[6:7], vcc
	s_cbranch_execnz .LBB98_14
.LBB98_5:
	s_or_b64 exec, exec, s[6:7]
	v_cmp_gt_i32_e32 vcc, s0, v0
	s_and_saveexec_b64 s[6:7], vcc
	s_cbranch_execnz .LBB98_15
.LBB98_6:
	s_or_b64 exec, exec, s[6:7]
	v_cmp_gt_i32_e32 vcc, s0, v0
	s_and_saveexec_b64 s[6:7], vcc
	s_cbranch_execnz .LBB98_16
.LBB98_7:
	s_or_b64 exec, exec, s[6:7]
	v_cmp_gt_i32_e32 vcc, s0, v0
	s_and_saveexec_b64 s[6:7], vcc
	s_cbranch_execnz .LBB98_17
.LBB98_8:
	s_or_b64 exec, exec, s[6:7]
	v_cmp_gt_i32_e32 vcc, s0, v0
	s_and_saveexec_b64 s[6:7], vcc
	s_cbranch_execnz .LBB98_18
.LBB98_9:
	s_or_b64 exec, exec, s[6:7]
	v_cmp_gt_i32_e32 vcc, s0, v0
	s_and_saveexec_b64 s[6:7], vcc
	s_cbranch_execnz .LBB98_19
.LBB98_10:
	s_or_b64 exec, exec, s[6:7]
	v_cmp_gt_i32_e32 vcc, s0, v0
	s_and_saveexec_b64 s[6:7], vcc
	s_cbranch_execz .LBB98_12
.LBB98_11:
	v_add_u32_e32 v0, s4, v0
	v_mov_b32_e32 v1, 0
	v_lshlrev_b64 v[0:1], 1, v[0:1]
	v_mov_b32_e32 v2, s3
	v_add_co_u32_e32 v0, vcc, s2, v0
	v_addc_co_u32_e32 v1, vcc, v2, v1, vcc
	v_mov_b32_e32 v2, s1
	global_store_short v[0:1], v2, off
.LBB98_12:
	s_endpgm
.LBB98_13:
	v_or_b32_e32 v2, 0x100, v0
	v_or_b32_e32 v0, s4, v0
	v_mov_b32_e32 v1, 0
	v_lshlrev_b64 v[0:1], 1, v[0:1]
	v_mov_b32_e32 v3, s3
	v_add_co_u32_e32 v0, vcc, s2, v0
	v_addc_co_u32_e32 v1, vcc, v3, v1, vcc
	v_mov_b32_e32 v3, s1
	global_store_short v[0:1], v3, off
	v_mov_b32_e32 v0, v2
	s_or_b64 exec, exec, s[6:7]
	v_cmp_gt_i32_e32 vcc, s0, v0
	s_and_saveexec_b64 s[6:7], vcc
	s_cbranch_execz .LBB98_5
.LBB98_14:
	v_add_u32_e32 v1, s4, v0
	v_mov_b32_e32 v2, 0
	v_lshlrev_b64 v[1:2], 1, v[1:2]
	v_mov_b32_e32 v3, s3
	v_add_co_u32_e32 v1, vcc, s2, v1
	v_addc_co_u32_e32 v2, vcc, v3, v2, vcc
	v_add_u32_e32 v0, 0x100, v0
	v_mov_b32_e32 v3, s1
	global_store_short v[1:2], v3, off
	s_or_b64 exec, exec, s[6:7]
	v_cmp_gt_i32_e32 vcc, s0, v0
	s_and_saveexec_b64 s[6:7], vcc
	s_cbranch_execz .LBB98_6
.LBB98_15:
	v_add_u32_e32 v1, s4, v0
	v_mov_b32_e32 v2, 0
	v_lshlrev_b64 v[1:2], 1, v[1:2]
	v_mov_b32_e32 v3, s3
	v_add_co_u32_e32 v1, vcc, s2, v1
	v_addc_co_u32_e32 v2, vcc, v3, v2, vcc
	v_add_u32_e32 v0, 0x100, v0
	v_mov_b32_e32 v3, s1
	global_store_short v[1:2], v3, off
	s_or_b64 exec, exec, s[6:7]
	v_cmp_gt_i32_e32 vcc, s0, v0
	s_and_saveexec_b64 s[6:7], vcc
	s_cbranch_execz .LBB98_7
.LBB98_16:
	v_add_u32_e32 v1, s4, v0
	v_mov_b32_e32 v2, 0
	v_lshlrev_b64 v[1:2], 1, v[1:2]
	v_mov_b32_e32 v3, s3
	v_add_co_u32_e32 v1, vcc, s2, v1
	v_addc_co_u32_e32 v2, vcc, v3, v2, vcc
	v_add_u32_e32 v0, 0x100, v0
	v_mov_b32_e32 v3, s1
	global_store_short v[1:2], v3, off
	s_or_b64 exec, exec, s[6:7]
	v_cmp_gt_i32_e32 vcc, s0, v0
	s_and_saveexec_b64 s[6:7], vcc
	s_cbranch_execz .LBB98_8
.LBB98_17:
	v_add_u32_e32 v1, s4, v0
	v_mov_b32_e32 v2, 0
	v_lshlrev_b64 v[1:2], 1, v[1:2]
	v_mov_b32_e32 v3, s3
	v_add_co_u32_e32 v1, vcc, s2, v1
	v_addc_co_u32_e32 v2, vcc, v3, v2, vcc
	v_add_u32_e32 v0, 0x100, v0
	v_mov_b32_e32 v3, s1
	global_store_short v[1:2], v3, off
	s_or_b64 exec, exec, s[6:7]
	v_cmp_gt_i32_e32 vcc, s0, v0
	s_and_saveexec_b64 s[6:7], vcc
	s_cbranch_execz .LBB98_9
.LBB98_18:
	v_add_u32_e32 v1, s4, v0
	v_mov_b32_e32 v2, 0
	v_lshlrev_b64 v[1:2], 1, v[1:2]
	v_mov_b32_e32 v3, s3
	v_add_co_u32_e32 v1, vcc, s2, v1
	v_addc_co_u32_e32 v2, vcc, v3, v2, vcc
	v_add_u32_e32 v0, 0x100, v0
	v_mov_b32_e32 v3, s1
	global_store_short v[1:2], v3, off
	s_or_b64 exec, exec, s[6:7]
	v_cmp_gt_i32_e32 vcc, s0, v0
	s_and_saveexec_b64 s[6:7], vcc
	s_cbranch_execz .LBB98_10
.LBB98_19:
	v_add_u32_e32 v1, s4, v0
	v_mov_b32_e32 v2, 0
	v_lshlrev_b64 v[1:2], 1, v[1:2]
	v_mov_b32_e32 v3, s3
	v_add_co_u32_e32 v1, vcc, s2, v1
	v_addc_co_u32_e32 v2, vcc, v3, v2, vcc
	v_add_u32_e32 v0, 0x100, v0
	v_mov_b32_e32 v3, s1
	global_store_short v[1:2], v3, off
	s_or_b64 exec, exec, s[6:7]
	v_cmp_gt_i32_e32 vcc, s0, v0
	s_and_saveexec_b64 s[6:7], vcc
	s_cbranch_execnz .LBB98_11
	s_branch .LBB98_12
	.section	.rodata,"a",@progbits
	.p2align	6, 0x0
	.amdhsa_kernel _ZN2at6native29vectorized_elementwise_kernelILi4ENS0_11FillFunctorIN3c104HalfEEESt5arrayIPcLm1EEEEviT0_T1_
		.amdhsa_group_segment_fixed_size 0
		.amdhsa_private_segment_fixed_size 0
		.amdhsa_kernarg_size 16
		.amdhsa_user_sgpr_count 6
		.amdhsa_user_sgpr_private_segment_buffer 1
		.amdhsa_user_sgpr_dispatch_ptr 0
		.amdhsa_user_sgpr_queue_ptr 0
		.amdhsa_user_sgpr_kernarg_segment_ptr 1
		.amdhsa_user_sgpr_dispatch_id 0
		.amdhsa_user_sgpr_flat_scratch_init 0
		.amdhsa_user_sgpr_private_segment_size 0
		.amdhsa_uses_dynamic_stack 0
		.amdhsa_system_sgpr_private_segment_wavefront_offset 0
		.amdhsa_system_sgpr_workgroup_id_x 1
		.amdhsa_system_sgpr_workgroup_id_y 0
		.amdhsa_system_sgpr_workgroup_id_z 0
		.amdhsa_system_sgpr_workgroup_info 0
		.amdhsa_system_vgpr_workitem_id 0
		.amdhsa_next_free_vgpr 4
		.amdhsa_next_free_sgpr 10
		.amdhsa_reserve_vcc 1
		.amdhsa_reserve_flat_scratch 0
		.amdhsa_float_round_mode_32 0
		.amdhsa_float_round_mode_16_64 0
		.amdhsa_float_denorm_mode_32 3
		.amdhsa_float_denorm_mode_16_64 3
		.amdhsa_dx10_clamp 1
		.amdhsa_ieee_mode 1
		.amdhsa_fp16_overflow 0
		.amdhsa_exception_fp_ieee_invalid_op 0
		.amdhsa_exception_fp_denorm_src 0
		.amdhsa_exception_fp_ieee_div_zero 0
		.amdhsa_exception_fp_ieee_overflow 0
		.amdhsa_exception_fp_ieee_underflow 0
		.amdhsa_exception_fp_ieee_inexact 0
		.amdhsa_exception_int_div_zero 0
	.end_amdhsa_kernel
	.section	.text._ZN2at6native29vectorized_elementwise_kernelILi4ENS0_11FillFunctorIN3c104HalfEEESt5arrayIPcLm1EEEEviT0_T1_,"axG",@progbits,_ZN2at6native29vectorized_elementwise_kernelILi4ENS0_11FillFunctorIN3c104HalfEEESt5arrayIPcLm1EEEEviT0_T1_,comdat
.Lfunc_end98:
	.size	_ZN2at6native29vectorized_elementwise_kernelILi4ENS0_11FillFunctorIN3c104HalfEEESt5arrayIPcLm1EEEEviT0_T1_, .Lfunc_end98-_ZN2at6native29vectorized_elementwise_kernelILi4ENS0_11FillFunctorIN3c104HalfEEESt5arrayIPcLm1EEEEviT0_T1_
                                        ; -- End function
	.set _ZN2at6native29vectorized_elementwise_kernelILi4ENS0_11FillFunctorIN3c104HalfEEESt5arrayIPcLm1EEEEviT0_T1_.num_vgpr, 4
	.set _ZN2at6native29vectorized_elementwise_kernelILi4ENS0_11FillFunctorIN3c104HalfEEESt5arrayIPcLm1EEEEviT0_T1_.num_agpr, 0
	.set _ZN2at6native29vectorized_elementwise_kernelILi4ENS0_11FillFunctorIN3c104HalfEEESt5arrayIPcLm1EEEEviT0_T1_.numbered_sgpr, 10
	.set _ZN2at6native29vectorized_elementwise_kernelILi4ENS0_11FillFunctorIN3c104HalfEEESt5arrayIPcLm1EEEEviT0_T1_.num_named_barrier, 0
	.set _ZN2at6native29vectorized_elementwise_kernelILi4ENS0_11FillFunctorIN3c104HalfEEESt5arrayIPcLm1EEEEviT0_T1_.private_seg_size, 0
	.set _ZN2at6native29vectorized_elementwise_kernelILi4ENS0_11FillFunctorIN3c104HalfEEESt5arrayIPcLm1EEEEviT0_T1_.uses_vcc, 1
	.set _ZN2at6native29vectorized_elementwise_kernelILi4ENS0_11FillFunctorIN3c104HalfEEESt5arrayIPcLm1EEEEviT0_T1_.uses_flat_scratch, 0
	.set _ZN2at6native29vectorized_elementwise_kernelILi4ENS0_11FillFunctorIN3c104HalfEEESt5arrayIPcLm1EEEEviT0_T1_.has_dyn_sized_stack, 0
	.set _ZN2at6native29vectorized_elementwise_kernelILi4ENS0_11FillFunctorIN3c104HalfEEESt5arrayIPcLm1EEEEviT0_T1_.has_recursion, 0
	.set _ZN2at6native29vectorized_elementwise_kernelILi4ENS0_11FillFunctorIN3c104HalfEEESt5arrayIPcLm1EEEEviT0_T1_.has_indirect_call, 0
	.section	.AMDGPU.csdata,"",@progbits
; Kernel info:
; codeLenInByte = 732
; TotalNumSgprs: 14
; NumVgprs: 4
; ScratchSize: 0
; MemoryBound: 0
; FloatMode: 240
; IeeeMode: 1
; LDSByteSize: 0 bytes/workgroup (compile time only)
; SGPRBlocks: 1
; VGPRBlocks: 0
; NumSGPRsForWavesPerEU: 14
; NumVGPRsForWavesPerEU: 4
; Occupancy: 10
; WaveLimiterHint : 1
; COMPUTE_PGM_RSRC2:SCRATCH_EN: 0
; COMPUTE_PGM_RSRC2:USER_SGPR: 6
; COMPUTE_PGM_RSRC2:TRAP_HANDLER: 0
; COMPUTE_PGM_RSRC2:TGID_X_EN: 1
; COMPUTE_PGM_RSRC2:TGID_Y_EN: 0
; COMPUTE_PGM_RSRC2:TGID_Z_EN: 0
; COMPUTE_PGM_RSRC2:TIDIG_COMP_CNT: 0
	.section	.text._ZN2at6native29vectorized_elementwise_kernelILi2ENS0_11FillFunctorIN3c104HalfEEESt5arrayIPcLm1EEEEviT0_T1_,"axG",@progbits,_ZN2at6native29vectorized_elementwise_kernelILi2ENS0_11FillFunctorIN3c104HalfEEESt5arrayIPcLm1EEEEviT0_T1_,comdat
	.protected	_ZN2at6native29vectorized_elementwise_kernelILi2ENS0_11FillFunctorIN3c104HalfEEESt5arrayIPcLm1EEEEviT0_T1_ ; -- Begin function _ZN2at6native29vectorized_elementwise_kernelILi2ENS0_11FillFunctorIN3c104HalfEEESt5arrayIPcLm1EEEEviT0_T1_
	.globl	_ZN2at6native29vectorized_elementwise_kernelILi2ENS0_11FillFunctorIN3c104HalfEEESt5arrayIPcLm1EEEEviT0_T1_
	.p2align	8
	.type	_ZN2at6native29vectorized_elementwise_kernelILi2ENS0_11FillFunctorIN3c104HalfEEESt5arrayIPcLm1EEEEviT0_T1_,@function
_ZN2at6native29vectorized_elementwise_kernelILi2ENS0_11FillFunctorIN3c104HalfEEESt5arrayIPcLm1EEEEviT0_T1_: ; @_ZN2at6native29vectorized_elementwise_kernelILi2ENS0_11FillFunctorIN3c104HalfEEESt5arrayIPcLm1EEEEviT0_T1_
; %bb.0:
	s_load_dwordx4 s[0:3], s[4:5], 0x0
	s_lshl_b32 s4, s6, 11
	s_mov_b64 s[6:7], -1
	s_waitcnt lgkmcnt(0)
	s_sub_i32 s0, s0, s4
	s_cmpk_gt_i32 s0, 0x7ff
	s_cbranch_scc0 .LBB99_2
; %bb.1:
	s_and_b32 s5, 0xffff, s1
	s_mul_i32 s8, s5, 0x10001
	s_ashr_i32 s5, s4, 31
	s_lshl_b64 s[6:7], s[4:5], 1
	s_add_u32 s6, s2, s6
	s_addc_u32 s7, s3, s7
	v_lshlrev_b32_e32 v1, 2, v0
	v_mov_b32_e32 v2, s8
	global_store_dword v1, v2, s[6:7]
	global_store_dword v1, v2, s[6:7] offset:1024
	global_store_dword v1, v2, s[6:7] offset:2048
	;; [unrolled: 1-line block ×3, first 2 shown]
	s_mov_b64 s[6:7], 0
.LBB99_2:
	s_andn2_b64 vcc, exec, s[6:7]
	s_cbranch_vccnz .LBB99_12
; %bb.3:
	v_cmp_gt_i32_e32 vcc, s0, v0
	s_and_saveexec_b64 s[6:7], vcc
	s_cbranch_execnz .LBB99_13
; %bb.4:
	s_or_b64 exec, exec, s[6:7]
	v_cmp_gt_i32_e32 vcc, s0, v0
	s_and_saveexec_b64 s[6:7], vcc
	s_cbranch_execnz .LBB99_14
.LBB99_5:
	s_or_b64 exec, exec, s[6:7]
	v_cmp_gt_i32_e32 vcc, s0, v0
	s_and_saveexec_b64 s[6:7], vcc
	s_cbranch_execnz .LBB99_15
.LBB99_6:
	s_or_b64 exec, exec, s[6:7]
	v_cmp_gt_i32_e32 vcc, s0, v0
	s_and_saveexec_b64 s[6:7], vcc
	s_cbranch_execnz .LBB99_16
.LBB99_7:
	s_or_b64 exec, exec, s[6:7]
	v_cmp_gt_i32_e32 vcc, s0, v0
	s_and_saveexec_b64 s[6:7], vcc
	s_cbranch_execnz .LBB99_17
.LBB99_8:
	s_or_b64 exec, exec, s[6:7]
	v_cmp_gt_i32_e32 vcc, s0, v0
	s_and_saveexec_b64 s[6:7], vcc
	s_cbranch_execnz .LBB99_18
.LBB99_9:
	s_or_b64 exec, exec, s[6:7]
	v_cmp_gt_i32_e32 vcc, s0, v0
	s_and_saveexec_b64 s[6:7], vcc
	s_cbranch_execnz .LBB99_19
.LBB99_10:
	s_or_b64 exec, exec, s[6:7]
	v_cmp_gt_i32_e32 vcc, s0, v0
	s_and_saveexec_b64 s[6:7], vcc
	s_cbranch_execz .LBB99_12
.LBB99_11:
	v_add_u32_e32 v0, s4, v0
	v_mov_b32_e32 v1, 0
	v_lshlrev_b64 v[0:1], 1, v[0:1]
	v_mov_b32_e32 v2, s3
	v_add_co_u32_e32 v0, vcc, s2, v0
	v_addc_co_u32_e32 v1, vcc, v2, v1, vcc
	v_mov_b32_e32 v2, s1
	global_store_short v[0:1], v2, off
.LBB99_12:
	s_endpgm
.LBB99_13:
	v_or_b32_e32 v2, 0x100, v0
	v_or_b32_e32 v0, s4, v0
	v_mov_b32_e32 v1, 0
	v_lshlrev_b64 v[0:1], 1, v[0:1]
	v_mov_b32_e32 v3, s3
	v_add_co_u32_e32 v0, vcc, s2, v0
	v_addc_co_u32_e32 v1, vcc, v3, v1, vcc
	v_mov_b32_e32 v3, s1
	global_store_short v[0:1], v3, off
	v_mov_b32_e32 v0, v2
	s_or_b64 exec, exec, s[6:7]
	v_cmp_gt_i32_e32 vcc, s0, v0
	s_and_saveexec_b64 s[6:7], vcc
	s_cbranch_execz .LBB99_5
.LBB99_14:
	v_add_u32_e32 v1, s4, v0
	v_mov_b32_e32 v2, 0
	v_lshlrev_b64 v[1:2], 1, v[1:2]
	v_mov_b32_e32 v3, s3
	v_add_co_u32_e32 v1, vcc, s2, v1
	v_addc_co_u32_e32 v2, vcc, v3, v2, vcc
	v_add_u32_e32 v0, 0x100, v0
	v_mov_b32_e32 v3, s1
	global_store_short v[1:2], v3, off
	s_or_b64 exec, exec, s[6:7]
	v_cmp_gt_i32_e32 vcc, s0, v0
	s_and_saveexec_b64 s[6:7], vcc
	s_cbranch_execz .LBB99_6
.LBB99_15:
	v_add_u32_e32 v1, s4, v0
	v_mov_b32_e32 v2, 0
	v_lshlrev_b64 v[1:2], 1, v[1:2]
	v_mov_b32_e32 v3, s3
	v_add_co_u32_e32 v1, vcc, s2, v1
	v_addc_co_u32_e32 v2, vcc, v3, v2, vcc
	v_add_u32_e32 v0, 0x100, v0
	v_mov_b32_e32 v3, s1
	global_store_short v[1:2], v3, off
	s_or_b64 exec, exec, s[6:7]
	v_cmp_gt_i32_e32 vcc, s0, v0
	s_and_saveexec_b64 s[6:7], vcc
	s_cbranch_execz .LBB99_7
.LBB99_16:
	v_add_u32_e32 v1, s4, v0
	v_mov_b32_e32 v2, 0
	v_lshlrev_b64 v[1:2], 1, v[1:2]
	v_mov_b32_e32 v3, s3
	v_add_co_u32_e32 v1, vcc, s2, v1
	v_addc_co_u32_e32 v2, vcc, v3, v2, vcc
	v_add_u32_e32 v0, 0x100, v0
	v_mov_b32_e32 v3, s1
	global_store_short v[1:2], v3, off
	s_or_b64 exec, exec, s[6:7]
	v_cmp_gt_i32_e32 vcc, s0, v0
	s_and_saveexec_b64 s[6:7], vcc
	s_cbranch_execz .LBB99_8
.LBB99_17:
	v_add_u32_e32 v1, s4, v0
	v_mov_b32_e32 v2, 0
	v_lshlrev_b64 v[1:2], 1, v[1:2]
	v_mov_b32_e32 v3, s3
	v_add_co_u32_e32 v1, vcc, s2, v1
	v_addc_co_u32_e32 v2, vcc, v3, v2, vcc
	v_add_u32_e32 v0, 0x100, v0
	v_mov_b32_e32 v3, s1
	global_store_short v[1:2], v3, off
	s_or_b64 exec, exec, s[6:7]
	v_cmp_gt_i32_e32 vcc, s0, v0
	s_and_saveexec_b64 s[6:7], vcc
	s_cbranch_execz .LBB99_9
.LBB99_18:
	v_add_u32_e32 v1, s4, v0
	v_mov_b32_e32 v2, 0
	v_lshlrev_b64 v[1:2], 1, v[1:2]
	v_mov_b32_e32 v3, s3
	v_add_co_u32_e32 v1, vcc, s2, v1
	v_addc_co_u32_e32 v2, vcc, v3, v2, vcc
	v_add_u32_e32 v0, 0x100, v0
	v_mov_b32_e32 v3, s1
	global_store_short v[1:2], v3, off
	s_or_b64 exec, exec, s[6:7]
	v_cmp_gt_i32_e32 vcc, s0, v0
	s_and_saveexec_b64 s[6:7], vcc
	s_cbranch_execz .LBB99_10
.LBB99_19:
	v_add_u32_e32 v1, s4, v0
	v_mov_b32_e32 v2, 0
	v_lshlrev_b64 v[1:2], 1, v[1:2]
	v_mov_b32_e32 v3, s3
	v_add_co_u32_e32 v1, vcc, s2, v1
	v_addc_co_u32_e32 v2, vcc, v3, v2, vcc
	v_add_u32_e32 v0, 0x100, v0
	v_mov_b32_e32 v3, s1
	global_store_short v[1:2], v3, off
	s_or_b64 exec, exec, s[6:7]
	v_cmp_gt_i32_e32 vcc, s0, v0
	s_and_saveexec_b64 s[6:7], vcc
	s_cbranch_execnz .LBB99_11
	s_branch .LBB99_12
	.section	.rodata,"a",@progbits
	.p2align	6, 0x0
	.amdhsa_kernel _ZN2at6native29vectorized_elementwise_kernelILi2ENS0_11FillFunctorIN3c104HalfEEESt5arrayIPcLm1EEEEviT0_T1_
		.amdhsa_group_segment_fixed_size 0
		.amdhsa_private_segment_fixed_size 0
		.amdhsa_kernarg_size 16
		.amdhsa_user_sgpr_count 6
		.amdhsa_user_sgpr_private_segment_buffer 1
		.amdhsa_user_sgpr_dispatch_ptr 0
		.amdhsa_user_sgpr_queue_ptr 0
		.amdhsa_user_sgpr_kernarg_segment_ptr 1
		.amdhsa_user_sgpr_dispatch_id 0
		.amdhsa_user_sgpr_flat_scratch_init 0
		.amdhsa_user_sgpr_private_segment_size 0
		.amdhsa_uses_dynamic_stack 0
		.amdhsa_system_sgpr_private_segment_wavefront_offset 0
		.amdhsa_system_sgpr_workgroup_id_x 1
		.amdhsa_system_sgpr_workgroup_id_y 0
		.amdhsa_system_sgpr_workgroup_id_z 0
		.amdhsa_system_sgpr_workgroup_info 0
		.amdhsa_system_vgpr_workitem_id 0
		.amdhsa_next_free_vgpr 4
		.amdhsa_next_free_sgpr 9
		.amdhsa_reserve_vcc 1
		.amdhsa_reserve_flat_scratch 0
		.amdhsa_float_round_mode_32 0
		.amdhsa_float_round_mode_16_64 0
		.amdhsa_float_denorm_mode_32 3
		.amdhsa_float_denorm_mode_16_64 3
		.amdhsa_dx10_clamp 1
		.amdhsa_ieee_mode 1
		.amdhsa_fp16_overflow 0
		.amdhsa_exception_fp_ieee_invalid_op 0
		.amdhsa_exception_fp_denorm_src 0
		.amdhsa_exception_fp_ieee_div_zero 0
		.amdhsa_exception_fp_ieee_overflow 0
		.amdhsa_exception_fp_ieee_underflow 0
		.amdhsa_exception_fp_ieee_inexact 0
		.amdhsa_exception_int_div_zero 0
	.end_amdhsa_kernel
	.section	.text._ZN2at6native29vectorized_elementwise_kernelILi2ENS0_11FillFunctorIN3c104HalfEEESt5arrayIPcLm1EEEEviT0_T1_,"axG",@progbits,_ZN2at6native29vectorized_elementwise_kernelILi2ENS0_11FillFunctorIN3c104HalfEEESt5arrayIPcLm1EEEEviT0_T1_,comdat
.Lfunc_end99:
	.size	_ZN2at6native29vectorized_elementwise_kernelILi2ENS0_11FillFunctorIN3c104HalfEEESt5arrayIPcLm1EEEEviT0_T1_, .Lfunc_end99-_ZN2at6native29vectorized_elementwise_kernelILi2ENS0_11FillFunctorIN3c104HalfEEESt5arrayIPcLm1EEEEviT0_T1_
                                        ; -- End function
	.set _ZN2at6native29vectorized_elementwise_kernelILi2ENS0_11FillFunctorIN3c104HalfEEESt5arrayIPcLm1EEEEviT0_T1_.num_vgpr, 4
	.set _ZN2at6native29vectorized_elementwise_kernelILi2ENS0_11FillFunctorIN3c104HalfEEESt5arrayIPcLm1EEEEviT0_T1_.num_agpr, 0
	.set _ZN2at6native29vectorized_elementwise_kernelILi2ENS0_11FillFunctorIN3c104HalfEEESt5arrayIPcLm1EEEEviT0_T1_.numbered_sgpr, 9
	.set _ZN2at6native29vectorized_elementwise_kernelILi2ENS0_11FillFunctorIN3c104HalfEEESt5arrayIPcLm1EEEEviT0_T1_.num_named_barrier, 0
	.set _ZN2at6native29vectorized_elementwise_kernelILi2ENS0_11FillFunctorIN3c104HalfEEESt5arrayIPcLm1EEEEviT0_T1_.private_seg_size, 0
	.set _ZN2at6native29vectorized_elementwise_kernelILi2ENS0_11FillFunctorIN3c104HalfEEESt5arrayIPcLm1EEEEviT0_T1_.uses_vcc, 1
	.set _ZN2at6native29vectorized_elementwise_kernelILi2ENS0_11FillFunctorIN3c104HalfEEESt5arrayIPcLm1EEEEviT0_T1_.uses_flat_scratch, 0
	.set _ZN2at6native29vectorized_elementwise_kernelILi2ENS0_11FillFunctorIN3c104HalfEEESt5arrayIPcLm1EEEEviT0_T1_.has_dyn_sized_stack, 0
	.set _ZN2at6native29vectorized_elementwise_kernelILi2ENS0_11FillFunctorIN3c104HalfEEESt5arrayIPcLm1EEEEviT0_T1_.has_recursion, 0
	.set _ZN2at6native29vectorized_elementwise_kernelILi2ENS0_11FillFunctorIN3c104HalfEEESt5arrayIPcLm1EEEEviT0_T1_.has_indirect_call, 0
	.section	.AMDGPU.csdata,"",@progbits
; Kernel info:
; codeLenInByte = 740
; TotalNumSgprs: 13
; NumVgprs: 4
; ScratchSize: 0
; MemoryBound: 0
; FloatMode: 240
; IeeeMode: 1
; LDSByteSize: 0 bytes/workgroup (compile time only)
; SGPRBlocks: 1
; VGPRBlocks: 0
; NumSGPRsForWavesPerEU: 13
; NumVGPRsForWavesPerEU: 4
; Occupancy: 10
; WaveLimiterHint : 1
; COMPUTE_PGM_RSRC2:SCRATCH_EN: 0
; COMPUTE_PGM_RSRC2:USER_SGPR: 6
; COMPUTE_PGM_RSRC2:TRAP_HANDLER: 0
; COMPUTE_PGM_RSRC2:TGID_X_EN: 1
; COMPUTE_PGM_RSRC2:TGID_Y_EN: 0
; COMPUTE_PGM_RSRC2:TGID_Z_EN: 0
; COMPUTE_PGM_RSRC2:TIDIG_COMP_CNT: 0
	.section	.text._ZN2at6native27unrolled_elementwise_kernelINS0_11FillFunctorIN3c104HalfEEESt5arrayIPcLm1EELi4E23TrivialOffsetCalculatorILi0EjES9_ILi1EjENS0_6memory15LoadWithoutCastENSC_16StoreWithoutCastEEEviT_T0_T2_T3_T4_T5_,"axG",@progbits,_ZN2at6native27unrolled_elementwise_kernelINS0_11FillFunctorIN3c104HalfEEESt5arrayIPcLm1EELi4E23TrivialOffsetCalculatorILi0EjES9_ILi1EjENS0_6memory15LoadWithoutCastENSC_16StoreWithoutCastEEEviT_T0_T2_T3_T4_T5_,comdat
	.protected	_ZN2at6native27unrolled_elementwise_kernelINS0_11FillFunctorIN3c104HalfEEESt5arrayIPcLm1EELi4E23TrivialOffsetCalculatorILi0EjES9_ILi1EjENS0_6memory15LoadWithoutCastENSC_16StoreWithoutCastEEEviT_T0_T2_T3_T4_T5_ ; -- Begin function _ZN2at6native27unrolled_elementwise_kernelINS0_11FillFunctorIN3c104HalfEEESt5arrayIPcLm1EELi4E23TrivialOffsetCalculatorILi0EjES9_ILi1EjENS0_6memory15LoadWithoutCastENSC_16StoreWithoutCastEEEviT_T0_T2_T3_T4_T5_
	.globl	_ZN2at6native27unrolled_elementwise_kernelINS0_11FillFunctorIN3c104HalfEEESt5arrayIPcLm1EELi4E23TrivialOffsetCalculatorILi0EjES9_ILi1EjENS0_6memory15LoadWithoutCastENSC_16StoreWithoutCastEEEviT_T0_T2_T3_T4_T5_
	.p2align	8
	.type	_ZN2at6native27unrolled_elementwise_kernelINS0_11FillFunctorIN3c104HalfEEESt5arrayIPcLm1EELi4E23TrivialOffsetCalculatorILi0EjES9_ILi1EjENS0_6memory15LoadWithoutCastENSC_16StoreWithoutCastEEEviT_T0_T2_T3_T4_T5_,@function
_ZN2at6native27unrolled_elementwise_kernelINS0_11FillFunctorIN3c104HalfEEESt5arrayIPcLm1EELi4E23TrivialOffsetCalculatorILi0EjES9_ILi1EjENS0_6memory15LoadWithoutCastENSC_16StoreWithoutCastEEEviT_T0_T2_T3_T4_T5_: ; @_ZN2at6native27unrolled_elementwise_kernelINS0_11FillFunctorIN3c104HalfEEESt5arrayIPcLm1EELi4E23TrivialOffsetCalculatorILi0EjES9_ILi1EjENS0_6memory15LoadWithoutCastENSC_16StoreWithoutCastEEEviT_T0_T2_T3_T4_T5_
; %bb.0:
	s_load_dwordx4 s[0:3], s[4:5], 0x0
	s_lshl_b32 s6, s6, 10
	s_waitcnt lgkmcnt(0)
	s_sub_i32 s0, s0, s6
	v_cmp_gt_i32_e32 vcc, s0, v0
	s_and_saveexec_b64 s[4:5], vcc
	s_cbranch_execnz .LBB100_5
; %bb.1:
	s_or_b64 exec, exec, s[4:5]
	v_cmp_gt_i32_e32 vcc, s0, v0
	s_and_saveexec_b64 s[4:5], vcc
	s_cbranch_execnz .LBB100_6
.LBB100_2:
	s_or_b64 exec, exec, s[4:5]
	v_cmp_gt_i32_e32 vcc, s0, v0
	s_and_saveexec_b64 s[4:5], vcc
	s_cbranch_execnz .LBB100_7
.LBB100_3:
	s_or_b64 exec, exec, s[4:5]
	v_cmp_gt_i32_e32 vcc, s0, v0
	s_and_saveexec_b64 s[4:5], vcc
	s_cbranch_execnz .LBB100_8
.LBB100_4:
	s_endpgm
.LBB100_5:
	v_or_b32_e32 v1, s6, v0
	v_mov_b32_e32 v2, 0
	v_lshlrev_b64 v[1:2], 1, v[1:2]
	v_mov_b32_e32 v3, s3
	v_add_co_u32_e32 v1, vcc, s2, v1
	v_addc_co_u32_e32 v2, vcc, v3, v2, vcc
	v_or_b32_e32 v0, 0x100, v0
	v_mov_b32_e32 v3, s1
	global_store_short v[1:2], v3, off
	s_or_b64 exec, exec, s[4:5]
	v_cmp_gt_i32_e32 vcc, s0, v0
	s_and_saveexec_b64 s[4:5], vcc
	s_cbranch_execz .LBB100_2
.LBB100_6:
	v_add_u32_e32 v2, 0x100, v0
	v_add_u32_e32 v0, s6, v0
	v_mov_b32_e32 v1, 0
	v_lshlrev_b64 v[0:1], 1, v[0:1]
	v_mov_b32_e32 v3, s3
	v_add_co_u32_e32 v0, vcc, s2, v0
	v_addc_co_u32_e32 v1, vcc, v3, v1, vcc
	v_mov_b32_e32 v3, s1
	global_store_short v[0:1], v3, off
	v_mov_b32_e32 v0, v2
	s_or_b64 exec, exec, s[4:5]
	v_cmp_gt_i32_e32 vcc, s0, v0
	s_and_saveexec_b64 s[4:5], vcc
	s_cbranch_execz .LBB100_3
.LBB100_7:
	v_add_u32_e32 v2, 0x100, v0
	v_add_u32_e32 v0, s6, v0
	v_mov_b32_e32 v1, 0
	v_lshlrev_b64 v[0:1], 1, v[0:1]
	v_mov_b32_e32 v3, s3
	v_add_co_u32_e32 v0, vcc, s2, v0
	v_addc_co_u32_e32 v1, vcc, v3, v1, vcc
	v_mov_b32_e32 v3, s1
	global_store_short v[0:1], v3, off
	v_mov_b32_e32 v0, v2
	s_or_b64 exec, exec, s[4:5]
	v_cmp_gt_i32_e32 vcc, s0, v0
	s_and_saveexec_b64 s[4:5], vcc
	s_cbranch_execz .LBB100_4
.LBB100_8:
	v_add_u32_e32 v0, s6, v0
	v_mov_b32_e32 v1, 0
	v_lshlrev_b64 v[0:1], 1, v[0:1]
	v_mov_b32_e32 v2, s3
	v_add_co_u32_e32 v0, vcc, s2, v0
	v_addc_co_u32_e32 v1, vcc, v2, v1, vcc
	v_mov_b32_e32 v2, s1
	global_store_short v[0:1], v2, off
	s_endpgm
	.section	.rodata,"a",@progbits
	.p2align	6, 0x0
	.amdhsa_kernel _ZN2at6native27unrolled_elementwise_kernelINS0_11FillFunctorIN3c104HalfEEESt5arrayIPcLm1EELi4E23TrivialOffsetCalculatorILi0EjES9_ILi1EjENS0_6memory15LoadWithoutCastENSC_16StoreWithoutCastEEEviT_T0_T2_T3_T4_T5_
		.amdhsa_group_segment_fixed_size 0
		.amdhsa_private_segment_fixed_size 0
		.amdhsa_kernarg_size 20
		.amdhsa_user_sgpr_count 6
		.amdhsa_user_sgpr_private_segment_buffer 1
		.amdhsa_user_sgpr_dispatch_ptr 0
		.amdhsa_user_sgpr_queue_ptr 0
		.amdhsa_user_sgpr_kernarg_segment_ptr 1
		.amdhsa_user_sgpr_dispatch_id 0
		.amdhsa_user_sgpr_flat_scratch_init 0
		.amdhsa_user_sgpr_private_segment_size 0
		.amdhsa_uses_dynamic_stack 0
		.amdhsa_system_sgpr_private_segment_wavefront_offset 0
		.amdhsa_system_sgpr_workgroup_id_x 1
		.amdhsa_system_sgpr_workgroup_id_y 0
		.amdhsa_system_sgpr_workgroup_id_z 0
		.amdhsa_system_sgpr_workgroup_info 0
		.amdhsa_system_vgpr_workitem_id 0
		.amdhsa_next_free_vgpr 4
		.amdhsa_next_free_sgpr 7
		.amdhsa_reserve_vcc 1
		.amdhsa_reserve_flat_scratch 0
		.amdhsa_float_round_mode_32 0
		.amdhsa_float_round_mode_16_64 0
		.amdhsa_float_denorm_mode_32 3
		.amdhsa_float_denorm_mode_16_64 3
		.amdhsa_dx10_clamp 1
		.amdhsa_ieee_mode 1
		.amdhsa_fp16_overflow 0
		.amdhsa_exception_fp_ieee_invalid_op 0
		.amdhsa_exception_fp_denorm_src 0
		.amdhsa_exception_fp_ieee_div_zero 0
		.amdhsa_exception_fp_ieee_overflow 0
		.amdhsa_exception_fp_ieee_underflow 0
		.amdhsa_exception_fp_ieee_inexact 0
		.amdhsa_exception_int_div_zero 0
	.end_amdhsa_kernel
	.section	.text._ZN2at6native27unrolled_elementwise_kernelINS0_11FillFunctorIN3c104HalfEEESt5arrayIPcLm1EELi4E23TrivialOffsetCalculatorILi0EjES9_ILi1EjENS0_6memory15LoadWithoutCastENSC_16StoreWithoutCastEEEviT_T0_T2_T3_T4_T5_,"axG",@progbits,_ZN2at6native27unrolled_elementwise_kernelINS0_11FillFunctorIN3c104HalfEEESt5arrayIPcLm1EELi4E23TrivialOffsetCalculatorILi0EjES9_ILi1EjENS0_6memory15LoadWithoutCastENSC_16StoreWithoutCastEEEviT_T0_T2_T3_T4_T5_,comdat
.Lfunc_end100:
	.size	_ZN2at6native27unrolled_elementwise_kernelINS0_11FillFunctorIN3c104HalfEEESt5arrayIPcLm1EELi4E23TrivialOffsetCalculatorILi0EjES9_ILi1EjENS0_6memory15LoadWithoutCastENSC_16StoreWithoutCastEEEviT_T0_T2_T3_T4_T5_, .Lfunc_end100-_ZN2at6native27unrolled_elementwise_kernelINS0_11FillFunctorIN3c104HalfEEESt5arrayIPcLm1EELi4E23TrivialOffsetCalculatorILi0EjES9_ILi1EjENS0_6memory15LoadWithoutCastENSC_16StoreWithoutCastEEEviT_T0_T2_T3_T4_T5_
                                        ; -- End function
	.set _ZN2at6native27unrolled_elementwise_kernelINS0_11FillFunctorIN3c104HalfEEESt5arrayIPcLm1EELi4E23TrivialOffsetCalculatorILi0EjES9_ILi1EjENS0_6memory15LoadWithoutCastENSC_16StoreWithoutCastEEEviT_T0_T2_T3_T4_T5_.num_vgpr, 4
	.set _ZN2at6native27unrolled_elementwise_kernelINS0_11FillFunctorIN3c104HalfEEESt5arrayIPcLm1EELi4E23TrivialOffsetCalculatorILi0EjES9_ILi1EjENS0_6memory15LoadWithoutCastENSC_16StoreWithoutCastEEEviT_T0_T2_T3_T4_T5_.num_agpr, 0
	.set _ZN2at6native27unrolled_elementwise_kernelINS0_11FillFunctorIN3c104HalfEEESt5arrayIPcLm1EELi4E23TrivialOffsetCalculatorILi0EjES9_ILi1EjENS0_6memory15LoadWithoutCastENSC_16StoreWithoutCastEEEviT_T0_T2_T3_T4_T5_.numbered_sgpr, 7
	.set _ZN2at6native27unrolled_elementwise_kernelINS0_11FillFunctorIN3c104HalfEEESt5arrayIPcLm1EELi4E23TrivialOffsetCalculatorILi0EjES9_ILi1EjENS0_6memory15LoadWithoutCastENSC_16StoreWithoutCastEEEviT_T0_T2_T3_T4_T5_.num_named_barrier, 0
	.set _ZN2at6native27unrolled_elementwise_kernelINS0_11FillFunctorIN3c104HalfEEESt5arrayIPcLm1EELi4E23TrivialOffsetCalculatorILi0EjES9_ILi1EjENS0_6memory15LoadWithoutCastENSC_16StoreWithoutCastEEEviT_T0_T2_T3_T4_T5_.private_seg_size, 0
	.set _ZN2at6native27unrolled_elementwise_kernelINS0_11FillFunctorIN3c104HalfEEESt5arrayIPcLm1EELi4E23TrivialOffsetCalculatorILi0EjES9_ILi1EjENS0_6memory15LoadWithoutCastENSC_16StoreWithoutCastEEEviT_T0_T2_T3_T4_T5_.uses_vcc, 1
	.set _ZN2at6native27unrolled_elementwise_kernelINS0_11FillFunctorIN3c104HalfEEESt5arrayIPcLm1EELi4E23TrivialOffsetCalculatorILi0EjES9_ILi1EjENS0_6memory15LoadWithoutCastENSC_16StoreWithoutCastEEEviT_T0_T2_T3_T4_T5_.uses_flat_scratch, 0
	.set _ZN2at6native27unrolled_elementwise_kernelINS0_11FillFunctorIN3c104HalfEEESt5arrayIPcLm1EELi4E23TrivialOffsetCalculatorILi0EjES9_ILi1EjENS0_6memory15LoadWithoutCastENSC_16StoreWithoutCastEEEviT_T0_T2_T3_T4_T5_.has_dyn_sized_stack, 0
	.set _ZN2at6native27unrolled_elementwise_kernelINS0_11FillFunctorIN3c104HalfEEESt5arrayIPcLm1EELi4E23TrivialOffsetCalculatorILi0EjES9_ILi1EjENS0_6memory15LoadWithoutCastENSC_16StoreWithoutCastEEEviT_T0_T2_T3_T4_T5_.has_recursion, 0
	.set _ZN2at6native27unrolled_elementwise_kernelINS0_11FillFunctorIN3c104HalfEEESt5arrayIPcLm1EELi4E23TrivialOffsetCalculatorILi0EjES9_ILi1EjENS0_6memory15LoadWithoutCastENSC_16StoreWithoutCastEEEviT_T0_T2_T3_T4_T5_.has_indirect_call, 0
	.section	.AMDGPU.csdata,"",@progbits
; Kernel info:
; codeLenInByte = 328
; TotalNumSgprs: 11
; NumVgprs: 4
; ScratchSize: 0
; MemoryBound: 0
; FloatMode: 240
; IeeeMode: 1
; LDSByteSize: 0 bytes/workgroup (compile time only)
; SGPRBlocks: 1
; VGPRBlocks: 0
; NumSGPRsForWavesPerEU: 11
; NumVGPRsForWavesPerEU: 4
; Occupancy: 10
; WaveLimiterHint : 0
; COMPUTE_PGM_RSRC2:SCRATCH_EN: 0
; COMPUTE_PGM_RSRC2:USER_SGPR: 6
; COMPUTE_PGM_RSRC2:TRAP_HANDLER: 0
; COMPUTE_PGM_RSRC2:TGID_X_EN: 1
; COMPUTE_PGM_RSRC2:TGID_Y_EN: 0
; COMPUTE_PGM_RSRC2:TGID_Z_EN: 0
; COMPUTE_PGM_RSRC2:TIDIG_COMP_CNT: 0
	.section	.text._ZN2at6native32elementwise_kernel_manual_unrollILi128ELi8EZNS0_22gpu_kernel_impl_nocastINS0_11FillFunctorIN3c104HalfEEEEEvRNS_18TensorIteratorBaseERKT_EUlibE_EEviT1_,"axG",@progbits,_ZN2at6native32elementwise_kernel_manual_unrollILi128ELi8EZNS0_22gpu_kernel_impl_nocastINS0_11FillFunctorIN3c104HalfEEEEEvRNS_18TensorIteratorBaseERKT_EUlibE_EEviT1_,comdat
	.protected	_ZN2at6native32elementwise_kernel_manual_unrollILi128ELi8EZNS0_22gpu_kernel_impl_nocastINS0_11FillFunctorIN3c104HalfEEEEEvRNS_18TensorIteratorBaseERKT_EUlibE_EEviT1_ ; -- Begin function _ZN2at6native32elementwise_kernel_manual_unrollILi128ELi8EZNS0_22gpu_kernel_impl_nocastINS0_11FillFunctorIN3c104HalfEEEEEvRNS_18TensorIteratorBaseERKT_EUlibE_EEviT1_
	.globl	_ZN2at6native32elementwise_kernel_manual_unrollILi128ELi8EZNS0_22gpu_kernel_impl_nocastINS0_11FillFunctorIN3c104HalfEEEEEvRNS_18TensorIteratorBaseERKT_EUlibE_EEviT1_
	.p2align	8
	.type	_ZN2at6native32elementwise_kernel_manual_unrollILi128ELi8EZNS0_22gpu_kernel_impl_nocastINS0_11FillFunctorIN3c104HalfEEEEEvRNS_18TensorIteratorBaseERKT_EUlibE_EEviT1_,@function
_ZN2at6native32elementwise_kernel_manual_unrollILi128ELi8EZNS0_22gpu_kernel_impl_nocastINS0_11FillFunctorIN3c104HalfEEEEEvRNS_18TensorIteratorBaseERKT_EUlibE_EEviT1_: ; @_ZN2at6native32elementwise_kernel_manual_unrollILi128ELi8EZNS0_22gpu_kernel_impl_nocastINS0_11FillFunctorIN3c104HalfEEEEEvRNS_18TensorIteratorBaseERKT_EUlibE_EEviT1_
; %bb.0:
	s_load_dword s48, s[4:5], 0x0
	s_load_dword s33, s[4:5], 0x8
	s_add_u32 s20, s4, 8
	s_addc_u32 s21, s5, 0
	v_lshl_or_b32 v7, s6, 10, v0
	v_or_b32_e32 v9, 0x380, v7
	s_waitcnt lgkmcnt(0)
	s_add_i32 s46, s33, -1
	s_cmp_gt_u32 s46, 1
	v_cmp_le_i32_e32 vcc, s48, v9
	s_cselect_b64 s[22:23], -1, 0
	s_and_saveexec_b64 s[0:1], vcc
	s_xor_b64 s[24:25], exec, s[0:1]
	s_cbranch_execz .LBB101_7
; %bb.1:
	s_load_dwordx4 s[8:11], s[20:21], 0x4
	s_load_dwordx2 s[30:31], s[20:21], 0x14
	s_load_dwordx2 s[28:29], s[20:21], 0xc4
	;; [unrolled: 1-line block ×3, first 2 shown]
	s_load_dword s47, s[20:21], 0x110
	s_cmp_lg_u32 s33, 0
	s_cselect_b64 s[38:39], -1, 0
	s_add_u32 s36, s20, 0xc4
	s_addc_u32 s37, s21, 0
	s_min_u32 s49, s46, 15
	s_cmp_gt_u32 s33, 1
	s_cselect_b64 s[34:35], -1, 0
	v_cmp_gt_i32_e32 vcc, s48, v7
	s_and_saveexec_b64 s[40:41], vcc
	s_cbranch_execz .LBB101_14
; %bb.2:
	s_andn2_b64 vcc, exec, s[22:23]
	s_cbranch_vccnz .LBB101_21
; %bb.3:
	s_andn2_b64 vcc, exec, s[38:39]
	s_cbranch_vccnz .LBB101_129
; %bb.4:
	s_add_i32 s51, s49, 1
	s_cmp_eq_u32 s46, 2
	s_cbranch_scc1 .LBB101_131
; %bb.5:
	s_and_b32 s50, s51, 28
	s_mov_b32 s52, 0
	v_mov_b32_e32 v0, 0
	s_mov_b64 s[42:43], s[20:21]
	s_mov_b64 s[44:45], s[36:37]
	v_mov_b32_e32 v1, v7
.LBB101_6:                              ; =>This Inner Loop Header: Depth=1
	s_load_dwordx8 s[0:7], s[42:43], 0x4
	s_load_dwordx4 s[12:15], s[42:43], 0x24
	s_load_dwordx4 s[16:19], s[44:45], 0x0
	s_add_u32 s42, s42, 48
	s_addc_u32 s43, s43, 0
	s_waitcnt lgkmcnt(0)
	v_mul_hi_u32 v2, s1, v1
	s_add_i32 s52, s52, 4
	s_add_u32 s44, s44, 16
	s_addc_u32 s45, s45, 0
	v_add_u32_e32 v2, v1, v2
	v_lshrrev_b32_e32 v2, s2, v2
	v_mul_lo_u32 v3, v2, s0
	v_mul_hi_u32 v4, s4, v2
	s_cmp_lg_u32 s50, s52
	v_sub_u32_e32 v1, v1, v3
	v_add_u32_e32 v3, v2, v4
	v_lshrrev_b32_e32 v3, s5, v3
	v_mul_lo_u32 v4, v1, s16
	v_mul_hi_u32 v1, s7, v3
	v_mul_lo_u32 v6, v3, s3
	v_add_u32_e32 v1, v3, v1
	v_lshrrev_b32_e32 v5, s12, v1
	v_mul_hi_u32 v1, s14, v5
	v_sub_u32_e32 v2, v2, v6
	v_mul_lo_u32 v6, v5, s6
	v_mul_lo_u32 v2, v2, s17
	v_add_u32_e32 v1, v5, v1
	v_lshrrev_b32_e32 v1, s15, v1
	v_mul_lo_u32 v8, v1, s13
	v_sub_u32_e32 v3, v3, v6
	v_mul_lo_u32 v3, v3, s18
	v_add3_u32 v0, v4, v0, v2
	v_sub_u32_e32 v5, v5, v8
	v_mul_lo_u32 v5, v5, s19
	v_add3_u32 v0, v3, v0, v5
	s_cbranch_scc1 .LBB101_6
	s_branch .LBB101_132
.LBB101_7:
	s_andn2_saveexec_b64 s[0:1], s[24:25]
	s_cbranch_execz .LBB101_221
.LBB101_8:
	v_cndmask_b32_e64 v0, 0, 1, s[22:23]
	v_cmp_ne_u32_e64 s[0:1], 1, v0
	s_andn2_b64 vcc, exec, s[22:23]
	s_cbranch_vccnz .LBB101_20
; %bb.9:
	s_cmp_lg_u32 s33, 0
	s_mov_b32 s24, 0
	s_cbranch_scc0 .LBB101_23
; %bb.10:
	s_min_u32 s25, s46, 15
	s_add_i32 s25, s25, 1
	s_cmp_eq_u32 s46, 2
	s_cbranch_scc1 .LBB101_24
; %bb.11:
	s_and_b32 s24, s25, 28
	s_add_u32 s2, s20, 0xc4
	s_addc_u32 s3, s21, 0
	s_waitcnt lgkmcnt(0)
	s_mov_b32 s26, 0
	v_mov_b32_e32 v0, 0
	s_mov_b64 s[22:23], s[20:21]
	v_mov_b32_e32 v1, v7
.LBB101_12:                             ; =>This Inner Loop Header: Depth=1
	s_load_dwordx8 s[4:11], s[22:23], 0x4
	s_load_dwordx4 s[12:15], s[22:23], 0x24
	s_load_dwordx4 s[16:19], s[2:3], 0x0
	s_add_u32 s22, s22, 48
	s_addc_u32 s23, s23, 0
	s_waitcnt lgkmcnt(0)
	v_mul_hi_u32 v2, s5, v1
	s_add_i32 s26, s26, 4
	s_add_u32 s2, s2, 16
	s_addc_u32 s3, s3, 0
	v_add_u32_e32 v2, v1, v2
	v_lshrrev_b32_e32 v2, s6, v2
	v_mul_lo_u32 v3, v2, s4
	v_mul_hi_u32 v4, s8, v2
	s_cmp_lg_u32 s24, s26
	v_sub_u32_e32 v1, v1, v3
	v_add_u32_e32 v3, v2, v4
	v_lshrrev_b32_e32 v3, s9, v3
	v_mul_lo_u32 v4, v1, s16
	v_mul_hi_u32 v1, s11, v3
	v_mul_lo_u32 v6, v3, s7
	v_add_u32_e32 v1, v3, v1
	v_lshrrev_b32_e32 v5, s12, v1
	v_mul_hi_u32 v1, s14, v5
	v_sub_u32_e32 v2, v2, v6
	v_mul_lo_u32 v6, v5, s10
	v_mul_lo_u32 v2, v2, s17
	v_add_u32_e32 v1, v5, v1
	v_lshrrev_b32_e32 v1, s15, v1
	v_mul_lo_u32 v8, v1, s13
	v_sub_u32_e32 v3, v3, v6
	v_mul_lo_u32 v3, v3, s18
	v_add3_u32 v0, v4, v0, v2
	v_sub_u32_e32 v5, v5, v8
	v_mul_lo_u32 v5, v5, s19
	v_add3_u32 v0, v3, v0, v5
	s_cbranch_scc1 .LBB101_12
; %bb.13:
	s_and_b32 s6, s25, 3
	s_cmp_eq_u32 s6, 0
	s_cbranch_scc0 .LBB101_25
	s_branch .LBB101_27
.LBB101_14:
	s_or_b64 exec, exec, s[40:41]
	v_cmp_gt_i32_e32 vcc, s48, v7
	s_and_saveexec_b64 s[40:41], vcc
	s_cbranch_execz .LBB101_139
.LBB101_15:
	s_andn2_b64 vcc, exec, s[22:23]
	s_cbranch_vccnz .LBB101_22
; %bb.16:
	s_andn2_b64 vcc, exec, s[38:39]
	s_cbranch_vccnz .LBB101_130
; %bb.17:
	s_add_i32 s51, s49, 1
	s_cmp_eq_u32 s46, 2
	s_cbranch_scc1 .LBB101_147
; %bb.18:
	s_and_b32 s50, s51, 28
	s_mov_b32 s52, 0
	v_mov_b32_e32 v0, 0
	s_mov_b64 s[42:43], s[20:21]
	s_mov_b64 s[44:45], s[36:37]
	v_mov_b32_e32 v1, v7
.LBB101_19:                             ; =>This Inner Loop Header: Depth=1
	s_load_dwordx8 s[0:7], s[42:43], 0x4
	s_load_dwordx4 s[12:15], s[42:43], 0x24
	s_load_dwordx4 s[16:19], s[44:45], 0x0
	s_add_u32 s42, s42, 48
	s_addc_u32 s43, s43, 0
	s_waitcnt lgkmcnt(0)
	v_mul_hi_u32 v2, s1, v1
	s_add_i32 s52, s52, 4
	s_add_u32 s44, s44, 16
	s_addc_u32 s45, s45, 0
	v_add_u32_e32 v2, v1, v2
	v_lshrrev_b32_e32 v2, s2, v2
	v_mul_lo_u32 v3, v2, s0
	v_mul_hi_u32 v4, s4, v2
	s_cmp_eq_u32 s50, s52
	v_sub_u32_e32 v1, v1, v3
	v_add_u32_e32 v3, v2, v4
	v_lshrrev_b32_e32 v3, s5, v3
	v_mul_lo_u32 v4, v1, s16
	v_mul_hi_u32 v1, s7, v3
	v_mul_lo_u32 v6, v3, s3
	v_add_u32_e32 v1, v3, v1
	v_lshrrev_b32_e32 v5, s12, v1
	v_mul_hi_u32 v1, s14, v5
	v_sub_u32_e32 v2, v2, v6
	v_mul_lo_u32 v6, v5, s6
	v_mul_lo_u32 v2, v2, s17
	v_add_u32_e32 v1, v5, v1
	v_lshrrev_b32_e32 v1, s15, v1
	v_mul_lo_u32 v8, v1, s13
	v_sub_u32_e32 v3, v3, v6
	v_mul_lo_u32 v3, v3, s18
	v_add3_u32 v0, v4, v0, v2
	v_sub_u32_e32 v5, v5, v8
	v_mul_lo_u32 v5, v5, s19
	v_add3_u32 v0, v3, v0, v5
	s_cbranch_scc0 .LBB101_19
	s_branch .LBB101_148
.LBB101_20:
                                        ; implicit-def: $vgpr0
	s_branch .LBB101_28
.LBB101_21:
                                        ; implicit-def: $vgpr0
	s_branch .LBB101_136
.LBB101_22:
                                        ; implicit-def: $vgpr0
	s_branch .LBB101_152
.LBB101_23:
	v_mov_b32_e32 v0, 0
	s_branch .LBB101_27
.LBB101_24:
	v_mov_b32_e32 v0, 0
	v_mov_b32_e32 v1, v7
	s_and_b32 s6, s25, 3
	s_cmp_eq_u32 s6, 0
	s_cbranch_scc1 .LBB101_27
.LBB101_25:
	s_lshl_b32 s2, s24, 2
	s_add_u32 s2, s20, s2
	s_addc_u32 s3, s21, 0
	s_add_u32 s2, s2, 0xc4
	s_addc_u32 s3, s3, 0
	s_mul_i32 s4, s24, 12
	s_add_u32 s4, s20, s4
	s_addc_u32 s5, s21, 0
.LBB101_26:                             ; =>This Inner Loop Header: Depth=1
	s_waitcnt lgkmcnt(0)
	s_load_dwordx2 s[8:9], s[4:5], 0x4
	s_load_dword s7, s[4:5], 0xc
	s_add_u32 s4, s4, 12
	s_addc_u32 s5, s5, 0
	s_waitcnt lgkmcnt(0)
	v_mul_hi_u32 v2, s9, v1
	s_load_dword s9, s[2:3], 0x0
	s_add_u32 s2, s2, 4
	s_addc_u32 s3, s3, 0
	v_add_u32_e32 v2, v1, v2
	v_lshrrev_b32_e32 v2, s7, v2
	v_mul_lo_u32 v3, v2, s8
	s_add_i32 s6, s6, -1
	s_cmp_lg_u32 s6, 0
	v_sub_u32_e32 v1, v1, v3
	s_waitcnt lgkmcnt(0)
	v_mad_u64_u32 v[0:1], s[8:9], v1, s9, v[0:1]
	v_mov_b32_e32 v1, v2
	s_cbranch_scc1 .LBB101_26
.LBB101_27:
	s_cbranch_execnz .LBB101_30
.LBB101_28:
	s_load_dwordx4 s[4:7], s[20:21], 0x4
	s_load_dword s2, s[20:21], 0xc4
	s_cmp_lt_u32 s33, 2
	s_waitcnt lgkmcnt(0)
	v_mul_hi_u32 v0, s5, v7
	v_add_u32_e32 v0, v7, v0
	v_lshrrev_b32_e32 v1, s6, v0
	v_mul_lo_u32 v0, v1, s4
	v_sub_u32_e32 v0, v7, v0
	v_mul_lo_u32 v0, v0, s2
	s_cbranch_scc1 .LBB101_30
; %bb.29:
	s_load_dwordx4 s[4:7], s[20:21], 0x10
	s_load_dword s2, s[20:21], 0xc8
	s_waitcnt lgkmcnt(0)
	v_mul_hi_u32 v2, s5, v1
	v_add_u32_e32 v2, v1, v2
	v_lshrrev_b32_e32 v2, s6, v2
	v_mul_lo_u32 v2, v2, s4
	v_sub_u32_e32 v1, v1, v2
	v_mad_u64_u32 v[0:1], s[2:3], v1, s2, v[0:1]
.LBB101_30:
	s_and_b64 vcc, exec, s[0:1]
	v_add_u32_e32 v3, 0x80, v7
	s_cbranch_vccnz .LBB101_36
; %bb.31:
	s_cmp_lg_u32 s33, 0
	s_mov_b32 s24, 0
	s_cbranch_scc0 .LBB101_37
; %bb.32:
	s_min_u32 s25, s46, 15
	s_add_i32 s25, s25, 1
	s_cmp_eq_u32 s46, 2
	s_cbranch_scc1 .LBB101_38
; %bb.33:
	s_and_b32 s24, s25, 28
	s_add_u32 s2, s20, 0xc4
	s_addc_u32 s3, s21, 0
	s_waitcnt lgkmcnt(0)
	s_mov_b32 s26, 0
	v_mov_b32_e32 v1, 0
	s_mov_b64 s[22:23], s[20:21]
	v_mov_b32_e32 v2, v3
.LBB101_34:                             ; =>This Inner Loop Header: Depth=1
	s_load_dwordx8 s[4:11], s[22:23], 0x4
	s_load_dwordx4 s[12:15], s[22:23], 0x24
	s_load_dwordx4 s[16:19], s[2:3], 0x0
	s_add_u32 s22, s22, 48
	s_addc_u32 s23, s23, 0
	s_waitcnt lgkmcnt(0)
	v_mul_hi_u32 v4, s5, v2
	s_add_i32 s26, s26, 4
	s_add_u32 s2, s2, 16
	s_addc_u32 s3, s3, 0
	v_add_u32_e32 v4, v2, v4
	v_lshrrev_b32_e32 v4, s6, v4
	v_mul_lo_u32 v5, v4, s4
	v_mul_hi_u32 v6, s8, v4
	s_cmp_lg_u32 s24, s26
	v_sub_u32_e32 v2, v2, v5
	v_add_u32_e32 v5, v4, v6
	v_lshrrev_b32_e32 v5, s9, v5
	v_mul_lo_u32 v6, v2, s16
	v_mul_hi_u32 v2, s11, v5
	v_mul_lo_u32 v10, v5, s7
	v_add_u32_e32 v2, v5, v2
	v_lshrrev_b32_e32 v8, s12, v2
	v_mul_hi_u32 v2, s14, v8
	v_sub_u32_e32 v4, v4, v10
	v_mul_lo_u32 v10, v8, s10
	v_mul_lo_u32 v4, v4, s17
	v_add_u32_e32 v2, v8, v2
	v_lshrrev_b32_e32 v2, s15, v2
	v_mul_lo_u32 v11, v2, s13
	v_sub_u32_e32 v5, v5, v10
	v_mul_lo_u32 v5, v5, s18
	v_add3_u32 v1, v6, v1, v4
	v_sub_u32_e32 v8, v8, v11
	v_mul_lo_u32 v8, v8, s19
	v_add3_u32 v1, v5, v1, v8
	s_cbranch_scc1 .LBB101_34
; %bb.35:
	s_and_b32 s6, s25, 3
	s_cmp_eq_u32 s6, 0
	s_cbranch_scc0 .LBB101_39
	s_branch .LBB101_41
.LBB101_36:
                                        ; implicit-def: $vgpr1
	s_branch .LBB101_42
.LBB101_37:
	v_mov_b32_e32 v1, 0
	s_branch .LBB101_41
.LBB101_38:
	v_mov_b32_e32 v1, 0
	v_mov_b32_e32 v2, v3
	s_and_b32 s6, s25, 3
	s_cmp_eq_u32 s6, 0
	s_cbranch_scc1 .LBB101_41
.LBB101_39:
	s_lshl_b32 s2, s24, 2
	s_add_u32 s2, s20, s2
	s_addc_u32 s3, s21, 0
	s_add_u32 s2, s2, 0xc4
	s_addc_u32 s3, s3, 0
	s_mul_i32 s4, s24, 12
	s_add_u32 s4, s20, s4
	s_addc_u32 s5, s21, 0
.LBB101_40:                             ; =>This Inner Loop Header: Depth=1
	s_waitcnt lgkmcnt(0)
	s_load_dwordx2 s[8:9], s[4:5], 0x4
	s_load_dword s7, s[4:5], 0xc
	s_add_u32 s4, s4, 12
	s_addc_u32 s5, s5, 0
	s_waitcnt lgkmcnt(0)
	v_mul_hi_u32 v4, s9, v2
	s_load_dword s9, s[2:3], 0x0
	s_add_u32 s2, s2, 4
	s_addc_u32 s3, s3, 0
	v_add_u32_e32 v4, v2, v4
	v_lshrrev_b32_e32 v4, s7, v4
	v_mul_lo_u32 v5, v4, s8
	s_add_i32 s6, s6, -1
	s_cmp_lg_u32 s6, 0
	v_sub_u32_e32 v2, v2, v5
	s_waitcnt lgkmcnt(0)
	v_mad_u64_u32 v[1:2], s[8:9], v2, s9, v[1:2]
	v_mov_b32_e32 v2, v4
	s_cbranch_scc1 .LBB101_40
.LBB101_41:
	s_cbranch_execnz .LBB101_44
.LBB101_42:
	s_load_dwordx4 s[4:7], s[20:21], 0x4
	s_load_dword s2, s[20:21], 0xc4
	s_cmp_lt_u32 s33, 2
	s_waitcnt lgkmcnt(0)
	v_mul_hi_u32 v1, s5, v3
	v_add_u32_e32 v1, v3, v1
	v_lshrrev_b32_e32 v2, s6, v1
	v_mul_lo_u32 v1, v2, s4
	v_sub_u32_e32 v1, v3, v1
	v_mul_lo_u32 v1, v1, s2
	s_cbranch_scc1 .LBB101_44
; %bb.43:
	s_load_dwordx4 s[4:7], s[20:21], 0x10
	s_load_dword s2, s[20:21], 0xc8
	s_waitcnt lgkmcnt(0)
	v_mul_hi_u32 v3, s5, v2
	v_add_u32_e32 v3, v2, v3
	v_lshrrev_b32_e32 v3, s6, v3
	v_mul_lo_u32 v3, v3, s4
	v_sub_u32_e32 v2, v2, v3
	v_mad_u64_u32 v[1:2], s[2:3], v2, s2, v[1:2]
.LBB101_44:
	s_and_b64 vcc, exec, s[0:1]
	v_add_u32_e32 v4, 0x100, v7
	s_cbranch_vccnz .LBB101_50
; %bb.45:
	s_cmp_lg_u32 s33, 0
	s_mov_b32 s24, 0
	s_cbranch_scc0 .LBB101_51
; %bb.46:
	s_min_u32 s25, s46, 15
	s_add_i32 s25, s25, 1
	s_cmp_eq_u32 s46, 2
	s_cbranch_scc1 .LBB101_52
; %bb.47:
	s_and_b32 s24, s25, 28
	s_add_u32 s2, s20, 0xc4
	s_addc_u32 s3, s21, 0
	s_waitcnt lgkmcnt(0)
	s_mov_b32 s26, 0
	v_mov_b32_e32 v2, 0
	s_mov_b64 s[22:23], s[20:21]
	v_mov_b32_e32 v3, v4
.LBB101_48:                             ; =>This Inner Loop Header: Depth=1
	s_load_dwordx8 s[4:11], s[22:23], 0x4
	s_load_dwordx4 s[12:15], s[22:23], 0x24
	s_load_dwordx4 s[16:19], s[2:3], 0x0
	s_add_u32 s22, s22, 48
	s_addc_u32 s23, s23, 0
	s_waitcnt lgkmcnt(0)
	v_mul_hi_u32 v5, s5, v3
	s_add_i32 s26, s26, 4
	s_add_u32 s2, s2, 16
	s_addc_u32 s3, s3, 0
	v_add_u32_e32 v5, v3, v5
	v_lshrrev_b32_e32 v5, s6, v5
	v_mul_lo_u32 v6, v5, s4
	v_mul_hi_u32 v8, s8, v5
	s_cmp_lg_u32 s24, s26
	v_sub_u32_e32 v3, v3, v6
	v_add_u32_e32 v6, v5, v8
	v_lshrrev_b32_e32 v6, s9, v6
	v_mul_lo_u32 v8, v3, s16
	v_mul_hi_u32 v3, s11, v6
	v_mul_lo_u32 v11, v6, s7
	v_add_u32_e32 v3, v6, v3
	v_lshrrev_b32_e32 v10, s12, v3
	v_mul_hi_u32 v3, s14, v10
	v_sub_u32_e32 v5, v5, v11
	v_mul_lo_u32 v11, v10, s10
	v_mul_lo_u32 v5, v5, s17
	v_add_u32_e32 v3, v10, v3
	v_lshrrev_b32_e32 v3, s15, v3
	v_mul_lo_u32 v12, v3, s13
	v_sub_u32_e32 v6, v6, v11
	v_mul_lo_u32 v6, v6, s18
	v_add3_u32 v2, v8, v2, v5
	v_sub_u32_e32 v10, v10, v12
	v_mul_lo_u32 v10, v10, s19
	v_add3_u32 v2, v6, v2, v10
	s_cbranch_scc1 .LBB101_48
; %bb.49:
	s_and_b32 s6, s25, 3
	s_cmp_eq_u32 s6, 0
	s_cbranch_scc0 .LBB101_53
	s_branch .LBB101_55
.LBB101_50:
                                        ; implicit-def: $vgpr2
	s_branch .LBB101_56
.LBB101_51:
	v_mov_b32_e32 v2, 0
	s_branch .LBB101_55
.LBB101_52:
	v_mov_b32_e32 v2, 0
	v_mov_b32_e32 v3, v4
	s_and_b32 s6, s25, 3
	s_cmp_eq_u32 s6, 0
	s_cbranch_scc1 .LBB101_55
.LBB101_53:
	s_lshl_b32 s2, s24, 2
	s_add_u32 s2, s20, s2
	s_addc_u32 s3, s21, 0
	s_add_u32 s2, s2, 0xc4
	s_addc_u32 s3, s3, 0
	s_mul_i32 s4, s24, 12
	s_add_u32 s4, s20, s4
	s_addc_u32 s5, s21, 0
.LBB101_54:                             ; =>This Inner Loop Header: Depth=1
	s_waitcnt lgkmcnt(0)
	s_load_dwordx2 s[8:9], s[4:5], 0x4
	s_load_dword s7, s[4:5], 0xc
	s_add_u32 s4, s4, 12
	s_addc_u32 s5, s5, 0
	s_waitcnt lgkmcnt(0)
	v_mul_hi_u32 v5, s9, v3
	s_load_dword s9, s[2:3], 0x0
	s_add_u32 s2, s2, 4
	s_addc_u32 s3, s3, 0
	v_add_u32_e32 v5, v3, v5
	v_lshrrev_b32_e32 v5, s7, v5
	v_mul_lo_u32 v6, v5, s8
	s_add_i32 s6, s6, -1
	s_cmp_lg_u32 s6, 0
	v_sub_u32_e32 v3, v3, v6
	s_waitcnt lgkmcnt(0)
	v_mad_u64_u32 v[2:3], s[8:9], v3, s9, v[2:3]
	v_mov_b32_e32 v3, v5
	s_cbranch_scc1 .LBB101_54
.LBB101_55:
	s_cbranch_execnz .LBB101_58
.LBB101_56:
	s_load_dwordx4 s[4:7], s[20:21], 0x4
	s_load_dword s2, s[20:21], 0xc4
	s_cmp_lt_u32 s33, 2
	s_waitcnt lgkmcnt(0)
	v_mul_hi_u32 v2, s5, v4
	v_add_u32_e32 v2, v4, v2
	v_lshrrev_b32_e32 v3, s6, v2
	v_mul_lo_u32 v2, v3, s4
	v_sub_u32_e32 v2, v4, v2
	v_mul_lo_u32 v2, v2, s2
	s_cbranch_scc1 .LBB101_58
; %bb.57:
	s_load_dwordx4 s[4:7], s[20:21], 0x10
	s_load_dword s2, s[20:21], 0xc8
	s_waitcnt lgkmcnt(0)
	v_mul_hi_u32 v4, s5, v3
	v_add_u32_e32 v4, v3, v4
	v_lshrrev_b32_e32 v4, s6, v4
	v_mul_lo_u32 v4, v4, s4
	v_sub_u32_e32 v3, v3, v4
	v_mad_u64_u32 v[2:3], s[2:3], v3, s2, v[2:3]
.LBB101_58:
	s_and_b64 vcc, exec, s[0:1]
	v_add_u32_e32 v5, 0x180, v7
	s_cbranch_vccnz .LBB101_64
; %bb.59:
	s_cmp_lg_u32 s33, 0
	s_mov_b32 s24, 0
	s_cbranch_scc0 .LBB101_65
; %bb.60:
	s_min_u32 s25, s46, 15
	s_add_i32 s25, s25, 1
	s_cmp_eq_u32 s46, 2
	s_cbranch_scc1 .LBB101_66
; %bb.61:
	s_and_b32 s24, s25, 28
	s_add_u32 s2, s20, 0xc4
	s_addc_u32 s3, s21, 0
	s_waitcnt lgkmcnt(0)
	s_mov_b32 s26, 0
	v_mov_b32_e32 v3, 0
	s_mov_b64 s[22:23], s[20:21]
	v_mov_b32_e32 v4, v5
.LBB101_62:                             ; =>This Inner Loop Header: Depth=1
	s_load_dwordx8 s[4:11], s[22:23], 0x4
	s_load_dwordx4 s[12:15], s[22:23], 0x24
	s_load_dwordx4 s[16:19], s[2:3], 0x0
	s_add_u32 s22, s22, 48
	s_addc_u32 s23, s23, 0
	s_waitcnt lgkmcnt(0)
	v_mul_hi_u32 v6, s5, v4
	s_add_i32 s26, s26, 4
	s_add_u32 s2, s2, 16
	s_addc_u32 s3, s3, 0
	v_add_u32_e32 v6, v4, v6
	v_lshrrev_b32_e32 v6, s6, v6
	v_mul_lo_u32 v8, v6, s4
	v_mul_hi_u32 v10, s8, v6
	s_cmp_lg_u32 s24, s26
	v_sub_u32_e32 v4, v4, v8
	v_add_u32_e32 v8, v6, v10
	v_lshrrev_b32_e32 v8, s9, v8
	v_mul_lo_u32 v10, v4, s16
	v_mul_hi_u32 v4, s11, v8
	v_mul_lo_u32 v12, v8, s7
	v_add_u32_e32 v4, v8, v4
	v_lshrrev_b32_e32 v11, s12, v4
	v_mul_hi_u32 v4, s14, v11
	v_sub_u32_e32 v6, v6, v12
	v_mul_lo_u32 v12, v11, s10
	v_mul_lo_u32 v6, v6, s17
	v_add_u32_e32 v4, v11, v4
	v_lshrrev_b32_e32 v4, s15, v4
	v_mul_lo_u32 v13, v4, s13
	v_sub_u32_e32 v8, v8, v12
	v_mul_lo_u32 v8, v8, s18
	v_add3_u32 v3, v10, v3, v6
	v_sub_u32_e32 v11, v11, v13
	v_mul_lo_u32 v11, v11, s19
	v_add3_u32 v3, v8, v3, v11
	s_cbranch_scc1 .LBB101_62
; %bb.63:
	s_and_b32 s6, s25, 3
	s_cmp_eq_u32 s6, 0
	s_cbranch_scc0 .LBB101_67
	s_branch .LBB101_69
.LBB101_64:
                                        ; implicit-def: $vgpr3
	s_branch .LBB101_70
.LBB101_65:
	v_mov_b32_e32 v3, 0
	s_branch .LBB101_69
.LBB101_66:
	v_mov_b32_e32 v3, 0
	v_mov_b32_e32 v4, v5
	s_and_b32 s6, s25, 3
	s_cmp_eq_u32 s6, 0
	s_cbranch_scc1 .LBB101_69
.LBB101_67:
	s_lshl_b32 s2, s24, 2
	s_add_u32 s2, s20, s2
	s_addc_u32 s3, s21, 0
	s_add_u32 s2, s2, 0xc4
	s_addc_u32 s3, s3, 0
	s_mul_i32 s4, s24, 12
	s_add_u32 s4, s20, s4
	s_addc_u32 s5, s21, 0
.LBB101_68:                             ; =>This Inner Loop Header: Depth=1
	s_waitcnt lgkmcnt(0)
	s_load_dwordx2 s[8:9], s[4:5], 0x4
	s_load_dword s7, s[4:5], 0xc
	s_add_u32 s4, s4, 12
	s_addc_u32 s5, s5, 0
	s_waitcnt lgkmcnt(0)
	v_mul_hi_u32 v6, s9, v4
	s_load_dword s9, s[2:3], 0x0
	s_add_u32 s2, s2, 4
	s_addc_u32 s3, s3, 0
	v_add_u32_e32 v6, v4, v6
	v_lshrrev_b32_e32 v6, s7, v6
	v_mul_lo_u32 v8, v6, s8
	s_add_i32 s6, s6, -1
	s_cmp_lg_u32 s6, 0
	v_sub_u32_e32 v4, v4, v8
	s_waitcnt lgkmcnt(0)
	v_mad_u64_u32 v[3:4], s[8:9], v4, s9, v[3:4]
	v_mov_b32_e32 v4, v6
	s_cbranch_scc1 .LBB101_68
.LBB101_69:
	s_cbranch_execnz .LBB101_72
.LBB101_70:
	s_load_dwordx4 s[4:7], s[20:21], 0x4
	s_load_dword s2, s[20:21], 0xc4
	s_cmp_lt_u32 s33, 2
	s_waitcnt lgkmcnt(0)
	v_mul_hi_u32 v3, s5, v5
	v_add_u32_e32 v3, v5, v3
	v_lshrrev_b32_e32 v4, s6, v3
	v_mul_lo_u32 v3, v4, s4
	v_sub_u32_e32 v3, v5, v3
	v_mul_lo_u32 v3, v3, s2
	s_cbranch_scc1 .LBB101_72
; %bb.71:
	s_load_dwordx4 s[4:7], s[20:21], 0x10
	s_load_dword s2, s[20:21], 0xc8
	s_waitcnt lgkmcnt(0)
	v_mul_hi_u32 v5, s5, v4
	v_add_u32_e32 v5, v4, v5
	v_lshrrev_b32_e32 v5, s6, v5
	v_mul_lo_u32 v5, v5, s4
	v_sub_u32_e32 v4, v4, v5
	v_mad_u64_u32 v[3:4], s[2:3], v4, s2, v[3:4]
.LBB101_72:
	s_and_b64 vcc, exec, s[0:1]
	v_add_u32_e32 v6, 0x200, v7
	s_cbranch_vccnz .LBB101_78
; %bb.73:
	s_cmp_lg_u32 s33, 0
	s_mov_b32 s24, 0
	s_cbranch_scc0 .LBB101_79
; %bb.74:
	s_min_u32 s25, s46, 15
	s_add_i32 s25, s25, 1
	s_cmp_eq_u32 s46, 2
	s_cbranch_scc1 .LBB101_80
; %bb.75:
	s_and_b32 s24, s25, 28
	s_add_u32 s2, s20, 0xc4
	s_addc_u32 s3, s21, 0
	s_waitcnt lgkmcnt(0)
	s_mov_b32 s26, 0
	v_mov_b32_e32 v4, 0
	s_mov_b64 s[22:23], s[20:21]
	v_mov_b32_e32 v5, v6
.LBB101_76:                             ; =>This Inner Loop Header: Depth=1
	s_load_dwordx8 s[4:11], s[22:23], 0x4
	s_load_dwordx4 s[12:15], s[22:23], 0x24
	s_load_dwordx4 s[16:19], s[2:3], 0x0
	s_add_u32 s22, s22, 48
	s_addc_u32 s23, s23, 0
	s_waitcnt lgkmcnt(0)
	v_mul_hi_u32 v8, s5, v5
	s_add_i32 s26, s26, 4
	s_add_u32 s2, s2, 16
	s_addc_u32 s3, s3, 0
	v_add_u32_e32 v8, v5, v8
	v_lshrrev_b32_e32 v8, s6, v8
	v_mul_lo_u32 v10, v8, s4
	v_mul_hi_u32 v11, s8, v8
	s_cmp_lg_u32 s24, s26
	v_sub_u32_e32 v5, v5, v10
	v_add_u32_e32 v10, v8, v11
	v_lshrrev_b32_e32 v10, s9, v10
	v_mul_lo_u32 v11, v5, s16
	v_mul_hi_u32 v5, s11, v10
	v_mul_lo_u32 v13, v10, s7
	v_add_u32_e32 v5, v10, v5
	v_lshrrev_b32_e32 v12, s12, v5
	v_mul_hi_u32 v5, s14, v12
	v_sub_u32_e32 v8, v8, v13
	v_mul_lo_u32 v13, v12, s10
	v_mul_lo_u32 v8, v8, s17
	v_add_u32_e32 v5, v12, v5
	v_lshrrev_b32_e32 v5, s15, v5
	v_mul_lo_u32 v14, v5, s13
	v_sub_u32_e32 v10, v10, v13
	v_mul_lo_u32 v10, v10, s18
	v_add3_u32 v4, v11, v4, v8
	v_sub_u32_e32 v12, v12, v14
	v_mul_lo_u32 v12, v12, s19
	v_add3_u32 v4, v10, v4, v12
	s_cbranch_scc1 .LBB101_76
; %bb.77:
	s_and_b32 s6, s25, 3
	s_cmp_eq_u32 s6, 0
	s_cbranch_scc0 .LBB101_81
	s_branch .LBB101_83
.LBB101_78:
                                        ; implicit-def: $vgpr4
	s_branch .LBB101_84
.LBB101_79:
	v_mov_b32_e32 v4, 0
	s_branch .LBB101_83
.LBB101_80:
	v_mov_b32_e32 v4, 0
	v_mov_b32_e32 v5, v6
	s_and_b32 s6, s25, 3
	s_cmp_eq_u32 s6, 0
	s_cbranch_scc1 .LBB101_83
.LBB101_81:
	s_lshl_b32 s2, s24, 2
	s_add_u32 s2, s20, s2
	s_addc_u32 s3, s21, 0
	s_add_u32 s2, s2, 0xc4
	s_addc_u32 s3, s3, 0
	s_mul_i32 s4, s24, 12
	s_add_u32 s4, s20, s4
	s_addc_u32 s5, s21, 0
.LBB101_82:                             ; =>This Inner Loop Header: Depth=1
	s_waitcnt lgkmcnt(0)
	s_load_dwordx2 s[8:9], s[4:5], 0x4
	s_load_dword s7, s[4:5], 0xc
	s_add_u32 s4, s4, 12
	s_addc_u32 s5, s5, 0
	s_waitcnt lgkmcnt(0)
	v_mul_hi_u32 v8, s9, v5
	s_load_dword s9, s[2:3], 0x0
	s_add_u32 s2, s2, 4
	s_addc_u32 s3, s3, 0
	v_add_u32_e32 v8, v5, v8
	v_lshrrev_b32_e32 v8, s7, v8
	v_mul_lo_u32 v10, v8, s8
	s_add_i32 s6, s6, -1
	s_cmp_lg_u32 s6, 0
	v_sub_u32_e32 v5, v5, v10
	s_waitcnt lgkmcnt(0)
	v_mad_u64_u32 v[4:5], s[8:9], v5, s9, v[4:5]
	v_mov_b32_e32 v5, v8
	s_cbranch_scc1 .LBB101_82
.LBB101_83:
	s_cbranch_execnz .LBB101_86
.LBB101_84:
	s_load_dwordx4 s[4:7], s[20:21], 0x4
	s_load_dword s2, s[20:21], 0xc4
	s_cmp_lt_u32 s33, 2
	s_waitcnt lgkmcnt(0)
	v_mul_hi_u32 v4, s5, v6
	v_add_u32_e32 v4, v6, v4
	v_lshrrev_b32_e32 v5, s6, v4
	v_mul_lo_u32 v4, v5, s4
	v_sub_u32_e32 v4, v6, v4
	v_mul_lo_u32 v4, v4, s2
	s_cbranch_scc1 .LBB101_86
; %bb.85:
	s_load_dwordx4 s[4:7], s[20:21], 0x10
	s_load_dword s2, s[20:21], 0xc8
	s_waitcnt lgkmcnt(0)
	v_mul_hi_u32 v6, s5, v5
	v_add_u32_e32 v6, v5, v6
	v_lshrrev_b32_e32 v6, s6, v6
	v_mul_lo_u32 v6, v6, s4
	v_sub_u32_e32 v5, v5, v6
	v_mad_u64_u32 v[4:5], s[2:3], v5, s2, v[4:5]
.LBB101_86:
	s_and_b64 vcc, exec, s[0:1]
	v_add_u32_e32 v8, 0x280, v7
	s_cbranch_vccnz .LBB101_92
; %bb.87:
	s_cmp_lg_u32 s33, 0
	s_mov_b32 s24, 0
	s_cbranch_scc0 .LBB101_93
; %bb.88:
	s_min_u32 s25, s46, 15
	s_add_i32 s25, s25, 1
	s_cmp_eq_u32 s46, 2
	s_cbranch_scc1 .LBB101_94
; %bb.89:
	s_and_b32 s24, s25, 28
	s_add_u32 s2, s20, 0xc4
	s_addc_u32 s3, s21, 0
	s_waitcnt lgkmcnt(0)
	s_mov_b32 s26, 0
	v_mov_b32_e32 v5, 0
	s_mov_b64 s[22:23], s[20:21]
	v_mov_b32_e32 v6, v8
.LBB101_90:                             ; =>This Inner Loop Header: Depth=1
	s_load_dwordx8 s[4:11], s[22:23], 0x4
	s_load_dwordx4 s[12:15], s[22:23], 0x24
	s_load_dwordx4 s[16:19], s[2:3], 0x0
	s_add_u32 s22, s22, 48
	s_addc_u32 s23, s23, 0
	s_waitcnt lgkmcnt(0)
	v_mul_hi_u32 v10, s5, v6
	s_add_i32 s26, s26, 4
	s_add_u32 s2, s2, 16
	s_addc_u32 s3, s3, 0
	v_add_u32_e32 v10, v6, v10
	v_lshrrev_b32_e32 v10, s6, v10
	v_mul_lo_u32 v11, v10, s4
	v_mul_hi_u32 v12, s8, v10
	s_cmp_lg_u32 s24, s26
	v_sub_u32_e32 v6, v6, v11
	v_add_u32_e32 v11, v10, v12
	v_lshrrev_b32_e32 v11, s9, v11
	v_mul_lo_u32 v12, v6, s16
	v_mul_hi_u32 v6, s11, v11
	v_mul_lo_u32 v14, v11, s7
	v_add_u32_e32 v6, v11, v6
	v_lshrrev_b32_e32 v13, s12, v6
	v_mul_hi_u32 v6, s14, v13
	v_sub_u32_e32 v10, v10, v14
	v_mul_lo_u32 v14, v13, s10
	v_mul_lo_u32 v10, v10, s17
	v_add_u32_e32 v6, v13, v6
	v_lshrrev_b32_e32 v6, s15, v6
	v_mul_lo_u32 v15, v6, s13
	v_sub_u32_e32 v11, v11, v14
	v_mul_lo_u32 v11, v11, s18
	v_add3_u32 v5, v12, v5, v10
	v_sub_u32_e32 v13, v13, v15
	v_mul_lo_u32 v13, v13, s19
	v_add3_u32 v5, v11, v5, v13
	s_cbranch_scc1 .LBB101_90
; %bb.91:
	s_and_b32 s6, s25, 3
	s_cmp_eq_u32 s6, 0
	s_cbranch_scc0 .LBB101_95
	s_branch .LBB101_97
.LBB101_92:
                                        ; implicit-def: $vgpr5
	s_branch .LBB101_98
.LBB101_93:
	v_mov_b32_e32 v5, 0
	s_branch .LBB101_97
.LBB101_94:
	v_mov_b32_e32 v5, 0
	v_mov_b32_e32 v6, v8
	s_and_b32 s6, s25, 3
	s_cmp_eq_u32 s6, 0
	s_cbranch_scc1 .LBB101_97
.LBB101_95:
	s_lshl_b32 s2, s24, 2
	s_add_u32 s2, s20, s2
	s_addc_u32 s3, s21, 0
	s_add_u32 s2, s2, 0xc4
	s_addc_u32 s3, s3, 0
	s_mul_i32 s4, s24, 12
	s_add_u32 s4, s20, s4
	s_addc_u32 s5, s21, 0
.LBB101_96:                             ; =>This Inner Loop Header: Depth=1
	s_waitcnt lgkmcnt(0)
	s_load_dwordx2 s[8:9], s[4:5], 0x4
	s_load_dword s7, s[4:5], 0xc
	s_add_u32 s4, s4, 12
	s_addc_u32 s5, s5, 0
	s_waitcnt lgkmcnt(0)
	v_mul_hi_u32 v10, s9, v6
	s_load_dword s9, s[2:3], 0x0
	s_add_u32 s2, s2, 4
	s_addc_u32 s3, s3, 0
	v_add_u32_e32 v10, v6, v10
	v_lshrrev_b32_e32 v10, s7, v10
	v_mul_lo_u32 v11, v10, s8
	s_add_i32 s6, s6, -1
	s_cmp_lg_u32 s6, 0
	v_sub_u32_e32 v6, v6, v11
	s_waitcnt lgkmcnt(0)
	v_mad_u64_u32 v[5:6], s[8:9], v6, s9, v[5:6]
	v_mov_b32_e32 v6, v10
	s_cbranch_scc1 .LBB101_96
.LBB101_97:
	s_cbranch_execnz .LBB101_100
.LBB101_98:
	s_load_dwordx4 s[4:7], s[20:21], 0x4
	s_load_dword s2, s[20:21], 0xc4
	s_cmp_lt_u32 s33, 2
	s_waitcnt lgkmcnt(0)
	v_mul_hi_u32 v5, s5, v8
	v_add_u32_e32 v5, v8, v5
	v_lshrrev_b32_e32 v6, s6, v5
	v_mul_lo_u32 v5, v6, s4
	v_sub_u32_e32 v5, v8, v5
	v_mul_lo_u32 v5, v5, s2
	s_cbranch_scc1 .LBB101_100
; %bb.99:
	s_load_dwordx4 s[4:7], s[20:21], 0x10
	s_load_dword s2, s[20:21], 0xc8
	s_waitcnt lgkmcnt(0)
	v_mul_hi_u32 v8, s5, v6
	v_add_u32_e32 v8, v6, v8
	v_lshrrev_b32_e32 v8, s6, v8
	v_mul_lo_u32 v8, v8, s4
	v_sub_u32_e32 v6, v6, v8
	v_mad_u64_u32 v[5:6], s[2:3], v6, s2, v[5:6]
.LBB101_100:
	s_and_b64 vcc, exec, s[0:1]
	v_add_u32_e32 v8, 0x300, v7
	s_cbranch_vccnz .LBB101_106
; %bb.101:
	s_cmp_lg_u32 s33, 0
	s_mov_b32 s24, 0
	s_cbranch_scc0 .LBB101_107
; %bb.102:
	s_min_u32 s25, s46, 15
	s_add_i32 s25, s25, 1
	s_cmp_eq_u32 s46, 2
	s_cbranch_scc1 .LBB101_108
; %bb.103:
	s_and_b32 s24, s25, 28
	s_add_u32 s2, s20, 0xc4
	s_addc_u32 s3, s21, 0
	s_waitcnt lgkmcnt(0)
	s_mov_b32 s26, 0
	v_mov_b32_e32 v6, 0
	s_mov_b64 s[22:23], s[20:21]
	v_mov_b32_e32 v7, v8
.LBB101_104:                            ; =>This Inner Loop Header: Depth=1
	s_load_dwordx8 s[4:11], s[22:23], 0x4
	s_load_dwordx4 s[12:15], s[22:23], 0x24
	s_load_dwordx4 s[16:19], s[2:3], 0x0
	s_add_u32 s22, s22, 48
	s_addc_u32 s23, s23, 0
	s_waitcnt lgkmcnt(0)
	v_mul_hi_u32 v10, s5, v7
	s_add_i32 s26, s26, 4
	s_add_u32 s2, s2, 16
	s_addc_u32 s3, s3, 0
	v_add_u32_e32 v10, v7, v10
	v_lshrrev_b32_e32 v10, s6, v10
	v_mul_lo_u32 v11, v10, s4
	v_mul_hi_u32 v12, s8, v10
	s_cmp_lg_u32 s24, s26
	v_sub_u32_e32 v7, v7, v11
	v_add_u32_e32 v11, v10, v12
	v_lshrrev_b32_e32 v11, s9, v11
	v_mul_lo_u32 v12, v7, s16
	v_mul_hi_u32 v7, s11, v11
	v_mul_lo_u32 v14, v11, s7
	v_add_u32_e32 v7, v11, v7
	v_lshrrev_b32_e32 v13, s12, v7
	v_mul_hi_u32 v7, s14, v13
	v_sub_u32_e32 v10, v10, v14
	v_mul_lo_u32 v14, v13, s10
	v_mul_lo_u32 v10, v10, s17
	v_add_u32_e32 v7, v13, v7
	v_lshrrev_b32_e32 v7, s15, v7
	v_mul_lo_u32 v15, v7, s13
	v_sub_u32_e32 v11, v11, v14
	v_mul_lo_u32 v11, v11, s18
	v_add3_u32 v6, v12, v6, v10
	v_sub_u32_e32 v13, v13, v15
	v_mul_lo_u32 v13, v13, s19
	v_add3_u32 v6, v11, v6, v13
	s_cbranch_scc1 .LBB101_104
; %bb.105:
	s_and_b32 s6, s25, 3
	s_cmp_eq_u32 s6, 0
	s_cbranch_scc0 .LBB101_109
	s_branch .LBB101_111
.LBB101_106:
                                        ; implicit-def: $vgpr6
	s_branch .LBB101_112
.LBB101_107:
	v_mov_b32_e32 v6, 0
	s_branch .LBB101_111
.LBB101_108:
	v_mov_b32_e32 v6, 0
	v_mov_b32_e32 v7, v8
	s_and_b32 s6, s25, 3
	s_cmp_eq_u32 s6, 0
	s_cbranch_scc1 .LBB101_111
.LBB101_109:
	s_lshl_b32 s2, s24, 2
	s_add_u32 s2, s20, s2
	s_addc_u32 s3, s21, 0
	s_add_u32 s2, s2, 0xc4
	s_addc_u32 s3, s3, 0
	s_mul_i32 s4, s24, 12
	s_add_u32 s4, s20, s4
	s_addc_u32 s5, s21, 0
.LBB101_110:                            ; =>This Inner Loop Header: Depth=1
	s_waitcnt lgkmcnt(0)
	s_load_dwordx2 s[8:9], s[4:5], 0x4
	s_load_dword s7, s[4:5], 0xc
	s_add_u32 s4, s4, 12
	s_addc_u32 s5, s5, 0
	s_waitcnt lgkmcnt(0)
	v_mul_hi_u32 v10, s9, v7
	s_load_dword s9, s[2:3], 0x0
	s_add_u32 s2, s2, 4
	s_addc_u32 s3, s3, 0
	v_add_u32_e32 v10, v7, v10
	v_lshrrev_b32_e32 v10, s7, v10
	v_mul_lo_u32 v11, v10, s8
	s_add_i32 s6, s6, -1
	s_cmp_lg_u32 s6, 0
	v_sub_u32_e32 v7, v7, v11
	s_waitcnt lgkmcnt(0)
	v_mad_u64_u32 v[6:7], s[8:9], v7, s9, v[6:7]
	v_mov_b32_e32 v7, v10
	s_cbranch_scc1 .LBB101_110
.LBB101_111:
	s_cbranch_execnz .LBB101_114
.LBB101_112:
	s_load_dwordx4 s[4:7], s[20:21], 0x4
	s_load_dword s2, s[20:21], 0xc4
	s_cmp_lt_u32 s33, 2
	s_waitcnt lgkmcnt(0)
	v_mul_hi_u32 v6, s5, v8
	v_add_u32_e32 v6, v8, v6
	v_lshrrev_b32_e32 v7, s6, v6
	v_mul_lo_u32 v6, v7, s4
	v_sub_u32_e32 v6, v8, v6
	v_mul_lo_u32 v6, v6, s2
	s_cbranch_scc1 .LBB101_114
; %bb.113:
	s_load_dwordx4 s[4:7], s[20:21], 0x10
	s_load_dword s2, s[20:21], 0xc8
	s_waitcnt lgkmcnt(0)
	v_mul_hi_u32 v8, s5, v7
	v_add_u32_e32 v8, v7, v8
	v_lshrrev_b32_e32 v8, s6, v8
	v_mul_lo_u32 v8, v8, s4
	v_sub_u32_e32 v7, v7, v8
	v_mad_u64_u32 v[6:7], s[2:3], v7, s2, v[6:7]
.LBB101_114:
	s_and_b64 vcc, exec, s[0:1]
	s_cbranch_vccnz .LBB101_120
; %bb.115:
	s_cmp_lg_u32 s33, 0
	s_mov_b32 s22, 0
	s_cbranch_scc0 .LBB101_121
; %bb.116:
	s_min_u32 s23, s46, 15
	s_add_i32 s23, s23, 1
	s_cmp_eq_u32 s46, 2
	s_cbranch_scc1 .LBB101_122
; %bb.117:
	s_and_b32 s22, s23, 28
	s_add_u32 s16, s20, 0xc4
	s_addc_u32 s17, s21, 0
	s_mov_b32 s24, 0
	v_mov_b32_e32 v7, 0
	s_mov_b64 s[18:19], s[20:21]
	v_mov_b32_e32 v8, v9
.LBB101_118:                            ; =>This Inner Loop Header: Depth=1
	s_load_dwordx8 s[0:7], s[18:19], 0x4
	s_waitcnt lgkmcnt(0)
	s_load_dwordx4 s[8:11], s[18:19], 0x24
	s_load_dwordx4 s[12:15], s[16:17], 0x0
	s_add_u32 s18, s18, 48
	s_addc_u32 s19, s19, 0
	v_mul_hi_u32 v10, s1, v8
	s_add_i32 s24, s24, 4
	s_add_u32 s16, s16, 16
	s_addc_u32 s17, s17, 0
	v_add_u32_e32 v10, v8, v10
	v_lshrrev_b32_e32 v10, s2, v10
	v_mul_lo_u32 v11, v10, s0
	v_mul_hi_u32 v12, s4, v10
	s_cmp_lg_u32 s22, s24
	v_sub_u32_e32 v8, v8, v11
	v_add_u32_e32 v11, v10, v12
	v_lshrrev_b32_e32 v11, s5, v11
	s_waitcnt lgkmcnt(0)
	v_mul_lo_u32 v12, v8, s12
	v_mul_hi_u32 v8, s7, v11
	v_mul_lo_u32 v14, v11, s3
	v_add_u32_e32 v8, v11, v8
	v_lshrrev_b32_e32 v13, s8, v8
	v_mul_hi_u32 v8, s10, v13
	v_sub_u32_e32 v10, v10, v14
	v_mul_lo_u32 v14, v13, s6
	v_mul_lo_u32 v10, v10, s13
	v_add_u32_e32 v8, v13, v8
	v_lshrrev_b32_e32 v8, s11, v8
	v_mul_lo_u32 v15, v8, s9
	v_sub_u32_e32 v11, v11, v14
	v_mul_lo_u32 v11, v11, s14
	v_add3_u32 v7, v12, v7, v10
	v_sub_u32_e32 v13, v13, v15
	v_mul_lo_u32 v13, v13, s15
	v_add3_u32 v7, v11, v7, v13
	s_cbranch_scc1 .LBB101_118
; %bb.119:
	s_and_b32 s4, s23, 3
	s_cmp_eq_u32 s4, 0
	s_cbranch_scc0 .LBB101_123
	s_branch .LBB101_125
.LBB101_120:
                                        ; implicit-def: $vgpr7
	s_branch .LBB101_126
.LBB101_121:
	v_mov_b32_e32 v7, 0
	s_branch .LBB101_125
.LBB101_122:
	v_mov_b32_e32 v7, 0
	v_mov_b32_e32 v8, v9
	s_and_b32 s4, s23, 3
	s_cmp_eq_u32 s4, 0
	s_cbranch_scc1 .LBB101_125
.LBB101_123:
	s_lshl_b32 s0, s22, 2
	s_add_u32 s0, s20, s0
	s_addc_u32 s1, s21, 0
	s_add_u32 s0, s0, 0xc4
	s_addc_u32 s1, s1, 0
	s_mul_i32 s2, s22, 12
	s_add_u32 s2, s20, s2
	s_addc_u32 s3, s21, 0
.LBB101_124:                            ; =>This Inner Loop Header: Depth=1
	s_load_dwordx2 s[6:7], s[2:3], 0x4
	s_load_dword s5, s[2:3], 0xc
	s_add_u32 s2, s2, 12
	s_addc_u32 s3, s3, 0
	s_waitcnt lgkmcnt(0)
	v_mul_hi_u32 v10, s7, v8
	s_load_dword s7, s[0:1], 0x0
	s_add_u32 s0, s0, 4
	s_addc_u32 s1, s1, 0
	v_add_u32_e32 v10, v8, v10
	v_lshrrev_b32_e32 v10, s5, v10
	v_mul_lo_u32 v11, v10, s6
	s_add_i32 s4, s4, -1
	s_cmp_lg_u32 s4, 0
	v_sub_u32_e32 v8, v8, v11
	s_waitcnt lgkmcnt(0)
	v_mad_u64_u32 v[7:8], s[6:7], v8, s7, v[7:8]
	v_mov_b32_e32 v8, v10
	s_cbranch_scc1 .LBB101_124
.LBB101_125:
	s_cbranch_execnz .LBB101_128
.LBB101_126:
	s_load_dwordx4 s[0:3], s[20:21], 0x4
	s_waitcnt lgkmcnt(0)
	s_load_dword s3, s[20:21], 0xc4
	s_cmp_lt_u32 s33, 2
	v_mul_hi_u32 v7, s1, v9
	v_add_u32_e32 v7, v9, v7
	v_lshrrev_b32_e32 v8, s2, v7
	v_mul_lo_u32 v7, v8, s0
	v_sub_u32_e32 v7, v9, v7
	s_waitcnt lgkmcnt(0)
	v_mul_lo_u32 v7, v7, s3
	s_cbranch_scc1 .LBB101_128
; %bb.127:
	s_load_dwordx4 s[0:3], s[20:21], 0x10
	s_waitcnt lgkmcnt(0)
	s_load_dword s3, s[20:21], 0xc8
	v_mul_hi_u32 v9, s1, v8
	v_add_u32_e32 v9, v8, v9
	v_lshrrev_b32_e32 v9, s2, v9
	v_mul_lo_u32 v9, v9, s0
	v_sub_u32_e32 v8, v8, v9
	s_waitcnt lgkmcnt(0)
	v_mad_u64_u32 v[7:8], s[0:1], v8, s3, v[7:8]
.LBB101_128:
	s_load_dword s2, s[20:21], 0x110
	s_load_dwordx2 s[0:1], s[20:21], 0x108
	s_waitcnt lgkmcnt(0)
	v_mov_b32_e32 v8, s2
	s_nop 0
	global_store_short v0, v8, s[0:1]
	global_store_short v1, v8, s[0:1]
	;; [unrolled: 1-line block ×8, first 2 shown]
	s_endpgm
.LBB101_129:
	v_mov_b32_e32 v0, 0
	s_branch .LBB101_135
.LBB101_130:
	v_mov_b32_e32 v0, 0
	s_branch .LBB101_151
.LBB101_131:
	v_mov_b32_e32 v0, 0
	s_mov_b32 s50, 0
	v_mov_b32_e32 v1, v7
.LBB101_132:
	s_and_b32 s4, s51, 3
	s_cmp_eq_u32 s4, 0
	s_cbranch_scc1 .LBB101_135
; %bb.133:
	s_lshl_b32 s0, s50, 2
	s_add_u32 s0, s20, s0
	s_addc_u32 s1, s21, 0
	s_add_u32 s0, s0, 0xc4
	s_addc_u32 s1, s1, 0
	s_mul_i32 s2, s50, 12
	s_add_u32 s2, s20, s2
	s_addc_u32 s3, s21, 0
.LBB101_134:                            ; =>This Inner Loop Header: Depth=1
	s_load_dwordx2 s[6:7], s[2:3], 0x4
	s_load_dword s5, s[2:3], 0xc
	s_add_u32 s2, s2, 12
	s_addc_u32 s3, s3, 0
	s_waitcnt lgkmcnt(0)
	v_mul_hi_u32 v2, s7, v1
	s_load_dword s7, s[0:1], 0x0
	s_add_u32 s0, s0, 4
	s_addc_u32 s1, s1, 0
	v_add_u32_e32 v2, v1, v2
	v_lshrrev_b32_e32 v2, s5, v2
	v_mul_lo_u32 v3, v2, s6
	s_add_i32 s4, s4, -1
	s_cmp_lg_u32 s4, 0
	v_sub_u32_e32 v1, v1, v3
	s_waitcnt lgkmcnt(0)
	v_mad_u64_u32 v[0:1], s[6:7], v1, s7, v[0:1]
	v_mov_b32_e32 v1, v2
	s_cbranch_scc1 .LBB101_134
.LBB101_135:
	s_cbranch_execnz .LBB101_138
.LBB101_136:
	s_waitcnt lgkmcnt(0)
	v_mul_hi_u32 v0, s9, v7
	s_andn2_b64 vcc, exec, s[34:35]
	v_add_u32_e32 v0, v7, v0
	v_lshrrev_b32_e32 v1, s10, v0
	v_mul_lo_u32 v0, v1, s8
	v_sub_u32_e32 v0, v7, v0
	v_mul_lo_u32 v0, v0, s28
	s_cbranch_vccnz .LBB101_138
; %bb.137:
	v_mul_hi_u32 v2, s30, v1
	v_add_u32_e32 v2, v1, v2
	v_lshrrev_b32_e32 v2, s31, v2
	v_mul_lo_u32 v2, v2, s11
	v_sub_u32_e32 v1, v1, v2
	v_mad_u64_u32 v[0:1], s[0:1], v1, s29, v[0:1]
.LBB101_138:
	s_waitcnt lgkmcnt(0)
	v_mov_b32_e32 v1, s47
	v_add_u32_e32 v7, 0x80, v7
	global_store_short v0, v1, s[26:27]
	s_or_b64 exec, exec, s[40:41]
	v_cmp_gt_i32_e32 vcc, s48, v7
	s_and_saveexec_b64 s[40:41], vcc
	s_cbranch_execnz .LBB101_15
.LBB101_139:
	s_or_b64 exec, exec, s[40:41]
	v_cmp_gt_i32_e32 vcc, s48, v7
	s_and_saveexec_b64 s[40:41], vcc
	s_cbranch_execz .LBB101_155
.LBB101_140:
	s_andn2_b64 vcc, exec, s[22:23]
	s_cbranch_vccnz .LBB101_145
; %bb.141:
	s_andn2_b64 vcc, exec, s[38:39]
	s_cbranch_vccnz .LBB101_146
; %bb.142:
	s_add_i32 s51, s49, 1
	s_cmp_eq_u32 s46, 2
	s_cbranch_scc1 .LBB101_163
; %bb.143:
	s_and_b32 s50, s51, 28
	s_mov_b32 s52, 0
	v_mov_b32_e32 v0, 0
	s_mov_b64 s[42:43], s[20:21]
	s_mov_b64 s[44:45], s[36:37]
	v_mov_b32_e32 v1, v7
.LBB101_144:                            ; =>This Inner Loop Header: Depth=1
	s_load_dwordx8 s[0:7], s[42:43], 0x4
	s_load_dwordx4 s[12:15], s[42:43], 0x24
	s_load_dwordx4 s[16:19], s[44:45], 0x0
	s_add_u32 s42, s42, 48
	s_addc_u32 s43, s43, 0
	s_waitcnt lgkmcnt(0)
	v_mul_hi_u32 v2, s1, v1
	s_add_i32 s52, s52, 4
	s_add_u32 s44, s44, 16
	s_addc_u32 s45, s45, 0
	v_add_u32_e32 v2, v1, v2
	v_lshrrev_b32_e32 v2, s2, v2
	v_mul_lo_u32 v3, v2, s0
	v_mul_hi_u32 v4, s4, v2
	s_cmp_eq_u32 s50, s52
	v_sub_u32_e32 v1, v1, v3
	v_add_u32_e32 v3, v2, v4
	v_lshrrev_b32_e32 v3, s5, v3
	v_mul_lo_u32 v4, v1, s16
	v_mul_hi_u32 v1, s7, v3
	v_mul_lo_u32 v6, v3, s3
	v_add_u32_e32 v1, v3, v1
	v_lshrrev_b32_e32 v5, s12, v1
	v_mul_hi_u32 v1, s14, v5
	v_sub_u32_e32 v2, v2, v6
	v_mul_lo_u32 v6, v5, s6
	v_mul_lo_u32 v2, v2, s17
	v_add_u32_e32 v1, v5, v1
	v_lshrrev_b32_e32 v1, s15, v1
	v_mul_lo_u32 v8, v1, s13
	v_sub_u32_e32 v3, v3, v6
	v_mul_lo_u32 v3, v3, s18
	v_add3_u32 v0, v4, v0, v2
	v_sub_u32_e32 v5, v5, v8
	v_mul_lo_u32 v5, v5, s19
	v_add3_u32 v0, v3, v0, v5
	s_cbranch_scc0 .LBB101_144
	s_branch .LBB101_164
.LBB101_145:
                                        ; implicit-def: $vgpr0
	s_branch .LBB101_168
.LBB101_146:
	v_mov_b32_e32 v0, 0
	s_branch .LBB101_167
.LBB101_147:
	v_mov_b32_e32 v0, 0
	s_mov_b32 s50, 0
	v_mov_b32_e32 v1, v7
.LBB101_148:
	s_and_b32 s4, s51, 3
	s_cmp_eq_u32 s4, 0
	s_cbranch_scc1 .LBB101_151
; %bb.149:
	s_lshl_b32 s0, s50, 2
	s_add_u32 s0, s20, s0
	s_addc_u32 s1, s21, 0
	s_add_u32 s0, s0, 0xc4
	s_addc_u32 s1, s1, 0
	s_mul_i32 s2, s50, 12
	s_add_u32 s2, s20, s2
	s_addc_u32 s3, s21, 0
.LBB101_150:                            ; =>This Inner Loop Header: Depth=1
	s_load_dwordx2 s[6:7], s[2:3], 0x4
	s_load_dword s5, s[2:3], 0xc
	s_add_u32 s2, s2, 12
	s_addc_u32 s3, s3, 0
	s_waitcnt lgkmcnt(0)
	v_mul_hi_u32 v2, s7, v1
	s_load_dword s7, s[0:1], 0x0
	s_add_u32 s0, s0, 4
	s_addc_u32 s1, s1, 0
	v_add_u32_e32 v2, v1, v2
	v_lshrrev_b32_e32 v2, s5, v2
	v_mul_lo_u32 v3, v2, s6
	s_add_i32 s4, s4, -1
	s_cmp_lg_u32 s4, 0
	v_sub_u32_e32 v1, v1, v3
	s_waitcnt lgkmcnt(0)
	v_mad_u64_u32 v[0:1], s[6:7], v1, s7, v[0:1]
	v_mov_b32_e32 v1, v2
	s_cbranch_scc1 .LBB101_150
.LBB101_151:
	s_cbranch_execnz .LBB101_154
.LBB101_152:
	s_waitcnt lgkmcnt(0)
	v_mul_hi_u32 v0, s9, v7
	s_andn2_b64 vcc, exec, s[34:35]
	v_add_u32_e32 v0, v7, v0
	v_lshrrev_b32_e32 v1, s10, v0
	v_mul_lo_u32 v0, v1, s8
	v_sub_u32_e32 v0, v7, v0
	v_mul_lo_u32 v0, v0, s28
	s_cbranch_vccnz .LBB101_154
; %bb.153:
	v_mul_hi_u32 v2, s30, v1
	v_add_u32_e32 v2, v1, v2
	v_lshrrev_b32_e32 v2, s31, v2
	v_mul_lo_u32 v2, v2, s11
	v_sub_u32_e32 v1, v1, v2
	v_mad_u64_u32 v[0:1], s[0:1], v1, s29, v[0:1]
.LBB101_154:
	s_waitcnt lgkmcnt(0)
	v_mov_b32_e32 v1, s47
	v_add_u32_e32 v7, 0x80, v7
	global_store_short v0, v1, s[26:27]
	s_or_b64 exec, exec, s[40:41]
	v_cmp_gt_i32_e32 vcc, s48, v7
	s_and_saveexec_b64 s[40:41], vcc
	s_cbranch_execnz .LBB101_140
.LBB101_155:
	s_or_b64 exec, exec, s[40:41]
	v_cmp_gt_i32_e32 vcc, s48, v7
	s_and_saveexec_b64 s[40:41], vcc
	s_cbranch_execz .LBB101_171
.LBB101_156:
	s_andn2_b64 vcc, exec, s[22:23]
	s_cbranch_vccnz .LBB101_161
; %bb.157:
	s_andn2_b64 vcc, exec, s[38:39]
	s_cbranch_vccnz .LBB101_162
; %bb.158:
	s_add_i32 s51, s49, 1
	s_cmp_eq_u32 s46, 2
	s_cbranch_scc1 .LBB101_179
; %bb.159:
	s_and_b32 s50, s51, 28
	s_mov_b32 s52, 0
	v_mov_b32_e32 v0, 0
	s_mov_b64 s[42:43], s[20:21]
	s_mov_b64 s[44:45], s[36:37]
	v_mov_b32_e32 v1, v7
.LBB101_160:                            ; =>This Inner Loop Header: Depth=1
	s_load_dwordx8 s[0:7], s[42:43], 0x4
	s_load_dwordx4 s[12:15], s[42:43], 0x24
	s_load_dwordx4 s[16:19], s[44:45], 0x0
	s_add_u32 s42, s42, 48
	s_addc_u32 s43, s43, 0
	s_waitcnt lgkmcnt(0)
	v_mul_hi_u32 v2, s1, v1
	s_add_i32 s52, s52, 4
	s_add_u32 s44, s44, 16
	s_addc_u32 s45, s45, 0
	v_add_u32_e32 v2, v1, v2
	v_lshrrev_b32_e32 v2, s2, v2
	v_mul_lo_u32 v3, v2, s0
	v_mul_hi_u32 v4, s4, v2
	s_cmp_eq_u32 s50, s52
	v_sub_u32_e32 v1, v1, v3
	v_add_u32_e32 v3, v2, v4
	v_lshrrev_b32_e32 v3, s5, v3
	v_mul_lo_u32 v4, v1, s16
	v_mul_hi_u32 v1, s7, v3
	v_mul_lo_u32 v6, v3, s3
	v_add_u32_e32 v1, v3, v1
	v_lshrrev_b32_e32 v5, s12, v1
	v_mul_hi_u32 v1, s14, v5
	v_sub_u32_e32 v2, v2, v6
	v_mul_lo_u32 v6, v5, s6
	v_mul_lo_u32 v2, v2, s17
	v_add_u32_e32 v1, v5, v1
	v_lshrrev_b32_e32 v1, s15, v1
	v_mul_lo_u32 v8, v1, s13
	v_sub_u32_e32 v3, v3, v6
	v_mul_lo_u32 v3, v3, s18
	v_add3_u32 v0, v4, v0, v2
	v_sub_u32_e32 v5, v5, v8
	v_mul_lo_u32 v5, v5, s19
	v_add3_u32 v0, v3, v0, v5
	s_cbranch_scc0 .LBB101_160
	s_branch .LBB101_180
.LBB101_161:
                                        ; implicit-def: $vgpr0
	s_branch .LBB101_184
.LBB101_162:
	v_mov_b32_e32 v0, 0
	s_branch .LBB101_183
.LBB101_163:
	v_mov_b32_e32 v0, 0
	s_mov_b32 s50, 0
	v_mov_b32_e32 v1, v7
.LBB101_164:
	s_and_b32 s4, s51, 3
	s_cmp_eq_u32 s4, 0
	s_cbranch_scc1 .LBB101_167
; %bb.165:
	s_lshl_b32 s0, s50, 2
	s_add_u32 s0, s20, s0
	s_addc_u32 s1, s21, 0
	s_add_u32 s0, s0, 0xc4
	s_addc_u32 s1, s1, 0
	s_mul_i32 s2, s50, 12
	s_add_u32 s2, s20, s2
	s_addc_u32 s3, s21, 0
.LBB101_166:                            ; =>This Inner Loop Header: Depth=1
	s_load_dwordx2 s[6:7], s[2:3], 0x4
	s_load_dword s5, s[2:3], 0xc
	s_add_u32 s2, s2, 12
	s_addc_u32 s3, s3, 0
	s_waitcnt lgkmcnt(0)
	v_mul_hi_u32 v2, s7, v1
	s_load_dword s7, s[0:1], 0x0
	s_add_u32 s0, s0, 4
	s_addc_u32 s1, s1, 0
	v_add_u32_e32 v2, v1, v2
	v_lshrrev_b32_e32 v2, s5, v2
	v_mul_lo_u32 v3, v2, s6
	s_add_i32 s4, s4, -1
	s_cmp_lg_u32 s4, 0
	v_sub_u32_e32 v1, v1, v3
	s_waitcnt lgkmcnt(0)
	v_mad_u64_u32 v[0:1], s[6:7], v1, s7, v[0:1]
	v_mov_b32_e32 v1, v2
	s_cbranch_scc1 .LBB101_166
.LBB101_167:
	s_cbranch_execnz .LBB101_170
.LBB101_168:
	s_waitcnt lgkmcnt(0)
	v_mul_hi_u32 v0, s9, v7
	s_andn2_b64 vcc, exec, s[34:35]
	v_add_u32_e32 v0, v7, v0
	v_lshrrev_b32_e32 v1, s10, v0
	v_mul_lo_u32 v0, v1, s8
	v_sub_u32_e32 v0, v7, v0
	v_mul_lo_u32 v0, v0, s28
	s_cbranch_vccnz .LBB101_170
; %bb.169:
	v_mul_hi_u32 v2, s30, v1
	v_add_u32_e32 v2, v1, v2
	v_lshrrev_b32_e32 v2, s31, v2
	v_mul_lo_u32 v2, v2, s11
	v_sub_u32_e32 v1, v1, v2
	v_mad_u64_u32 v[0:1], s[0:1], v1, s29, v[0:1]
.LBB101_170:
	s_waitcnt lgkmcnt(0)
	v_mov_b32_e32 v1, s47
	v_add_u32_e32 v7, 0x80, v7
	global_store_short v0, v1, s[26:27]
	s_or_b64 exec, exec, s[40:41]
	v_cmp_gt_i32_e32 vcc, s48, v7
	s_and_saveexec_b64 s[40:41], vcc
	s_cbranch_execnz .LBB101_156
.LBB101_171:
	s_or_b64 exec, exec, s[40:41]
	v_cmp_gt_i32_e32 vcc, s48, v7
	s_and_saveexec_b64 s[40:41], vcc
	s_cbranch_execz .LBB101_187
.LBB101_172:
	s_andn2_b64 vcc, exec, s[22:23]
	s_cbranch_vccnz .LBB101_177
; %bb.173:
	s_andn2_b64 vcc, exec, s[38:39]
	s_cbranch_vccnz .LBB101_178
; %bb.174:
	s_add_i32 s51, s49, 1
	s_cmp_eq_u32 s46, 2
	s_cbranch_scc1 .LBB101_195
; %bb.175:
	s_and_b32 s50, s51, 28
	s_mov_b32 s52, 0
	v_mov_b32_e32 v0, 0
	s_mov_b64 s[42:43], s[20:21]
	s_mov_b64 s[44:45], s[36:37]
	v_mov_b32_e32 v1, v7
.LBB101_176:                            ; =>This Inner Loop Header: Depth=1
	s_load_dwordx8 s[0:7], s[42:43], 0x4
	s_load_dwordx4 s[12:15], s[42:43], 0x24
	s_load_dwordx4 s[16:19], s[44:45], 0x0
	s_add_u32 s42, s42, 48
	s_addc_u32 s43, s43, 0
	s_waitcnt lgkmcnt(0)
	v_mul_hi_u32 v2, s1, v1
	s_add_i32 s52, s52, 4
	s_add_u32 s44, s44, 16
	s_addc_u32 s45, s45, 0
	v_add_u32_e32 v2, v1, v2
	v_lshrrev_b32_e32 v2, s2, v2
	v_mul_lo_u32 v3, v2, s0
	v_mul_hi_u32 v4, s4, v2
	s_cmp_eq_u32 s50, s52
	v_sub_u32_e32 v1, v1, v3
	v_add_u32_e32 v3, v2, v4
	v_lshrrev_b32_e32 v3, s5, v3
	v_mul_lo_u32 v4, v1, s16
	v_mul_hi_u32 v1, s7, v3
	v_mul_lo_u32 v6, v3, s3
	v_add_u32_e32 v1, v3, v1
	v_lshrrev_b32_e32 v5, s12, v1
	v_mul_hi_u32 v1, s14, v5
	v_sub_u32_e32 v2, v2, v6
	v_mul_lo_u32 v6, v5, s6
	v_mul_lo_u32 v2, v2, s17
	v_add_u32_e32 v1, v5, v1
	v_lshrrev_b32_e32 v1, s15, v1
	v_mul_lo_u32 v8, v1, s13
	v_sub_u32_e32 v3, v3, v6
	v_mul_lo_u32 v3, v3, s18
	v_add3_u32 v0, v4, v0, v2
	v_sub_u32_e32 v5, v5, v8
	v_mul_lo_u32 v5, v5, s19
	v_add3_u32 v0, v3, v0, v5
	s_cbranch_scc0 .LBB101_176
	s_branch .LBB101_196
.LBB101_177:
                                        ; implicit-def: $vgpr0
	s_branch .LBB101_200
.LBB101_178:
	v_mov_b32_e32 v0, 0
	s_branch .LBB101_199
.LBB101_179:
	v_mov_b32_e32 v0, 0
	s_mov_b32 s50, 0
	v_mov_b32_e32 v1, v7
.LBB101_180:
	s_and_b32 s4, s51, 3
	s_cmp_eq_u32 s4, 0
	s_cbranch_scc1 .LBB101_183
; %bb.181:
	s_lshl_b32 s0, s50, 2
	s_add_u32 s0, s20, s0
	s_addc_u32 s1, s21, 0
	s_add_u32 s0, s0, 0xc4
	s_addc_u32 s1, s1, 0
	s_mul_i32 s2, s50, 12
	s_add_u32 s2, s20, s2
	s_addc_u32 s3, s21, 0
.LBB101_182:                            ; =>This Inner Loop Header: Depth=1
	s_load_dwordx2 s[6:7], s[2:3], 0x4
	s_load_dword s5, s[2:3], 0xc
	s_add_u32 s2, s2, 12
	s_addc_u32 s3, s3, 0
	s_waitcnt lgkmcnt(0)
	v_mul_hi_u32 v2, s7, v1
	s_load_dword s7, s[0:1], 0x0
	s_add_u32 s0, s0, 4
	s_addc_u32 s1, s1, 0
	v_add_u32_e32 v2, v1, v2
	v_lshrrev_b32_e32 v2, s5, v2
	v_mul_lo_u32 v3, v2, s6
	s_add_i32 s4, s4, -1
	s_cmp_lg_u32 s4, 0
	v_sub_u32_e32 v1, v1, v3
	s_waitcnt lgkmcnt(0)
	v_mad_u64_u32 v[0:1], s[6:7], v1, s7, v[0:1]
	v_mov_b32_e32 v1, v2
	s_cbranch_scc1 .LBB101_182
.LBB101_183:
	s_cbranch_execnz .LBB101_186
.LBB101_184:
	s_waitcnt lgkmcnt(0)
	v_mul_hi_u32 v0, s9, v7
	s_andn2_b64 vcc, exec, s[34:35]
	v_add_u32_e32 v0, v7, v0
	v_lshrrev_b32_e32 v1, s10, v0
	v_mul_lo_u32 v0, v1, s8
	v_sub_u32_e32 v0, v7, v0
	v_mul_lo_u32 v0, v0, s28
	s_cbranch_vccnz .LBB101_186
; %bb.185:
	v_mul_hi_u32 v2, s30, v1
	v_add_u32_e32 v2, v1, v2
	v_lshrrev_b32_e32 v2, s31, v2
	v_mul_lo_u32 v2, v2, s11
	v_sub_u32_e32 v1, v1, v2
	v_mad_u64_u32 v[0:1], s[0:1], v1, s29, v[0:1]
.LBB101_186:
	s_waitcnt lgkmcnt(0)
	v_mov_b32_e32 v1, s47
	v_add_u32_e32 v7, 0x80, v7
	global_store_short v0, v1, s[26:27]
	s_or_b64 exec, exec, s[40:41]
	v_cmp_gt_i32_e32 vcc, s48, v7
	s_and_saveexec_b64 s[40:41], vcc
	s_cbranch_execnz .LBB101_172
.LBB101_187:
	s_or_b64 exec, exec, s[40:41]
	v_cmp_gt_i32_e32 vcc, s48, v7
	s_and_saveexec_b64 s[40:41], vcc
	s_cbranch_execz .LBB101_203
.LBB101_188:
	s_andn2_b64 vcc, exec, s[22:23]
	s_cbranch_vccnz .LBB101_193
; %bb.189:
	s_andn2_b64 vcc, exec, s[38:39]
	s_cbranch_vccnz .LBB101_194
; %bb.190:
	s_add_i32 s51, s49, 1
	s_cmp_eq_u32 s46, 2
	s_cbranch_scc1 .LBB101_211
; %bb.191:
	s_and_b32 s50, s51, 28
	s_mov_b32 s52, 0
	v_mov_b32_e32 v0, 0
	s_mov_b64 s[42:43], s[20:21]
	s_mov_b64 s[44:45], s[36:37]
	v_mov_b32_e32 v1, v7
.LBB101_192:                            ; =>This Inner Loop Header: Depth=1
	s_load_dwordx8 s[0:7], s[42:43], 0x4
	s_load_dwordx4 s[12:15], s[42:43], 0x24
	s_load_dwordx4 s[16:19], s[44:45], 0x0
	s_add_u32 s42, s42, 48
	s_addc_u32 s43, s43, 0
	s_waitcnt lgkmcnt(0)
	v_mul_hi_u32 v2, s1, v1
	s_add_i32 s52, s52, 4
	s_add_u32 s44, s44, 16
	s_addc_u32 s45, s45, 0
	v_add_u32_e32 v2, v1, v2
	v_lshrrev_b32_e32 v2, s2, v2
	v_mul_lo_u32 v3, v2, s0
	v_mul_hi_u32 v4, s4, v2
	s_cmp_eq_u32 s50, s52
	v_sub_u32_e32 v1, v1, v3
	v_add_u32_e32 v3, v2, v4
	v_lshrrev_b32_e32 v3, s5, v3
	v_mul_lo_u32 v4, v1, s16
	v_mul_hi_u32 v1, s7, v3
	v_mul_lo_u32 v6, v3, s3
	v_add_u32_e32 v1, v3, v1
	v_lshrrev_b32_e32 v5, s12, v1
	v_mul_hi_u32 v1, s14, v5
	v_sub_u32_e32 v2, v2, v6
	v_mul_lo_u32 v6, v5, s6
	v_mul_lo_u32 v2, v2, s17
	v_add_u32_e32 v1, v5, v1
	v_lshrrev_b32_e32 v1, s15, v1
	v_mul_lo_u32 v8, v1, s13
	v_sub_u32_e32 v3, v3, v6
	v_mul_lo_u32 v3, v3, s18
	v_add3_u32 v0, v4, v0, v2
	v_sub_u32_e32 v5, v5, v8
	v_mul_lo_u32 v5, v5, s19
	v_add3_u32 v0, v3, v0, v5
	s_cbranch_scc0 .LBB101_192
	s_branch .LBB101_212
.LBB101_193:
                                        ; implicit-def: $vgpr0
	s_branch .LBB101_216
.LBB101_194:
	v_mov_b32_e32 v0, 0
	s_branch .LBB101_215
.LBB101_195:
	v_mov_b32_e32 v0, 0
	s_mov_b32 s50, 0
	v_mov_b32_e32 v1, v7
.LBB101_196:
	s_and_b32 s4, s51, 3
	s_cmp_eq_u32 s4, 0
	s_cbranch_scc1 .LBB101_199
; %bb.197:
	s_lshl_b32 s0, s50, 2
	s_add_u32 s0, s20, s0
	s_addc_u32 s1, s21, 0
	s_add_u32 s0, s0, 0xc4
	s_addc_u32 s1, s1, 0
	s_mul_i32 s2, s50, 12
	s_add_u32 s2, s20, s2
	s_addc_u32 s3, s21, 0
.LBB101_198:                            ; =>This Inner Loop Header: Depth=1
	s_load_dwordx2 s[6:7], s[2:3], 0x4
	s_load_dword s5, s[2:3], 0xc
	s_add_u32 s2, s2, 12
	s_addc_u32 s3, s3, 0
	s_waitcnt lgkmcnt(0)
	v_mul_hi_u32 v2, s7, v1
	s_load_dword s7, s[0:1], 0x0
	s_add_u32 s0, s0, 4
	s_addc_u32 s1, s1, 0
	v_add_u32_e32 v2, v1, v2
	v_lshrrev_b32_e32 v2, s5, v2
	v_mul_lo_u32 v3, v2, s6
	s_add_i32 s4, s4, -1
	s_cmp_lg_u32 s4, 0
	v_sub_u32_e32 v1, v1, v3
	s_waitcnt lgkmcnt(0)
	v_mad_u64_u32 v[0:1], s[6:7], v1, s7, v[0:1]
	v_mov_b32_e32 v1, v2
	s_cbranch_scc1 .LBB101_198
.LBB101_199:
	s_cbranch_execnz .LBB101_202
.LBB101_200:
	s_waitcnt lgkmcnt(0)
	v_mul_hi_u32 v0, s9, v7
	s_andn2_b64 vcc, exec, s[34:35]
	v_add_u32_e32 v0, v7, v0
	v_lshrrev_b32_e32 v1, s10, v0
	v_mul_lo_u32 v0, v1, s8
	v_sub_u32_e32 v0, v7, v0
	v_mul_lo_u32 v0, v0, s28
	s_cbranch_vccnz .LBB101_202
; %bb.201:
	v_mul_hi_u32 v2, s30, v1
	v_add_u32_e32 v2, v1, v2
	v_lshrrev_b32_e32 v2, s31, v2
	v_mul_lo_u32 v2, v2, s11
	v_sub_u32_e32 v1, v1, v2
	v_mad_u64_u32 v[0:1], s[0:1], v1, s29, v[0:1]
.LBB101_202:
	s_waitcnt lgkmcnt(0)
	v_mov_b32_e32 v1, s47
	v_add_u32_e32 v7, 0x80, v7
	global_store_short v0, v1, s[26:27]
	s_or_b64 exec, exec, s[40:41]
	v_cmp_gt_i32_e32 vcc, s48, v7
	s_and_saveexec_b64 s[40:41], vcc
	s_cbranch_execnz .LBB101_188
.LBB101_203:
	s_or_b64 exec, exec, s[40:41]
	v_cmp_gt_i32_e32 vcc, s48, v7
	s_and_saveexec_b64 s[40:41], vcc
	s_cbranch_execz .LBB101_219
.LBB101_204:
	s_andn2_b64 vcc, exec, s[22:23]
	s_cbranch_vccnz .LBB101_209
; %bb.205:
	s_andn2_b64 vcc, exec, s[38:39]
	s_cbranch_vccnz .LBB101_210
; %bb.206:
	s_add_i32 s51, s49, 1
	s_cmp_eq_u32 s46, 2
	s_cbranch_scc1 .LBB101_222
; %bb.207:
	s_and_b32 s50, s51, 28
	s_mov_b32 s52, 0
	v_mov_b32_e32 v0, 0
	s_mov_b64 s[42:43], s[20:21]
	s_mov_b64 s[44:45], s[36:37]
	v_mov_b32_e32 v1, v7
.LBB101_208:                            ; =>This Inner Loop Header: Depth=1
	s_load_dwordx8 s[0:7], s[42:43], 0x4
	s_load_dwordx4 s[12:15], s[42:43], 0x24
	s_load_dwordx4 s[16:19], s[44:45], 0x0
	s_add_u32 s42, s42, 48
	s_addc_u32 s43, s43, 0
	s_waitcnt lgkmcnt(0)
	v_mul_hi_u32 v2, s1, v1
	s_add_i32 s52, s52, 4
	s_add_u32 s44, s44, 16
	s_addc_u32 s45, s45, 0
	v_add_u32_e32 v2, v1, v2
	v_lshrrev_b32_e32 v2, s2, v2
	v_mul_lo_u32 v3, v2, s0
	v_mul_hi_u32 v4, s4, v2
	s_cmp_eq_u32 s50, s52
	v_sub_u32_e32 v1, v1, v3
	v_add_u32_e32 v3, v2, v4
	v_lshrrev_b32_e32 v3, s5, v3
	v_mul_lo_u32 v4, v1, s16
	v_mul_hi_u32 v1, s7, v3
	v_mul_lo_u32 v6, v3, s3
	v_add_u32_e32 v1, v3, v1
	v_lshrrev_b32_e32 v5, s12, v1
	v_mul_hi_u32 v1, s14, v5
	v_sub_u32_e32 v2, v2, v6
	v_mul_lo_u32 v6, v5, s6
	v_mul_lo_u32 v2, v2, s17
	v_add_u32_e32 v1, v5, v1
	v_lshrrev_b32_e32 v1, s15, v1
	v_mul_lo_u32 v8, v1, s13
	v_sub_u32_e32 v3, v3, v6
	v_mul_lo_u32 v3, v3, s18
	v_add3_u32 v0, v4, v0, v2
	v_sub_u32_e32 v5, v5, v8
	v_mul_lo_u32 v5, v5, s19
	v_add3_u32 v0, v3, v0, v5
	s_cbranch_scc0 .LBB101_208
	s_branch .LBB101_223
.LBB101_209:
                                        ; implicit-def: $vgpr0
	s_branch .LBB101_227
.LBB101_210:
	v_mov_b32_e32 v0, 0
	s_branch .LBB101_226
.LBB101_211:
	v_mov_b32_e32 v0, 0
	s_mov_b32 s50, 0
	v_mov_b32_e32 v1, v7
.LBB101_212:
	s_and_b32 s4, s51, 3
	s_cmp_eq_u32 s4, 0
	s_cbranch_scc1 .LBB101_215
; %bb.213:
	s_lshl_b32 s0, s50, 2
	s_add_u32 s0, s20, s0
	s_addc_u32 s1, s21, 0
	s_add_u32 s0, s0, 0xc4
	s_addc_u32 s1, s1, 0
	s_mul_i32 s2, s50, 12
	s_add_u32 s2, s20, s2
	s_addc_u32 s3, s21, 0
.LBB101_214:                            ; =>This Inner Loop Header: Depth=1
	s_load_dwordx2 s[6:7], s[2:3], 0x4
	s_load_dword s5, s[2:3], 0xc
	s_add_u32 s2, s2, 12
	s_addc_u32 s3, s3, 0
	s_waitcnt lgkmcnt(0)
	v_mul_hi_u32 v2, s7, v1
	s_load_dword s7, s[0:1], 0x0
	s_add_u32 s0, s0, 4
	s_addc_u32 s1, s1, 0
	v_add_u32_e32 v2, v1, v2
	v_lshrrev_b32_e32 v2, s5, v2
	v_mul_lo_u32 v3, v2, s6
	s_add_i32 s4, s4, -1
	s_cmp_lg_u32 s4, 0
	v_sub_u32_e32 v1, v1, v3
	s_waitcnt lgkmcnt(0)
	v_mad_u64_u32 v[0:1], s[6:7], v1, s7, v[0:1]
	v_mov_b32_e32 v1, v2
	s_cbranch_scc1 .LBB101_214
.LBB101_215:
	s_cbranch_execnz .LBB101_218
.LBB101_216:
	s_waitcnt lgkmcnt(0)
	v_mul_hi_u32 v0, s9, v7
	s_andn2_b64 vcc, exec, s[34:35]
	v_add_u32_e32 v0, v7, v0
	v_lshrrev_b32_e32 v1, s10, v0
	v_mul_lo_u32 v0, v1, s8
	v_sub_u32_e32 v0, v7, v0
	v_mul_lo_u32 v0, v0, s28
	s_cbranch_vccnz .LBB101_218
; %bb.217:
	v_mul_hi_u32 v2, s30, v1
	v_add_u32_e32 v2, v1, v2
	v_lshrrev_b32_e32 v2, s31, v2
	v_mul_lo_u32 v2, v2, s11
	v_sub_u32_e32 v1, v1, v2
	v_mad_u64_u32 v[0:1], s[0:1], v1, s29, v[0:1]
.LBB101_218:
	s_waitcnt lgkmcnt(0)
	v_mov_b32_e32 v1, s47
	v_add_u32_e32 v7, 0x80, v7
	global_store_short v0, v1, s[26:27]
	s_or_b64 exec, exec, s[40:41]
	v_cmp_gt_i32_e32 vcc, s48, v7
	s_and_saveexec_b64 s[40:41], vcc
	s_cbranch_execnz .LBB101_204
.LBB101_219:
	s_or_b64 exec, exec, s[40:41]
	v_cmp_gt_i32_e32 vcc, s48, v7
	s_and_saveexec_b64 s[40:41], vcc
	s_cbranch_execnz .LBB101_230
.LBB101_220:
	s_or_b64 exec, exec, s[40:41]
                                        ; implicit-def: $vgpr9
                                        ; implicit-def: $vgpr7
	s_andn2_saveexec_b64 s[0:1], s[24:25]
	s_cbranch_execnz .LBB101_8
.LBB101_221:
	s_endpgm
.LBB101_222:
	v_mov_b32_e32 v0, 0
	s_mov_b32 s50, 0
	v_mov_b32_e32 v1, v7
.LBB101_223:
	s_and_b32 s4, s51, 3
	s_cmp_eq_u32 s4, 0
	s_cbranch_scc1 .LBB101_226
; %bb.224:
	s_lshl_b32 s0, s50, 2
	s_add_u32 s0, s20, s0
	s_addc_u32 s1, s21, 0
	s_add_u32 s0, s0, 0xc4
	s_addc_u32 s1, s1, 0
	s_mul_i32 s2, s50, 12
	s_add_u32 s2, s20, s2
	s_addc_u32 s3, s21, 0
.LBB101_225:                            ; =>This Inner Loop Header: Depth=1
	s_load_dwordx2 s[6:7], s[2:3], 0x4
	s_load_dword s5, s[2:3], 0xc
	s_add_u32 s2, s2, 12
	s_addc_u32 s3, s3, 0
	s_waitcnt lgkmcnt(0)
	v_mul_hi_u32 v2, s7, v1
	s_load_dword s7, s[0:1], 0x0
	s_add_u32 s0, s0, 4
	s_addc_u32 s1, s1, 0
	v_add_u32_e32 v2, v1, v2
	v_lshrrev_b32_e32 v2, s5, v2
	v_mul_lo_u32 v3, v2, s6
	s_add_i32 s4, s4, -1
	s_cmp_lg_u32 s4, 0
	v_sub_u32_e32 v1, v1, v3
	s_waitcnt lgkmcnt(0)
	v_mad_u64_u32 v[0:1], s[6:7], v1, s7, v[0:1]
	v_mov_b32_e32 v1, v2
	s_cbranch_scc1 .LBB101_225
.LBB101_226:
	s_cbranch_execnz .LBB101_229
.LBB101_227:
	s_waitcnt lgkmcnt(0)
	v_mul_hi_u32 v0, s9, v7
	s_andn2_b64 vcc, exec, s[34:35]
	v_add_u32_e32 v0, v7, v0
	v_lshrrev_b32_e32 v1, s10, v0
	v_mul_lo_u32 v0, v1, s8
	v_sub_u32_e32 v0, v7, v0
	v_mul_lo_u32 v0, v0, s28
	s_cbranch_vccnz .LBB101_229
; %bb.228:
	v_mul_hi_u32 v2, s30, v1
	v_add_u32_e32 v2, v1, v2
	v_lshrrev_b32_e32 v2, s31, v2
	v_mul_lo_u32 v2, v2, s11
	v_sub_u32_e32 v1, v1, v2
	v_mad_u64_u32 v[0:1], s[0:1], v1, s29, v[0:1]
.LBB101_229:
	s_waitcnt lgkmcnt(0)
	v_mov_b32_e32 v1, s47
	v_add_u32_e32 v7, 0x80, v7
	global_store_short v0, v1, s[26:27]
	s_or_b64 exec, exec, s[40:41]
	v_cmp_gt_i32_e32 vcc, s48, v7
	s_and_saveexec_b64 s[40:41], vcc
	s_cbranch_execz .LBB101_220
.LBB101_230:
	s_andn2_b64 vcc, exec, s[22:23]
	s_cbranch_vccnz .LBB101_235
; %bb.231:
	s_andn2_b64 vcc, exec, s[38:39]
	s_cbranch_vccnz .LBB101_236
; %bb.232:
	s_add_i32 s49, s49, 1
	s_cmp_eq_u32 s46, 2
	s_cbranch_scc1 .LBB101_237
; %bb.233:
	s_and_b32 s42, s49, 28
	s_mov_b32 s43, 0
	v_mov_b32_e32 v0, 0
	s_mov_b64 s[38:39], s[20:21]
	v_mov_b32_e32 v1, v7
.LBB101_234:                            ; =>This Inner Loop Header: Depth=1
	s_load_dwordx8 s[0:7], s[38:39], 0x4
	s_load_dwordx4 s[12:15], s[38:39], 0x24
	s_load_dwordx4 s[16:19], s[36:37], 0x0
	s_add_u32 s38, s38, 48
	s_addc_u32 s39, s39, 0
	s_waitcnt lgkmcnt(0)
	v_mul_hi_u32 v2, s1, v1
	s_add_i32 s43, s43, 4
	s_add_u32 s36, s36, 16
	s_addc_u32 s37, s37, 0
	v_add_u32_e32 v2, v1, v2
	v_lshrrev_b32_e32 v2, s2, v2
	v_mul_lo_u32 v3, v2, s0
	v_mul_hi_u32 v4, s4, v2
	s_cmp_eq_u32 s42, s43
	v_sub_u32_e32 v1, v1, v3
	v_add_u32_e32 v3, v2, v4
	v_lshrrev_b32_e32 v3, s5, v3
	v_mul_lo_u32 v4, v1, s16
	v_mul_hi_u32 v1, s7, v3
	v_mul_lo_u32 v6, v3, s3
	v_add_u32_e32 v1, v3, v1
	v_lshrrev_b32_e32 v5, s12, v1
	v_mul_hi_u32 v1, s14, v5
	v_sub_u32_e32 v2, v2, v6
	v_mul_lo_u32 v6, v5, s6
	v_mul_lo_u32 v2, v2, s17
	v_add_u32_e32 v1, v5, v1
	v_lshrrev_b32_e32 v1, s15, v1
	v_mul_lo_u32 v8, v1, s13
	v_sub_u32_e32 v3, v3, v6
	v_mul_lo_u32 v3, v3, s18
	v_add3_u32 v0, v4, v0, v2
	v_sub_u32_e32 v5, v5, v8
	v_mul_lo_u32 v5, v5, s19
	v_add3_u32 v0, v3, v0, v5
	s_cbranch_scc0 .LBB101_234
	s_branch .LBB101_238
.LBB101_235:
                                        ; implicit-def: $vgpr0
	s_branch .LBB101_242
.LBB101_236:
	v_mov_b32_e32 v0, 0
	s_branch .LBB101_241
.LBB101_237:
	v_mov_b32_e32 v0, 0
	s_mov_b32 s42, 0
	v_mov_b32_e32 v1, v7
.LBB101_238:
	s_and_b32 s4, s49, 3
	s_cmp_eq_u32 s4, 0
	s_cbranch_scc1 .LBB101_241
; %bb.239:
	s_lshl_b32 s0, s42, 2
	s_add_u32 s0, s20, s0
	s_addc_u32 s1, s21, 0
	s_add_u32 s0, s0, 0xc4
	s_addc_u32 s1, s1, 0
	s_mul_i32 s2, s42, 12
	s_add_u32 s2, s20, s2
	s_addc_u32 s3, s21, 0
.LBB101_240:                            ; =>This Inner Loop Header: Depth=1
	s_load_dwordx2 s[6:7], s[2:3], 0x4
	s_load_dword s5, s[2:3], 0xc
	s_add_u32 s2, s2, 12
	s_addc_u32 s3, s3, 0
	s_waitcnt lgkmcnt(0)
	v_mul_hi_u32 v2, s7, v1
	s_load_dword s7, s[0:1], 0x0
	s_add_u32 s0, s0, 4
	s_addc_u32 s1, s1, 0
	v_add_u32_e32 v2, v1, v2
	v_lshrrev_b32_e32 v2, s5, v2
	v_mul_lo_u32 v3, v2, s6
	s_add_i32 s4, s4, -1
	s_cmp_lg_u32 s4, 0
	v_sub_u32_e32 v1, v1, v3
	s_waitcnt lgkmcnt(0)
	v_mad_u64_u32 v[0:1], s[6:7], v1, s7, v[0:1]
	v_mov_b32_e32 v1, v2
	s_cbranch_scc1 .LBB101_240
.LBB101_241:
	s_cbranch_execnz .LBB101_244
.LBB101_242:
	s_waitcnt lgkmcnt(0)
	v_mul_hi_u32 v0, s9, v7
	s_andn2_b64 vcc, exec, s[34:35]
	v_add_u32_e32 v0, v7, v0
	v_lshrrev_b32_e32 v1, s10, v0
	v_mul_lo_u32 v0, v1, s8
	v_sub_u32_e32 v0, v7, v0
	v_mul_lo_u32 v0, v0, s28
	s_cbranch_vccnz .LBB101_244
; %bb.243:
	v_mul_hi_u32 v2, s30, v1
	v_add_u32_e32 v2, v1, v2
	v_lshrrev_b32_e32 v2, s31, v2
	v_mul_lo_u32 v2, v2, s11
	v_sub_u32_e32 v1, v1, v2
	v_mad_u64_u32 v[0:1], s[0:1], v1, s29, v[0:1]
.LBB101_244:
	s_waitcnt lgkmcnt(0)
	v_mov_b32_e32 v1, s47
	global_store_short v0, v1, s[26:27]
	s_or_b64 exec, exec, s[40:41]
                                        ; implicit-def: $vgpr9
                                        ; implicit-def: $vgpr7
	s_andn2_saveexec_b64 s[0:1], s[24:25]
	s_cbranch_execz .LBB101_221
	s_branch .LBB101_8
	.section	.rodata,"a",@progbits
	.p2align	6, 0x0
	.amdhsa_kernel _ZN2at6native32elementwise_kernel_manual_unrollILi128ELi8EZNS0_22gpu_kernel_impl_nocastINS0_11FillFunctorIN3c104HalfEEEEEvRNS_18TensorIteratorBaseERKT_EUlibE_EEviT1_
		.amdhsa_group_segment_fixed_size 0
		.amdhsa_private_segment_fixed_size 0
		.amdhsa_kernarg_size 288
		.amdhsa_user_sgpr_count 6
		.amdhsa_user_sgpr_private_segment_buffer 1
		.amdhsa_user_sgpr_dispatch_ptr 0
		.amdhsa_user_sgpr_queue_ptr 0
		.amdhsa_user_sgpr_kernarg_segment_ptr 1
		.amdhsa_user_sgpr_dispatch_id 0
		.amdhsa_user_sgpr_flat_scratch_init 0
		.amdhsa_user_sgpr_private_segment_size 0
		.amdhsa_uses_dynamic_stack 0
		.amdhsa_system_sgpr_private_segment_wavefront_offset 0
		.amdhsa_system_sgpr_workgroup_id_x 1
		.amdhsa_system_sgpr_workgroup_id_y 0
		.amdhsa_system_sgpr_workgroup_id_z 0
		.amdhsa_system_sgpr_workgroup_info 0
		.amdhsa_system_vgpr_workitem_id 0
		.amdhsa_next_free_vgpr 16
		.amdhsa_next_free_sgpr 53
		.amdhsa_reserve_vcc 1
		.amdhsa_reserve_flat_scratch 0
		.amdhsa_float_round_mode_32 0
		.amdhsa_float_round_mode_16_64 0
		.amdhsa_float_denorm_mode_32 3
		.amdhsa_float_denorm_mode_16_64 3
		.amdhsa_dx10_clamp 1
		.amdhsa_ieee_mode 1
		.amdhsa_fp16_overflow 0
		.amdhsa_exception_fp_ieee_invalid_op 0
		.amdhsa_exception_fp_denorm_src 0
		.amdhsa_exception_fp_ieee_div_zero 0
		.amdhsa_exception_fp_ieee_overflow 0
		.amdhsa_exception_fp_ieee_underflow 0
		.amdhsa_exception_fp_ieee_inexact 0
		.amdhsa_exception_int_div_zero 0
	.end_amdhsa_kernel
	.section	.text._ZN2at6native32elementwise_kernel_manual_unrollILi128ELi8EZNS0_22gpu_kernel_impl_nocastINS0_11FillFunctorIN3c104HalfEEEEEvRNS_18TensorIteratorBaseERKT_EUlibE_EEviT1_,"axG",@progbits,_ZN2at6native32elementwise_kernel_manual_unrollILi128ELi8EZNS0_22gpu_kernel_impl_nocastINS0_11FillFunctorIN3c104HalfEEEEEvRNS_18TensorIteratorBaseERKT_EUlibE_EEviT1_,comdat
.Lfunc_end101:
	.size	_ZN2at6native32elementwise_kernel_manual_unrollILi128ELi8EZNS0_22gpu_kernel_impl_nocastINS0_11FillFunctorIN3c104HalfEEEEEvRNS_18TensorIteratorBaseERKT_EUlibE_EEviT1_, .Lfunc_end101-_ZN2at6native32elementwise_kernel_manual_unrollILi128ELi8EZNS0_22gpu_kernel_impl_nocastINS0_11FillFunctorIN3c104HalfEEEEEvRNS_18TensorIteratorBaseERKT_EUlibE_EEviT1_
                                        ; -- End function
	.set _ZN2at6native32elementwise_kernel_manual_unrollILi128ELi8EZNS0_22gpu_kernel_impl_nocastINS0_11FillFunctorIN3c104HalfEEEEEvRNS_18TensorIteratorBaseERKT_EUlibE_EEviT1_.num_vgpr, 16
	.set _ZN2at6native32elementwise_kernel_manual_unrollILi128ELi8EZNS0_22gpu_kernel_impl_nocastINS0_11FillFunctorIN3c104HalfEEEEEvRNS_18TensorIteratorBaseERKT_EUlibE_EEviT1_.num_agpr, 0
	.set _ZN2at6native32elementwise_kernel_manual_unrollILi128ELi8EZNS0_22gpu_kernel_impl_nocastINS0_11FillFunctorIN3c104HalfEEEEEvRNS_18TensorIteratorBaseERKT_EUlibE_EEviT1_.numbered_sgpr, 53
	.set _ZN2at6native32elementwise_kernel_manual_unrollILi128ELi8EZNS0_22gpu_kernel_impl_nocastINS0_11FillFunctorIN3c104HalfEEEEEvRNS_18TensorIteratorBaseERKT_EUlibE_EEviT1_.num_named_barrier, 0
	.set _ZN2at6native32elementwise_kernel_manual_unrollILi128ELi8EZNS0_22gpu_kernel_impl_nocastINS0_11FillFunctorIN3c104HalfEEEEEvRNS_18TensorIteratorBaseERKT_EUlibE_EEviT1_.private_seg_size, 0
	.set _ZN2at6native32elementwise_kernel_manual_unrollILi128ELi8EZNS0_22gpu_kernel_impl_nocastINS0_11FillFunctorIN3c104HalfEEEEEvRNS_18TensorIteratorBaseERKT_EUlibE_EEviT1_.uses_vcc, 1
	.set _ZN2at6native32elementwise_kernel_manual_unrollILi128ELi8EZNS0_22gpu_kernel_impl_nocastINS0_11FillFunctorIN3c104HalfEEEEEvRNS_18TensorIteratorBaseERKT_EUlibE_EEviT1_.uses_flat_scratch, 0
	.set _ZN2at6native32elementwise_kernel_manual_unrollILi128ELi8EZNS0_22gpu_kernel_impl_nocastINS0_11FillFunctorIN3c104HalfEEEEEvRNS_18TensorIteratorBaseERKT_EUlibE_EEviT1_.has_dyn_sized_stack, 0
	.set _ZN2at6native32elementwise_kernel_manual_unrollILi128ELi8EZNS0_22gpu_kernel_impl_nocastINS0_11FillFunctorIN3c104HalfEEEEEvRNS_18TensorIteratorBaseERKT_EUlibE_EEviT1_.has_recursion, 0
	.set _ZN2at6native32elementwise_kernel_manual_unrollILi128ELi8EZNS0_22gpu_kernel_impl_nocastINS0_11FillFunctorIN3c104HalfEEEEEvRNS_18TensorIteratorBaseERKT_EUlibE_EEviT1_.has_indirect_call, 0
	.section	.AMDGPU.csdata,"",@progbits
; Kernel info:
; codeLenInByte = 9820
; TotalNumSgprs: 57
; NumVgprs: 16
; ScratchSize: 0
; MemoryBound: 0
; FloatMode: 240
; IeeeMode: 1
; LDSByteSize: 0 bytes/workgroup (compile time only)
; SGPRBlocks: 7
; VGPRBlocks: 3
; NumSGPRsForWavesPerEU: 57
; NumVGPRsForWavesPerEU: 16
; Occupancy: 10
; WaveLimiterHint : 1
; COMPUTE_PGM_RSRC2:SCRATCH_EN: 0
; COMPUTE_PGM_RSRC2:USER_SGPR: 6
; COMPUTE_PGM_RSRC2:TRAP_HANDLER: 0
; COMPUTE_PGM_RSRC2:TGID_X_EN: 1
; COMPUTE_PGM_RSRC2:TGID_Y_EN: 0
; COMPUTE_PGM_RSRC2:TGID_Z_EN: 0
; COMPUTE_PGM_RSRC2:TIDIG_COMP_CNT: 0
	.section	.text._ZN2at6native32elementwise_kernel_manual_unrollILi128ELi4EZNS0_15gpu_kernel_implINS0_11FillFunctorIN3c104HalfEEEEEvRNS_18TensorIteratorBaseERKT_EUlibE_EEviT1_,"axG",@progbits,_ZN2at6native32elementwise_kernel_manual_unrollILi128ELi4EZNS0_15gpu_kernel_implINS0_11FillFunctorIN3c104HalfEEEEEvRNS_18TensorIteratorBaseERKT_EUlibE_EEviT1_,comdat
	.protected	_ZN2at6native32elementwise_kernel_manual_unrollILi128ELi4EZNS0_15gpu_kernel_implINS0_11FillFunctorIN3c104HalfEEEEEvRNS_18TensorIteratorBaseERKT_EUlibE_EEviT1_ ; -- Begin function _ZN2at6native32elementwise_kernel_manual_unrollILi128ELi4EZNS0_15gpu_kernel_implINS0_11FillFunctorIN3c104HalfEEEEEvRNS_18TensorIteratorBaseERKT_EUlibE_EEviT1_
	.globl	_ZN2at6native32elementwise_kernel_manual_unrollILi128ELi4EZNS0_15gpu_kernel_implINS0_11FillFunctorIN3c104HalfEEEEEvRNS_18TensorIteratorBaseERKT_EUlibE_EEviT1_
	.p2align	8
	.type	_ZN2at6native32elementwise_kernel_manual_unrollILi128ELi4EZNS0_15gpu_kernel_implINS0_11FillFunctorIN3c104HalfEEEEEvRNS_18TensorIteratorBaseERKT_EUlibE_EEviT1_,@function
_ZN2at6native32elementwise_kernel_manual_unrollILi128ELi4EZNS0_15gpu_kernel_implINS0_11FillFunctorIN3c104HalfEEEEEvRNS_18TensorIteratorBaseERKT_EUlibE_EEviT1_: ; @_ZN2at6native32elementwise_kernel_manual_unrollILi128ELi4EZNS0_15gpu_kernel_implINS0_11FillFunctorIN3c104HalfEEEEEvRNS_18TensorIteratorBaseERKT_EUlibE_EEviT1_
; %bb.0:
	s_load_dwordx4 s[8:11], s[4:5], 0x8
	s_load_dword s48, s[4:5], 0x0
	v_lshl_or_b32 v20, s6, 9, v0
	v_or_b32_e32 v0, 0x180, v20
	s_mov_b64 s[6:7], 0
	s_waitcnt lgkmcnt(0)
	s_lshr_b32 s33, s11, 16
	v_cmp_le_i32_e32 vcc, s48, v0
	s_mov_b64 s[0:1], 0
	s_and_saveexec_b64 s[2:3], vcc
	s_xor_b64 s[12:13], exec, s[2:3]
	s_cbranch_execz .LBB102_404
; %bb.1:
	v_cvt_f32_f16_e32 v6, s11
	s_movk_i32 s0, 0xff
	s_and_b32 s52, 0xffff, s11
	v_mov_b32_e32 v9, 0
	v_and_b32_e32 v2, 0x400000, v6
	v_bfe_u32 v1, v6, 23, 8
	v_cmp_ne_u32_e32 vcc, 0, v2
	v_and_b32_e32 v2, 0x3fffff, v6
	v_cmp_eq_u32_e64 s[4:5], s0, v1
	v_or_b32_e32 v1, v1, v2
	v_cmp_ne_u32_e64 s[0:1], 0, v1
	v_readfirstlane_b32 s16, v6
	s_and_b64 s[0:1], vcc, s[0:1]
	s_and_b32 s30, s16, 0x7fffffff
	s_cmp_lt_u32 s30, 0x43800000
	s_cselect_b64 s[26:27], -1, 0
	s_cmp_gt_u32 s30, 0x3bffffff
	v_cndmask_b32_e64 v1, 0, 1, s[0:1]
	s_cselect_b64 s[2:3], -1, 0
	s_bfe_u32 s0, s16, 0x10014
	s_add_i32 s17, s16, s0
	s_add_i32 s0, s17, 0x487ffff
	s_lshr_b32 s60, s0, 20
	s_mov_b32 s0, 0x46000000
	v_add_f32_e64 v17, |v6|, s0
	v_readfirstlane_b32 s0, v17
	s_and_b32 s0, s0, 0xff
	s_cmp_lg_u32 s0, 0
	s_cselect_b64 s[28:29], -1, 0
	s_cmp_gt_u32 s30, 0x477fffff
	s_cselect_b64 s[14:15], -1, 0
	s_cmp_lt_u32 s30, 0x47800000
	s_movk_i32 s0, 0x80
	s_cselect_b64 s[22:23], -1, 0
	s_cmp_gt_u32 s30, 0x37ffffff
	v_and_b32_sdwa v14, v6, s0 dst_sel:DWORD dst_unused:UNUSED_PAD src0_sel:BYTE_3 src1_sel:DWORD
	s_cselect_b64 s[0:1], -1, 0
	s_bfe_u32 s18, s16, 0x10015
	s_add_i32 s31, s16, s18
	s_add_i32 s16, s31, 0x88fffff
	s_lshr_b32 s58, s16, 21
	s_mov_b32 s16, 0x42800000
	v_add_f32_e64 v16, |v6|, s16
	v_readfirstlane_b32 s16, v16
	s_and_b32 s16, s16, 0xff
	s_cmp_lg_u32 s16, 0
	s_cselect_b64 s[24:25], -1, 0
	s_cmp_gt_u32 s30, 0x43efffff
	s_cselect_b64 s[18:19], -1, 0
	s_cmp_lt_u32 s30, 0x3c800000
	s_cselect_b64 s[20:21], -1, 0
	s_add_i32 s17, s17, 0x407ffff
	s_lshr_b32 s16, s17, 20
	s_and_b32 s17, s17, 0xff00000
	s_cmp_lg_u32 s17, 0x7f00000
	v_lshrrev_b32_e32 v0, 23, v6
	s_cselect_b32 s56, s16, 0x7e
	s_mov_b32 s16, 0x46800000
	s_cmp_lt_u32 s30, 0x38800000
	v_add_u32_e32 v19, v0, v1
	v_add_f32_e64 v0, |v6|, s16
	s_cselect_b64 s[16:17], -1, 0
	s_add_i32 s31, s31, 0x80fffff
	s_lshr_b32 s53, s31, 21
	s_cmp_gt_u32 s30, 0x7f800000
	s_movk_i32 s30, 0x7f
	s_cselect_b32 s59, s30, 0x7e
	s_mov_b32 s30, 0x43000000
	v_readfirstlane_b32 s57, v0
	v_add_f32_e64 v0, |v6|, s30
	v_readfirstlane_b32 s54, v0
	v_bfe_u32 v0, v6, 16, 1
	v_add_u32_e32 v0, v6, v0
	v_add_u32_e32 v0, 0x7fff, v0
	s_movk_i32 s30, 0x7c
	v_lshrrev_b32_e32 v0, 16, v0
	v_mov_b32_e32 v1, 0x7fc0
	v_cmp_o_f16_e64 vcc, s11, s11
	v_cvt_i32_f32_e32 v4, v6
	v_cvt_u32_f32_e32 v8, v6
	s_cselect_b32 s55, 0x7f, s30
	v_cndmask_b32_e32 v15, v1, v0, vcc
	s_and_b32 s30, s11, 0x7fff
	v_cvt_f64_f32_e32 v[0:1], v6
	s_cmp_lg_u32 s30, 0
	s_cselect_b64 s[30:31], -1, 0
	v_cvt_u16_f16_e32 v18, s11
	v_cndmask_b32_e64 v13, 0, 1, s[30:31]
	v_ashrrev_i32_e32 v5, 31, v4
	v_cvt_i16_f16_e32 v12, s11
	v_cmp_gt_i32_e32 vcc, s48, v20
	s_mov_b64 s[36:37], -1
	s_mov_b64 s[38:39], 0
	s_mov_b64 s[30:31], 0
	s_and_saveexec_b64 s[34:35], vcc
	s_cbranch_execz .LBB102_100
; %bb.2:
	v_mul_lo_u32 v2, v20, s10
	v_mov_b32_e32 v3, s9
	s_and_b32 s42, s33, 0xff
	s_cmp_lt_i32 s42, 11
	v_ashrrev_i32_e32 v7, 31, v2
	v_add_co_u32_e32 v10, vcc, s8, v2
	v_addc_co_u32_e32 v11, vcc, v3, v7, vcc
	s_cbranch_scc1 .LBB102_9
; %bb.3:
	s_and_b32 s43, 0xffff, s42
	s_cmp_gt_i32 s43, 25
	s_cbranch_scc0 .LBB102_12
; %bb.4:
	s_cmp_gt_i32 s43, 28
	s_cbranch_scc0 .LBB102_13
; %bb.5:
	;; [unrolled: 3-line block ×4, first 2 shown]
	s_mov_b64 s[40:41], 0
	s_mov_b64 s[30:31], -1
	s_cmp_eq_u32 s43, 46
	s_mov_b64 s[36:37], 0
	s_cbranch_scc0 .LBB102_16
; %bb.8:
	global_store_dword v[10:11], v15, off
	s_mov_b64 s[36:37], -1
	s_mov_b64 s[30:31], 0
	s_branch .LBB102_16
.LBB102_9:
	s_mov_b64 s[36:37], 0
	s_cbranch_execnz .LBB102_60
.LBB102_10:
	s_andn2_b64 vcc, exec, s[36:37]
	s_cbranch_vccnz .LBB102_98
.LBB102_11:
	v_add_u32_e32 v20, 0x80, v20
	s_mov_b64 s[36:37], -1
	s_branch .LBB102_99
.LBB102_12:
	s_mov_b64 s[36:37], 0
	s_cbranch_execnz .LBB102_38
	s_branch .LBB102_59
.LBB102_13:
	s_mov_b64 s[40:41], -1
	s_mov_b64 s[36:37], 0
	s_branch .LBB102_24
.LBB102_14:
	s_mov_b64 s[40:41], -1
	s_mov_b64 s[36:37], 0
	s_branch .LBB102_20
.LBB102_15:
	s_mov_b64 s[40:41], -1
	s_mov_b64 s[36:37], 0
.LBB102_16:
	s_and_b64 vcc, exec, s[40:41]
	s_cbranch_vccz .LBB102_19
; %bb.17:
	s_cmp_eq_u32 s43, 44
	s_mov_b64 s[30:31], -1
	s_cbranch_scc0 .LBB102_19
; %bb.18:
	v_mov_b32_e32 v2, 0xffff
	v_cndmask_b32_e64 v2, v19, v2, s[4:5]
	global_store_byte v[10:11], v2, off
	s_mov_b64 s[36:37], -1
	s_mov_b64 s[30:31], 0
.LBB102_19:
	s_mov_b64 s[40:41], 0
.LBB102_20:
	s_and_b64 vcc, exec, s[40:41]
	s_cbranch_vccz .LBB102_23
; %bb.21:
	s_cmp_eq_u32 s43, 29
	s_mov_b64 s[30:31], -1
	s_cbranch_scc0 .LBB102_23
; %bb.22:
	global_store_dwordx2 v[10:11], v[8:9], off
	s_mov_b64 s[36:37], -1
	s_mov_b64 s[30:31], 0
.LBB102_23:
	s_mov_b64 s[40:41], 0
.LBB102_24:
	s_and_b64 vcc, exec, s[40:41]
	s_cbranch_vccz .LBB102_37
; %bb.25:
	s_cmp_lt_i32 s43, 27
	s_mov_b64 s[36:37], -1
	s_cbranch_scc1 .LBB102_31
; %bb.26:
	s_cmp_gt_i32 s43, 27
	s_cbranch_scc0 .LBB102_28
; %bb.27:
	s_mov_b64 s[36:37], 0
	global_store_dword v[10:11], v8, off
.LBB102_28:
	s_andn2_b64 vcc, exec, s[36:37]
	s_cbranch_vccnz .LBB102_30
; %bb.29:
	global_store_short v[10:11], v18, off
.LBB102_30:
	s_mov_b64 s[36:37], 0
.LBB102_31:
	s_andn2_b64 vcc, exec, s[36:37]
	s_cbranch_vccnz .LBB102_36
; %bb.32:
	s_andn2_b64 vcc, exec, s[26:27]
	v_mov_b32_e32 v2, 0x80
	s_cbranch_vccnz .LBB102_35
; %bb.33:
	s_or_b64 s[36:37], s[2:3], s[28:29]
	s_andn2_b64 vcc, exec, s[36:37]
	v_mov_b32_e32 v2, 0
	s_cbranch_vccnz .LBB102_35
; %bb.34:
	v_mov_b32_e32 v2, s60
	v_cndmask_b32_e64 v2, v17, v2, s[2:3]
	v_or_b32_e32 v2, v2, v14
.LBB102_35:
	global_store_byte v[10:11], v2, off
.LBB102_36:
	s_mov_b64 s[36:37], -1
.LBB102_37:
	s_branch .LBB102_59
.LBB102_38:
	s_cmp_gt_i32 s43, 22
	s_mov_b64 s[40:41], -1
	s_cbranch_scc0 .LBB102_51
; %bb.39:
	s_cmp_lt_i32 s43, 24
	s_mov_b64 s[36:37], -1
	s_cbranch_scc1 .LBB102_48
; %bb.40:
	s_cmp_gt_i32 s43, 24
	s_cbranch_scc0 .LBB102_45
; %bb.41:
	s_andn2_b64 vcc, exec, s[22:23]
	v_mov_b32_e32 v2, 0x80
	s_cbranch_vccnz .LBB102_44
; %bb.42:
	s_or_b64 s[36:37], s[0:1], s[24:25]
	s_andn2_b64 vcc, exec, s[36:37]
	v_mov_b32_e32 v2, 0
	s_cbranch_vccnz .LBB102_44
; %bb.43:
	v_mov_b32_e32 v2, s58
	v_cndmask_b32_e64 v2, v16, v2, s[0:1]
	v_or_b32_e32 v2, v2, v14
.LBB102_44:
	s_mov_b64 s[36:37], 0
	global_store_byte v[10:11], v2, off
.LBB102_45:
	s_and_b64 vcc, exec, s[36:37]
	s_cbranch_vccz .LBB102_47
; %bb.46:
	s_and_b64 s[36:37], s[20:21], exec
	s_cselect_b32 s40, s57, s56
	s_and_b64 s[36:37], s[18:19], exec
	s_cselect_b32 s36, s59, s40
	v_or_b32_e32 v2, s36, v14
	global_store_byte v[10:11], v2, off
.LBB102_47:
	s_mov_b64 s[36:37], 0
.LBB102_48:
	s_andn2_b64 vcc, exec, s[36:37]
	s_cbranch_vccnz .LBB102_50
; %bb.49:
	s_and_b64 s[36:37], s[16:17], exec
	s_cselect_b32 s40, s54, s53
	s_and_b64 s[36:37], s[14:15], exec
	s_cselect_b32 s36, s55, s40
	v_or_b32_e32 v2, s36, v14
	global_store_byte v[10:11], v2, off
.LBB102_50:
	s_mov_b64 s[40:41], 0
	s_mov_b64 s[36:37], -1
.LBB102_51:
	s_andn2_b64 vcc, exec, s[40:41]
	s_cbranch_vccnz .LBB102_59
; %bb.52:
	s_cmp_gt_i32 s43, 14
	s_mov_b64 s[40:41], -1
	s_cbranch_scc0 .LBB102_56
; %bb.53:
	s_cmp_eq_u32 s43, 15
	s_mov_b64 s[30:31], -1
	s_cbranch_scc0 .LBB102_55
; %bb.54:
	global_store_short v[10:11], v15, off
	s_mov_b64 s[36:37], -1
	s_mov_b64 s[30:31], 0
.LBB102_55:
	s_mov_b64 s[40:41], 0
.LBB102_56:
	s_and_b64 vcc, exec, s[40:41]
	s_cbranch_vccz .LBB102_59
; %bb.57:
	s_cmp_eq_u32 s43, 11
	s_mov_b64 s[30:31], -1
	s_cbranch_scc0 .LBB102_59
; %bb.58:
	s_mov_b64 s[36:37], -1
	s_mov_b64 s[30:31], 0
	global_store_byte v[10:11], v13, off
.LBB102_59:
	s_branch .LBB102_10
.LBB102_60:
	s_and_b32 s40, 0xffff, s42
	s_cmp_lt_i32 s40, 5
	s_mov_b64 s[36:37], -1
	s_cbranch_scc1 .LBB102_81
; %bb.61:
	s_cmp_lt_i32 s40, 8
	s_cbranch_scc1 .LBB102_71
; %bb.62:
	s_cmp_lt_i32 s40, 9
	s_cbranch_scc1 .LBB102_68
; %bb.63:
	s_cmp_gt_i32 s40, 9
	s_cbranch_scc0 .LBB102_65
; %bb.64:
	v_mov_b32_e32 v2, 0
	v_mov_b32_e32 v3, v2
	global_store_dwordx4 v[10:11], v[0:3], off
	s_mov_b64 s[36:37], 0
.LBB102_65:
	s_andn2_b64 vcc, exec, s[36:37]
	s_cbranch_vccnz .LBB102_67
; %bb.66:
	v_mov_b32_e32 v7, 0
	global_store_dwordx2 v[10:11], v[6:7], off
.LBB102_67:
	s_mov_b64 s[36:37], 0
.LBB102_68:
	s_andn2_b64 vcc, exec, s[36:37]
	s_cbranch_vccnz .LBB102_70
; %bb.69:
	v_mov_b32_e32 v2, s52
	global_store_dword v[10:11], v2, off
.LBB102_70:
	s_mov_b64 s[36:37], 0
.LBB102_71:
	s_andn2_b64 vcc, exec, s[36:37]
	s_cbranch_vccnz .LBB102_80
; %bb.72:
	s_cmp_lt_i32 s40, 6
	s_mov_b64 s[36:37], -1
	s_cbranch_scc1 .LBB102_78
; %bb.73:
	s_cmp_gt_i32 s40, 6
	s_cbranch_scc0 .LBB102_75
; %bb.74:
	global_store_dwordx2 v[10:11], v[0:1], off
	s_mov_b64 s[36:37], 0
.LBB102_75:
	s_andn2_b64 vcc, exec, s[36:37]
	s_cbranch_vccnz .LBB102_77
; %bb.76:
	global_store_dword v[10:11], v6, off
.LBB102_77:
	s_mov_b64 s[36:37], 0
.LBB102_78:
	s_andn2_b64 vcc, exec, s[36:37]
	s_cbranch_vccnz .LBB102_80
; %bb.79:
	v_mov_b32_e32 v2, s11
	global_store_short v[10:11], v2, off
.LBB102_80:
	s_mov_b64 s[36:37], 0
.LBB102_81:
	s_andn2_b64 vcc, exec, s[36:37]
	s_cbranch_vccnz .LBB102_97
; %bb.82:
	s_cmp_lt_i32 s40, 2
	s_mov_b64 s[36:37], -1
	s_cbranch_scc1 .LBB102_92
; %bb.83:
	s_cmp_lt_i32 s40, 3
	s_cbranch_scc1 .LBB102_89
; %bb.84:
	s_cmp_gt_i32 s40, 3
	s_cbranch_scc0 .LBB102_86
; %bb.85:
	global_store_dwordx2 v[10:11], v[4:5], off
	s_mov_b64 s[36:37], 0
.LBB102_86:
	s_andn2_b64 vcc, exec, s[36:37]
	s_cbranch_vccnz .LBB102_88
; %bb.87:
	global_store_dword v[10:11], v4, off
.LBB102_88:
	s_mov_b64 s[36:37], 0
.LBB102_89:
	s_andn2_b64 vcc, exec, s[36:37]
	s_cbranch_vccnz .LBB102_91
; %bb.90:
	global_store_short v[10:11], v12, off
.LBB102_91:
	s_mov_b64 s[36:37], 0
.LBB102_92:
	s_andn2_b64 vcc, exec, s[36:37]
	s_cbranch_vccnz .LBB102_97
; %bb.93:
	s_cmp_gt_i32 s40, 0
	s_mov_b64 s[36:37], -1
	s_cbranch_scc0 .LBB102_95
; %bb.94:
	global_store_byte v[10:11], v12, off
	s_mov_b64 s[36:37], 0
.LBB102_95:
	s_andn2_b64 vcc, exec, s[36:37]
	s_cbranch_vccnz .LBB102_97
; %bb.96:
	global_store_byte v[10:11], v4, off
.LBB102_97:
	s_branch .LBB102_11
.LBB102_98:
	s_mov_b64 s[36:37], 0
                                        ; implicit-def: $vgpr20
.LBB102_99:
	s_and_b64 s[30:31], s[30:31], exec
	s_orn2_b64 s[36:37], s[36:37], exec
.LBB102_100:
	s_or_b64 exec, exec, s[34:35]
	s_mov_b64 s[40:41], 0
                                        ; implicit-def: $sgpr61
                                        ; implicit-def: $vgpr10_vgpr11
	s_and_saveexec_b64 s[34:35], s[36:37]
	s_cbranch_execz .LBB102_109
; %bb.101:
	v_cmp_gt_i32_e32 vcc, s48, v20
	s_mov_b64 s[42:43], -1
	s_mov_b64 s[36:37], s[30:31]
	s_and_saveexec_b64 s[38:39], vcc
	s_cbranch_execz .LBB102_204
; %bb.102:
	v_mul_lo_u32 v2, v20, s10
	v_mov_b32_e32 v3, s9
	s_and_b32 s44, s33, 0xff
	s_cmp_lt_i32 s44, 11
	v_ashrrev_i32_e32 v7, 31, v2
	v_add_co_u32_e32 v10, vcc, s8, v2
	v_addc_co_u32_e32 v11, vcc, v3, v7, vcc
	s_cbranch_scc1 .LBB102_112
; %bb.103:
	s_and_b32 s45, 0xffff, s44
	s_cmp_gt_i32 s45, 25
	s_cbranch_scc0 .LBB102_115
; %bb.104:
	s_cmp_gt_i32 s45, 28
	s_cbranch_scc0 .LBB102_116
; %bb.105:
	;; [unrolled: 3-line block ×4, first 2 shown]
	s_mov_b64 s[42:43], 0
	s_mov_b64 s[36:37], -1
	s_cmp_eq_u32 s45, 46
	s_cbranch_scc0 .LBB102_119
; %bb.108:
	global_store_dword v[10:11], v15, off
	s_mov_b64 s[40:41], -1
	s_mov_b64 s[36:37], 0
	s_branch .LBB102_119
.LBB102_109:
	s_or_b64 exec, exec, s[34:35]
	s_mov_b64 s[0:1], 0
	s_and_saveexec_b64 s[2:3], s[30:31]
	s_cbranch_execnz .LBB102_364
.LBB102_110:
	s_or_b64 exec, exec, s[2:3]
	s_and_saveexec_b64 s[2:3], s[38:39]
	s_xor_b64 s[2:3], exec, s[2:3]
	s_cbranch_execz .LBB102_365
.LBB102_111:
	global_store_byte v[10:11], v13, off
	s_or_b64 exec, exec, s[2:3]
	s_and_saveexec_b64 s[2:3], s[40:41]
	s_xor_b64 s[2:3], exec, s[2:3]
	s_cbranch_execz .LBB102_403
	s_branch .LBB102_366
.LBB102_112:
	s_mov_b64 s[36:37], s[30:31]
	s_and_b64 vcc, exec, s[42:43]
	s_cbranch_vccnz .LBB102_164
.LBB102_113:
	s_andn2_b64 vcc, exec, s[40:41]
	s_cbranch_vccnz .LBB102_202
.LBB102_114:
	v_add_u32_e32 v20, 0x80, v20
	s_mov_b64 s[40:41], -1
	s_branch .LBB102_203
.LBB102_115:
	s_mov_b64 s[36:37], s[30:31]
	s_branch .LBB102_141
.LBB102_116:
	s_mov_b64 s[36:37], s[30:31]
	s_branch .LBB102_127
.LBB102_117:
	s_mov_b64 s[36:37], s[30:31]
	s_branch .LBB102_123
.LBB102_118:
	s_mov_b64 s[36:37], s[30:31]
.LBB102_119:
	s_and_b64 vcc, exec, s[42:43]
	s_cbranch_vccz .LBB102_122
; %bb.120:
	s_cmp_eq_u32 s45, 44
	s_mov_b64 s[36:37], -1
	s_cbranch_scc0 .LBB102_122
; %bb.121:
	v_mov_b32_e32 v2, 0xffff
	v_cndmask_b32_e64 v2, v19, v2, s[4:5]
	s_mov_b64 s[40:41], -1
	s_mov_b64 s[36:37], 0
	global_store_byte v[10:11], v2, off
.LBB102_122:
	s_mov_b64 s[42:43], 0
.LBB102_123:
	s_and_b64 vcc, exec, s[42:43]
	s_cbranch_vccz .LBB102_126
; %bb.124:
	s_cmp_eq_u32 s45, 29
	s_mov_b64 s[36:37], -1
	s_cbranch_scc0 .LBB102_126
; %bb.125:
	global_store_dwordx2 v[10:11], v[8:9], off
	s_mov_b64 s[40:41], -1
	s_mov_b64 s[36:37], 0
.LBB102_126:
	s_mov_b64 s[42:43], 0
.LBB102_127:
	s_and_b64 vcc, exec, s[42:43]
	s_cbranch_vccz .LBB102_140
; %bb.128:
	s_cmp_lt_i32 s45, 27
	s_mov_b64 s[40:41], -1
	s_cbranch_scc1 .LBB102_134
; %bb.129:
	s_cmp_gt_i32 s45, 27
	s_cbranch_scc0 .LBB102_131
; %bb.130:
	s_mov_b64 s[40:41], 0
	global_store_dword v[10:11], v8, off
.LBB102_131:
	s_andn2_b64 vcc, exec, s[40:41]
	s_cbranch_vccnz .LBB102_133
; %bb.132:
	global_store_short v[10:11], v18, off
.LBB102_133:
	s_mov_b64 s[40:41], 0
.LBB102_134:
	s_andn2_b64 vcc, exec, s[40:41]
	s_cbranch_vccnz .LBB102_139
; %bb.135:
	s_andn2_b64 vcc, exec, s[26:27]
	v_mov_b32_e32 v2, 0x80
	s_cbranch_vccnz .LBB102_138
; %bb.136:
	s_or_b64 s[40:41], s[2:3], s[28:29]
	s_andn2_b64 vcc, exec, s[40:41]
	v_mov_b32_e32 v2, 0
	s_cbranch_vccnz .LBB102_138
; %bb.137:
	v_mov_b32_e32 v2, s60
	v_cndmask_b32_e64 v2, v17, v2, s[2:3]
	v_or_b32_e32 v2, v2, v14
.LBB102_138:
	global_store_byte v[10:11], v2, off
.LBB102_139:
	s_mov_b64 s[40:41], -1
.LBB102_140:
	s_mov_b64 s[42:43], 0
.LBB102_141:
	s_and_b64 vcc, exec, s[42:43]
	s_cbranch_vccz .LBB102_163
; %bb.142:
	s_cmp_gt_i32 s45, 22
	s_mov_b64 s[42:43], -1
	s_cbranch_scc0 .LBB102_155
; %bb.143:
	s_cmp_lt_i32 s45, 24
	s_mov_b64 s[40:41], -1
	s_cbranch_scc1 .LBB102_152
; %bb.144:
	s_cmp_gt_i32 s45, 24
	s_cbranch_scc0 .LBB102_149
; %bb.145:
	s_andn2_b64 vcc, exec, s[22:23]
	v_mov_b32_e32 v2, 0x80
	s_cbranch_vccnz .LBB102_148
; %bb.146:
	s_or_b64 s[40:41], s[0:1], s[24:25]
	s_andn2_b64 vcc, exec, s[40:41]
	v_mov_b32_e32 v2, 0
	s_cbranch_vccnz .LBB102_148
; %bb.147:
	v_mov_b32_e32 v2, s58
	v_cndmask_b32_e64 v2, v16, v2, s[0:1]
	v_or_b32_e32 v2, v2, v14
.LBB102_148:
	s_mov_b64 s[40:41], 0
	global_store_byte v[10:11], v2, off
.LBB102_149:
	s_and_b64 vcc, exec, s[40:41]
	s_cbranch_vccz .LBB102_151
; %bb.150:
	s_and_b64 s[40:41], s[20:21], exec
	s_cselect_b32 s42, s57, s56
	s_and_b64 s[40:41], s[18:19], exec
	s_cselect_b32 s40, s59, s42
	v_or_b32_e32 v2, s40, v14
	global_store_byte v[10:11], v2, off
.LBB102_151:
	s_mov_b64 s[40:41], 0
.LBB102_152:
	s_andn2_b64 vcc, exec, s[40:41]
	s_cbranch_vccnz .LBB102_154
; %bb.153:
	s_and_b64 s[40:41], s[16:17], exec
	s_cselect_b32 s42, s54, s53
	s_and_b64 s[40:41], s[14:15], exec
	s_cselect_b32 s40, s55, s42
	v_or_b32_e32 v2, s40, v14
	global_store_byte v[10:11], v2, off
.LBB102_154:
	s_mov_b64 s[42:43], 0
	s_mov_b64 s[40:41], -1
.LBB102_155:
	s_andn2_b64 vcc, exec, s[42:43]
	s_cbranch_vccnz .LBB102_163
; %bb.156:
	s_cmp_gt_i32 s45, 14
	s_mov_b64 s[42:43], -1
	s_cbranch_scc0 .LBB102_160
; %bb.157:
	s_cmp_eq_u32 s45, 15
	s_mov_b64 s[36:37], -1
	s_cbranch_scc0 .LBB102_159
; %bb.158:
	global_store_short v[10:11], v15, off
	s_mov_b64 s[40:41], -1
	s_mov_b64 s[36:37], 0
.LBB102_159:
	s_mov_b64 s[42:43], 0
.LBB102_160:
	s_and_b64 vcc, exec, s[42:43]
	s_cbranch_vccz .LBB102_163
; %bb.161:
	s_cmp_eq_u32 s45, 11
	s_mov_b64 s[36:37], -1
	s_cbranch_scc0 .LBB102_163
; %bb.162:
	s_mov_b64 s[40:41], -1
	s_mov_b64 s[36:37], 0
	global_store_byte v[10:11], v13, off
.LBB102_163:
	s_branch .LBB102_113
.LBB102_164:
	s_and_b32 s42, 0xffff, s44
	s_cmp_lt_i32 s42, 5
	s_mov_b64 s[40:41], -1
	s_cbranch_scc1 .LBB102_185
; %bb.165:
	s_cmp_lt_i32 s42, 8
	s_cbranch_scc1 .LBB102_175
; %bb.166:
	s_cmp_lt_i32 s42, 9
	s_cbranch_scc1 .LBB102_172
; %bb.167:
	s_cmp_gt_i32 s42, 9
	s_cbranch_scc0 .LBB102_169
; %bb.168:
	v_mov_b32_e32 v2, 0
	v_mov_b32_e32 v3, v2
	s_mov_b64 s[40:41], 0
	global_store_dwordx4 v[10:11], v[0:3], off
.LBB102_169:
	s_andn2_b64 vcc, exec, s[40:41]
	s_cbranch_vccnz .LBB102_171
; %bb.170:
	v_mov_b32_e32 v7, 0
	global_store_dwordx2 v[10:11], v[6:7], off
.LBB102_171:
	s_mov_b64 s[40:41], 0
.LBB102_172:
	s_andn2_b64 vcc, exec, s[40:41]
	s_cbranch_vccnz .LBB102_174
; %bb.173:
	v_mov_b32_e32 v2, s52
	global_store_dword v[10:11], v2, off
.LBB102_174:
	s_mov_b64 s[40:41], 0
.LBB102_175:
	s_andn2_b64 vcc, exec, s[40:41]
	s_cbranch_vccnz .LBB102_184
; %bb.176:
	s_cmp_lt_i32 s42, 6
	s_mov_b64 s[40:41], -1
	s_cbranch_scc1 .LBB102_182
; %bb.177:
	s_cmp_gt_i32 s42, 6
	s_cbranch_scc0 .LBB102_179
; %bb.178:
	s_mov_b64 s[40:41], 0
	global_store_dwordx2 v[10:11], v[0:1], off
.LBB102_179:
	s_andn2_b64 vcc, exec, s[40:41]
	s_cbranch_vccnz .LBB102_181
; %bb.180:
	global_store_dword v[10:11], v6, off
.LBB102_181:
	s_mov_b64 s[40:41], 0
.LBB102_182:
	s_andn2_b64 vcc, exec, s[40:41]
	s_cbranch_vccnz .LBB102_184
; %bb.183:
	v_mov_b32_e32 v2, s11
	global_store_short v[10:11], v2, off
.LBB102_184:
	s_mov_b64 s[40:41], 0
.LBB102_185:
	s_andn2_b64 vcc, exec, s[40:41]
	s_cbranch_vccnz .LBB102_201
; %bb.186:
	s_cmp_lt_i32 s42, 2
	s_mov_b64 s[40:41], -1
	s_cbranch_scc1 .LBB102_196
; %bb.187:
	s_cmp_lt_i32 s42, 3
	s_cbranch_scc1 .LBB102_193
; %bb.188:
	s_cmp_gt_i32 s42, 3
	s_cbranch_scc0 .LBB102_190
; %bb.189:
	s_mov_b64 s[40:41], 0
	global_store_dwordx2 v[10:11], v[4:5], off
.LBB102_190:
	s_andn2_b64 vcc, exec, s[40:41]
	s_cbranch_vccnz .LBB102_192
; %bb.191:
	global_store_dword v[10:11], v4, off
.LBB102_192:
	s_mov_b64 s[40:41], 0
.LBB102_193:
	s_andn2_b64 vcc, exec, s[40:41]
	s_cbranch_vccnz .LBB102_195
; %bb.194:
	global_store_short v[10:11], v12, off
.LBB102_195:
	s_mov_b64 s[40:41], 0
.LBB102_196:
	s_andn2_b64 vcc, exec, s[40:41]
	s_cbranch_vccnz .LBB102_201
; %bb.197:
	s_cmp_gt_i32 s42, 0
	s_mov_b64 s[40:41], -1
	s_cbranch_scc0 .LBB102_199
; %bb.198:
	s_mov_b64 s[40:41], 0
	global_store_byte v[10:11], v12, off
.LBB102_199:
	s_andn2_b64 vcc, exec, s[40:41]
	s_cbranch_vccnz .LBB102_201
; %bb.200:
	global_store_byte v[10:11], v4, off
.LBB102_201:
	s_branch .LBB102_114
.LBB102_202:
	s_mov_b64 s[40:41], 0
                                        ; implicit-def: $vgpr20
.LBB102_203:
	s_andn2_b64 s[42:43], s[30:31], exec
	s_and_b64 s[36:37], s[36:37], exec
	s_or_b64 s[36:37], s[42:43], s[36:37]
	s_orn2_b64 s[42:43], s[40:41], exec
.LBB102_204:
	s_or_b64 exec, exec, s[38:39]
	s_mov_b64 s[44:45], 0
	s_mov_b64 s[40:41], 0
                                        ; implicit-def: $sgpr61
                                        ; implicit-def: $vgpr10_vgpr11
	s_and_saveexec_b64 s[38:39], s[42:43]
	s_cbranch_execz .LBB102_363
; %bb.205:
	v_cmp_gt_i32_e32 vcc, s48, v20
	s_mov_b64 s[46:47], -1
	s_mov_b64 s[42:43], s[36:37]
	s_and_saveexec_b64 s[40:41], vcc
	s_cbranch_execz .LBB102_306
; %bb.206:
	v_mul_lo_u32 v2, v20, s10
	v_mov_b32_e32 v3, s9
	s_and_b32 s49, s33, 0xff
	s_cmp_lt_i32 s49, 11
	v_ashrrev_i32_e32 v7, 31, v2
	v_add_co_u32_e32 v10, vcc, s8, v2
	v_addc_co_u32_e32 v11, vcc, v3, v7, vcc
	s_cbranch_scc1 .LBB102_213
; %bb.207:
	s_and_b32 s50, 0xffff, s49
	s_cmp_gt_i32 s50, 25
	s_cbranch_scc0 .LBB102_214
; %bb.208:
	s_cmp_gt_i32 s50, 28
	s_cbranch_scc0 .LBB102_215
; %bb.209:
	;; [unrolled: 3-line block ×4, first 2 shown]
	s_mov_b64 s[46:47], 0
	s_mov_b64 s[42:43], -1
	s_cmp_eq_u32 s50, 46
	s_cbranch_scc0 .LBB102_218
; %bb.212:
	global_store_dword v[10:11], v15, off
	s_mov_b64 s[44:45], -1
	s_mov_b64 s[42:43], 0
	s_branch .LBB102_218
.LBB102_213:
	s_mov_b64 s[42:43], s[36:37]
	s_branch .LBB102_263
.LBB102_214:
	s_mov_b64 s[42:43], s[36:37]
	s_branch .LBB102_240
.LBB102_215:
	s_mov_b64 s[42:43], s[36:37]
	s_branch .LBB102_226
.LBB102_216:
	s_mov_b64 s[42:43], s[36:37]
	s_branch .LBB102_222
.LBB102_217:
	s_mov_b64 s[42:43], s[36:37]
.LBB102_218:
	s_and_b64 vcc, exec, s[46:47]
	s_cbranch_vccz .LBB102_221
; %bb.219:
	s_cmp_eq_u32 s50, 44
	s_mov_b64 s[42:43], -1
	s_cbranch_scc0 .LBB102_221
; %bb.220:
	v_mov_b32_e32 v2, 0xffff
	v_cndmask_b32_e64 v2, v19, v2, s[4:5]
	s_mov_b64 s[44:45], -1
	s_mov_b64 s[42:43], 0
	global_store_byte v[10:11], v2, off
.LBB102_221:
	s_mov_b64 s[46:47], 0
.LBB102_222:
	s_and_b64 vcc, exec, s[46:47]
	s_cbranch_vccz .LBB102_225
; %bb.223:
	s_cmp_eq_u32 s50, 29
	s_mov_b64 s[42:43], -1
	s_cbranch_scc0 .LBB102_225
; %bb.224:
	global_store_dwordx2 v[10:11], v[8:9], off
	s_mov_b64 s[44:45], -1
	s_mov_b64 s[42:43], 0
.LBB102_225:
	s_mov_b64 s[46:47], 0
.LBB102_226:
	s_and_b64 vcc, exec, s[46:47]
	s_cbranch_vccz .LBB102_239
; %bb.227:
	s_cmp_lt_i32 s50, 27
	s_mov_b64 s[44:45], -1
	s_cbranch_scc1 .LBB102_233
; %bb.228:
	s_cmp_gt_i32 s50, 27
	s_cbranch_scc0 .LBB102_230
; %bb.229:
	s_mov_b64 s[44:45], 0
	global_store_dword v[10:11], v8, off
.LBB102_230:
	s_andn2_b64 vcc, exec, s[44:45]
	s_cbranch_vccnz .LBB102_232
; %bb.231:
	global_store_short v[10:11], v18, off
.LBB102_232:
	s_mov_b64 s[44:45], 0
.LBB102_233:
	s_andn2_b64 vcc, exec, s[44:45]
	s_cbranch_vccnz .LBB102_238
; %bb.234:
	s_andn2_b64 vcc, exec, s[26:27]
	v_mov_b32_e32 v2, 0x80
	s_cbranch_vccnz .LBB102_237
; %bb.235:
	s_or_b64 s[44:45], s[2:3], s[28:29]
	s_andn2_b64 vcc, exec, s[44:45]
	v_mov_b32_e32 v2, 0
	s_cbranch_vccnz .LBB102_237
; %bb.236:
	v_mov_b32_e32 v2, s60
	v_cndmask_b32_e64 v2, v17, v2, s[2:3]
	v_or_b32_e32 v2, v2, v14
.LBB102_237:
	global_store_byte v[10:11], v2, off
.LBB102_238:
	s_mov_b64 s[44:45], -1
.LBB102_239:
	s_mov_b64 s[46:47], 0
.LBB102_240:
	s_and_b64 vcc, exec, s[46:47]
	s_cbranch_vccz .LBB102_262
; %bb.241:
	s_cmp_gt_i32 s50, 22
	s_mov_b64 s[46:47], -1
	s_cbranch_scc0 .LBB102_254
; %bb.242:
	s_cmp_lt_i32 s50, 24
	s_mov_b64 s[44:45], -1
	s_cbranch_scc1 .LBB102_251
; %bb.243:
	s_cmp_gt_i32 s50, 24
	s_cbranch_scc0 .LBB102_248
; %bb.244:
	s_andn2_b64 vcc, exec, s[22:23]
	v_mov_b32_e32 v2, 0x80
	s_cbranch_vccnz .LBB102_247
; %bb.245:
	s_or_b64 s[44:45], s[0:1], s[24:25]
	s_andn2_b64 vcc, exec, s[44:45]
	v_mov_b32_e32 v2, 0
	s_cbranch_vccnz .LBB102_247
; %bb.246:
	v_mov_b32_e32 v2, s58
	v_cndmask_b32_e64 v2, v16, v2, s[0:1]
	v_or_b32_e32 v2, v2, v14
.LBB102_247:
	s_mov_b64 s[44:45], 0
	global_store_byte v[10:11], v2, off
.LBB102_248:
	s_and_b64 vcc, exec, s[44:45]
	s_cbranch_vccz .LBB102_250
; %bb.249:
	s_and_b64 s[44:45], s[20:21], exec
	s_cselect_b32 s46, s57, s56
	s_and_b64 s[44:45], s[18:19], exec
	s_cselect_b32 s44, s59, s46
	v_or_b32_e32 v2, s44, v14
	global_store_byte v[10:11], v2, off
.LBB102_250:
	s_mov_b64 s[44:45], 0
.LBB102_251:
	s_andn2_b64 vcc, exec, s[44:45]
	s_cbranch_vccnz .LBB102_253
; %bb.252:
	s_and_b64 s[44:45], s[16:17], exec
	s_cselect_b32 s46, s54, s53
	s_and_b64 s[44:45], s[14:15], exec
	s_cselect_b32 s44, s55, s46
	v_or_b32_e32 v2, s44, v14
	global_store_byte v[10:11], v2, off
.LBB102_253:
	s_mov_b64 s[46:47], 0
	s_mov_b64 s[44:45], -1
.LBB102_254:
	s_andn2_b64 vcc, exec, s[46:47]
	s_cbranch_vccnz .LBB102_262
; %bb.255:
	s_cmp_gt_i32 s50, 14
	s_mov_b64 s[46:47], -1
	s_cbranch_scc0 .LBB102_259
; %bb.256:
	s_cmp_eq_u32 s50, 15
	s_mov_b64 s[42:43], -1
	s_cbranch_scc0 .LBB102_258
; %bb.257:
	global_store_short v[10:11], v15, off
	s_mov_b64 s[44:45], -1
	s_mov_b64 s[42:43], 0
.LBB102_258:
	s_mov_b64 s[46:47], 0
.LBB102_259:
	s_and_b64 vcc, exec, s[46:47]
	s_cbranch_vccz .LBB102_262
; %bb.260:
	s_cmp_eq_u32 s50, 11
	s_mov_b64 s[42:43], -1
	s_cbranch_scc0 .LBB102_262
; %bb.261:
	s_mov_b64 s[44:45], -1
	s_mov_b64 s[42:43], 0
	global_store_byte v[10:11], v13, off
.LBB102_262:
	s_mov_b64 s[46:47], 0
.LBB102_263:
	s_and_b64 vcc, exec, s[46:47]
	s_cbranch_vccz .LBB102_302
; %bb.264:
	s_and_b32 s46, 0xffff, s49
	s_cmp_lt_i32 s46, 5
	s_mov_b64 s[44:45], -1
	s_cbranch_scc1 .LBB102_285
; %bb.265:
	s_cmp_lt_i32 s46, 8
	s_cbranch_scc1 .LBB102_275
; %bb.266:
	s_cmp_lt_i32 s46, 9
	s_cbranch_scc1 .LBB102_272
; %bb.267:
	s_cmp_gt_i32 s46, 9
	s_cbranch_scc0 .LBB102_269
; %bb.268:
	v_mov_b32_e32 v2, 0
	v_mov_b32_e32 v3, v2
	s_mov_b64 s[44:45], 0
	global_store_dwordx4 v[10:11], v[0:3], off
.LBB102_269:
	s_andn2_b64 vcc, exec, s[44:45]
	s_cbranch_vccnz .LBB102_271
; %bb.270:
	v_mov_b32_e32 v7, 0
	global_store_dwordx2 v[10:11], v[6:7], off
.LBB102_271:
	s_mov_b64 s[44:45], 0
.LBB102_272:
	s_andn2_b64 vcc, exec, s[44:45]
	s_cbranch_vccnz .LBB102_274
; %bb.273:
	v_mov_b32_e32 v2, s52
	global_store_dword v[10:11], v2, off
.LBB102_274:
	s_mov_b64 s[44:45], 0
.LBB102_275:
	s_andn2_b64 vcc, exec, s[44:45]
	s_cbranch_vccnz .LBB102_284
; %bb.276:
	s_cmp_lt_i32 s46, 6
	s_mov_b64 s[44:45], -1
	s_cbranch_scc1 .LBB102_282
; %bb.277:
	s_cmp_gt_i32 s46, 6
	s_cbranch_scc0 .LBB102_279
; %bb.278:
	s_mov_b64 s[44:45], 0
	global_store_dwordx2 v[10:11], v[0:1], off
.LBB102_279:
	s_andn2_b64 vcc, exec, s[44:45]
	s_cbranch_vccnz .LBB102_281
; %bb.280:
	global_store_dword v[10:11], v6, off
.LBB102_281:
	s_mov_b64 s[44:45], 0
.LBB102_282:
	s_andn2_b64 vcc, exec, s[44:45]
	s_cbranch_vccnz .LBB102_284
; %bb.283:
	v_mov_b32_e32 v2, s11
	global_store_short v[10:11], v2, off
.LBB102_284:
	s_mov_b64 s[44:45], 0
.LBB102_285:
	s_andn2_b64 vcc, exec, s[44:45]
	s_cbranch_vccnz .LBB102_301
; %bb.286:
	s_cmp_lt_i32 s46, 2
	s_mov_b64 s[44:45], -1
	s_cbranch_scc1 .LBB102_296
; %bb.287:
	s_cmp_lt_i32 s46, 3
	s_cbranch_scc1 .LBB102_293
; %bb.288:
	s_cmp_gt_i32 s46, 3
	s_cbranch_scc0 .LBB102_290
; %bb.289:
	s_mov_b64 s[44:45], 0
	global_store_dwordx2 v[10:11], v[4:5], off
.LBB102_290:
	s_andn2_b64 vcc, exec, s[44:45]
	s_cbranch_vccnz .LBB102_292
; %bb.291:
	global_store_dword v[10:11], v4, off
.LBB102_292:
	s_mov_b64 s[44:45], 0
.LBB102_293:
	s_andn2_b64 vcc, exec, s[44:45]
	s_cbranch_vccnz .LBB102_295
; %bb.294:
	global_store_short v[10:11], v12, off
.LBB102_295:
	s_mov_b64 s[44:45], 0
.LBB102_296:
	s_andn2_b64 vcc, exec, s[44:45]
	s_cbranch_vccnz .LBB102_301
; %bb.297:
	s_cmp_gt_i32 s46, 0
	s_mov_b64 s[44:45], -1
	s_cbranch_scc0 .LBB102_299
; %bb.298:
	s_mov_b64 s[44:45], 0
	global_store_byte v[10:11], v12, off
.LBB102_299:
	s_andn2_b64 vcc, exec, s[44:45]
	s_cbranch_vccnz .LBB102_301
; %bb.300:
	global_store_byte v[10:11], v4, off
.LBB102_301:
	s_mov_b64 s[44:45], -1
.LBB102_302:
	s_andn2_b64 vcc, exec, s[44:45]
	s_cbranch_vccnz .LBB102_304
; %bb.303:
	v_add_u32_e32 v20, 0x80, v20
	s_mov_b64 s[44:45], -1
	s_branch .LBB102_305
.LBB102_304:
	s_mov_b64 s[44:45], 0
                                        ; implicit-def: $vgpr20
.LBB102_305:
	s_andn2_b64 s[46:47], s[36:37], exec
	s_and_b64 s[42:43], s[42:43], exec
	s_or_b64 s[42:43], s[46:47], s[42:43]
	s_orn2_b64 s[46:47], s[44:45], exec
.LBB102_306:
	s_or_b64 exec, exec, s[40:41]
	s_mov_b64 s[44:45], 0
	s_mov_b64 s[50:51], 0
                                        ; implicit-def: $sgpr61
                                        ; implicit-def: $vgpr10_vgpr11
	s_and_saveexec_b64 s[40:41], s[46:47]
	s_cbranch_execz .LBB102_362
; %bb.307:
	v_cmp_gt_i32_e32 vcc, s48, v20
	s_mov_b64 s[48:49], 0
	s_mov_b64 s[46:47], s[42:43]
                                        ; implicit-def: $sgpr61
                                        ; implicit-def: $vgpr10_vgpr11
	s_and_saveexec_b64 s[44:45], vcc
	s_cbranch_execz .LBB102_361
; %bb.308:
	v_mul_lo_u32 v2, v20, s10
	v_mov_b32_e32 v3, s9
	s_and_b32 s61, s33, 0xff
	s_cmp_lt_i32 s61, 11
	v_ashrrev_i32_e32 v7, 31, v2
	v_add_co_u32_e32 v10, vcc, s8, v2
	v_addc_co_u32_e32 v11, vcc, v3, v7, vcc
	s_cbranch_scc1 .LBB102_358
; %bb.309:
	s_and_b32 s50, 0xffff, s61
	s_mov_b64 s[48:49], -1
	s_cmp_gt_i32 s50, 25
	s_mov_b64 s[46:47], s[42:43]
	s_cbranch_scc0 .LBB102_337
; %bb.310:
	s_cmp_gt_i32 s50, 28
	s_mov_b64 s[46:47], s[42:43]
	s_cbranch_scc0 .LBB102_324
; %bb.311:
	;; [unrolled: 4-line block ×4, first 2 shown]
	s_cmp_eq_u32 s50, 46
	s_mov_b64 s[46:47], -1
	s_cbranch_scc0 .LBB102_315
; %bb.314:
	global_store_dword v[10:11], v15, off
	s_mov_b64 s[46:47], 0
.LBB102_315:
	s_mov_b64 s[48:49], 0
.LBB102_316:
	s_and_b64 vcc, exec, s[48:49]
	s_cbranch_vccz .LBB102_319
; %bb.317:
	s_cmp_eq_u32 s50, 44
	s_mov_b64 s[46:47], -1
	s_cbranch_scc0 .LBB102_319
; %bb.318:
	v_mov_b32_e32 v2, 0xffff
	v_cndmask_b32_e64 v2, v19, v2, s[4:5]
	global_store_byte v[10:11], v2, off
	s_mov_b64 s[46:47], 0
.LBB102_319:
	s_mov_b64 s[48:49], 0
.LBB102_320:
	s_and_b64 vcc, exec, s[48:49]
	s_cbranch_vccz .LBB102_323
; %bb.321:
	s_cmp_eq_u32 s50, 29
	s_mov_b64 s[46:47], -1
	s_cbranch_scc0 .LBB102_323
; %bb.322:
	global_store_dwordx2 v[10:11], v[8:9], off
	s_mov_b64 s[46:47], 0
.LBB102_323:
	s_mov_b64 s[48:49], 0
.LBB102_324:
	s_and_b64 vcc, exec, s[48:49]
	s_cbranch_vccz .LBB102_336
; %bb.325:
	s_cmp_lt_i32 s50, 27
	s_mov_b64 s[4:5], -1
	s_cbranch_scc1 .LBB102_331
; %bb.326:
	s_cmp_gt_i32 s50, 27
	s_cbranch_scc0 .LBB102_328
; %bb.327:
	s_mov_b64 s[4:5], 0
	global_store_dword v[10:11], v8, off
.LBB102_328:
	s_andn2_b64 vcc, exec, s[4:5]
	s_cbranch_vccnz .LBB102_330
; %bb.329:
	global_store_short v[10:11], v18, off
.LBB102_330:
	s_mov_b64 s[4:5], 0
.LBB102_331:
	s_andn2_b64 vcc, exec, s[4:5]
	s_cbranch_vccnz .LBB102_336
; %bb.332:
	s_andn2_b64 vcc, exec, s[26:27]
	v_mov_b32_e32 v2, 0x80
	s_cbranch_vccnz .LBB102_335
; %bb.333:
	s_or_b64 s[4:5], s[2:3], s[28:29]
	s_andn2_b64 vcc, exec, s[4:5]
	v_mov_b32_e32 v2, 0
	s_cbranch_vccnz .LBB102_335
; %bb.334:
	v_mov_b32_e32 v2, s60
	v_cndmask_b32_e64 v2, v17, v2, s[2:3]
	v_or_b32_e32 v2, v2, v14
.LBB102_335:
	global_store_byte v[10:11], v2, off
.LBB102_336:
	s_mov_b64 s[48:49], 0
.LBB102_337:
	s_mov_b64 s[2:3], 0
	s_and_b64 vcc, exec, s[48:49]
	s_cbranch_vccz .LBB102_359
; %bb.338:
	s_cmp_gt_i32 s50, 22
	s_mov_b64 s[4:5], -1
	s_cbranch_scc0 .LBB102_351
; %bb.339:
	s_cmp_lt_i32 s50, 24
	s_cbranch_scc1 .LBB102_348
; %bb.340:
	s_cmp_gt_i32 s50, 24
	s_cbranch_scc0 .LBB102_345
; %bb.341:
	s_andn2_b64 vcc, exec, s[22:23]
	v_mov_b32_e32 v2, 0x80
	s_cbranch_vccnz .LBB102_344
; %bb.342:
	s_or_b64 s[4:5], s[0:1], s[24:25]
	s_andn2_b64 vcc, exec, s[4:5]
	v_mov_b32_e32 v2, 0
	s_cbranch_vccnz .LBB102_344
; %bb.343:
	v_mov_b32_e32 v2, s58
	v_cndmask_b32_e64 v2, v16, v2, s[0:1]
	v_or_b32_e32 v2, v2, v14
.LBB102_344:
	s_mov_b64 s[4:5], 0
	global_store_byte v[10:11], v2, off
.LBB102_345:
	s_and_b64 vcc, exec, s[4:5]
	s_cbranch_vccz .LBB102_347
; %bb.346:
	s_and_b64 s[0:1], s[20:21], exec
	s_cselect_b32 s4, s57, s56
	s_and_b64 s[0:1], s[18:19], exec
	s_cselect_b32 s0, s59, s4
	v_or_b32_e32 v2, s0, v14
	global_store_byte v[10:11], v2, off
.LBB102_347:
	s_mov_b64 s[4:5], 0
.LBB102_348:
	s_andn2_b64 vcc, exec, s[4:5]
	s_cbranch_vccnz .LBB102_350
; %bb.349:
	s_and_b64 s[0:1], s[16:17], exec
	s_cselect_b32 s4, s54, s53
	s_and_b64 s[0:1], s[14:15], exec
	s_cselect_b32 s0, s55, s4
	v_or_b32_e32 v2, s0, v14
	global_store_byte v[10:11], v2, off
.LBB102_350:
	s_mov_b64 s[4:5], 0
.LBB102_351:
	s_andn2_b64 vcc, exec, s[4:5]
	s_mov_b64 s[0:1], 0
	s_cbranch_vccnz .LBB102_360
; %bb.352:
	s_cmp_gt_i32 s50, 14
	s_mov_b64 s[4:5], -1
	s_cbranch_scc0 .LBB102_356
; %bb.353:
	s_cmp_eq_u32 s50, 15
	s_mov_b64 s[46:47], -1
	s_cbranch_scc0 .LBB102_355
; %bb.354:
	global_store_short v[10:11], v15, off
	s_mov_b64 s[46:47], 0
.LBB102_355:
	s_mov_b64 s[4:5], 0
.LBB102_356:
	s_and_b64 vcc, exec, s[4:5]
	s_cbranch_vccz .LBB102_360
; %bb.357:
	s_cmp_lg_u32 s50, 11
	s_cselect_b64 s[4:5], -1, 0
	s_andn2_b64 s[14:15], s[46:47], exec
	s_and_b64 s[4:5], s[4:5], exec
	s_mov_b64 s[0:1], -1
	s_or_b64 s[46:47], s[14:15], s[4:5]
	s_branch .LBB102_360
.LBB102_358:
	s_mov_b64 s[0:1], 0
	s_mov_b64 s[2:3], -1
	s_mov_b64 s[46:47], s[42:43]
	s_branch .LBB102_360
.LBB102_359:
	s_mov_b64 s[0:1], 0
.LBB102_360:
	s_and_b64 s[50:51], s[2:3], exec
	s_and_b64 s[48:49], s[0:1], exec
	s_andn2_b64 s[0:1], s[42:43], exec
	s_and_b64 s[2:3], s[46:47], exec
	s_or_b64 s[46:47], s[0:1], s[2:3]
.LBB102_361:
	s_or_b64 exec, exec, s[44:45]
	s_andn2_b64 s[0:1], s[42:43], exec
	s_and_b64 s[2:3], s[46:47], exec
	s_and_b64 s[50:51], s[50:51], exec
	;; [unrolled: 1-line block ×3, first 2 shown]
	s_or_b64 s[42:43], s[0:1], s[2:3]
.LBB102_362:
	s_or_b64 exec, exec, s[40:41]
	s_andn2_b64 s[0:1], s[36:37], exec
	s_and_b64 s[2:3], s[42:43], exec
	s_and_b64 s[40:41], s[50:51], exec
	;; [unrolled: 1-line block ×3, first 2 shown]
	s_or_b64 s[36:37], s[0:1], s[2:3]
.LBB102_363:
	s_or_b64 exec, exec, s[38:39]
	s_andn2_b64 s[0:1], s[30:31], exec
	s_and_b64 s[2:3], s[36:37], exec
	s_and_b64 s[40:41], s[40:41], exec
	;; [unrolled: 1-line block ×3, first 2 shown]
	s_or_b64 s[30:31], s[0:1], s[2:3]
	s_or_b64 exec, exec, s[34:35]
	s_mov_b64 s[0:1], 0
	s_and_saveexec_b64 s[2:3], s[30:31]
	s_cbranch_execz .LBB102_110
.LBB102_364:
	s_mov_b64 s[0:1], exec
	s_andn2_b64 s[38:39], s[38:39], exec
	s_trap 2
	s_or_b64 exec, exec, s[2:3]
	s_and_saveexec_b64 s[2:3], s[38:39]
	s_xor_b64 s[2:3], exec, s[2:3]
	s_cbranch_execnz .LBB102_111
.LBB102_365:
	s_or_b64 exec, exec, s[2:3]
	s_and_saveexec_b64 s[2:3], s[40:41]
	s_xor_b64 s[2:3], exec, s[2:3]
	s_cbranch_execz .LBB102_403
.LBB102_366:
	s_sext_i32_i16 s14, s61
	s_cmp_lt_i32 s14, 5
	s_mov_b64 s[4:5], -1
	s_cbranch_scc1 .LBB102_387
; %bb.367:
	s_cmp_lt_i32 s14, 8
	s_cbranch_scc1 .LBB102_377
; %bb.368:
	s_cmp_lt_i32 s14, 9
	s_cbranch_scc1 .LBB102_374
; %bb.369:
	s_cmp_gt_i32 s14, 9
	s_cbranch_scc0 .LBB102_371
; %bb.370:
	v_mov_b32_e32 v2, 0
	v_mov_b32_e32 v3, v2
	s_mov_b64 s[4:5], 0
	global_store_dwordx4 v[10:11], v[0:3], off
.LBB102_371:
	s_andn2_b64 vcc, exec, s[4:5]
	s_cbranch_vccnz .LBB102_373
; %bb.372:
	v_mov_b32_e32 v7, 0
	global_store_dwordx2 v[10:11], v[6:7], off
.LBB102_373:
	s_mov_b64 s[4:5], 0
.LBB102_374:
	s_andn2_b64 vcc, exec, s[4:5]
	s_cbranch_vccnz .LBB102_376
; %bb.375:
	v_mov_b32_e32 v2, s52
	global_store_dword v[10:11], v2, off
.LBB102_376:
	s_mov_b64 s[4:5], 0
.LBB102_377:
	s_andn2_b64 vcc, exec, s[4:5]
	s_cbranch_vccnz .LBB102_386
; %bb.378:
	s_sext_i32_i16 s14, s61
	s_cmp_lt_i32 s14, 6
	s_mov_b64 s[4:5], -1
	s_cbranch_scc1 .LBB102_384
; %bb.379:
	s_cmp_gt_i32 s14, 6
	s_cbranch_scc0 .LBB102_381
; %bb.380:
	s_mov_b64 s[4:5], 0
	global_store_dwordx2 v[10:11], v[0:1], off
.LBB102_381:
	s_andn2_b64 vcc, exec, s[4:5]
	s_cbranch_vccnz .LBB102_383
; %bb.382:
	global_store_dword v[10:11], v6, off
.LBB102_383:
	s_mov_b64 s[4:5], 0
.LBB102_384:
	s_andn2_b64 vcc, exec, s[4:5]
	s_cbranch_vccnz .LBB102_386
; %bb.385:
	v_mov_b32_e32 v0, s11
	global_store_short v[10:11], v0, off
.LBB102_386:
	s_mov_b64 s[4:5], 0
.LBB102_387:
	s_andn2_b64 vcc, exec, s[4:5]
	s_cbranch_vccnz .LBB102_403
; %bb.388:
	s_sext_i32_i16 s14, s61
	s_cmp_lt_i32 s14, 2
	s_mov_b64 s[4:5], -1
	s_cbranch_scc1 .LBB102_398
; %bb.389:
	s_cmp_lt_i32 s14, 3
	s_cbranch_scc1 .LBB102_395
; %bb.390:
	s_cmp_gt_i32 s14, 3
	s_cbranch_scc0 .LBB102_392
; %bb.391:
	s_mov_b64 s[4:5], 0
	global_store_dwordx2 v[10:11], v[4:5], off
.LBB102_392:
	s_andn2_b64 vcc, exec, s[4:5]
	s_cbranch_vccnz .LBB102_394
; %bb.393:
	global_store_dword v[10:11], v4, off
.LBB102_394:
	s_mov_b64 s[4:5], 0
.LBB102_395:
	s_andn2_b64 vcc, exec, s[4:5]
	s_cbranch_vccnz .LBB102_397
; %bb.396:
	global_store_short v[10:11], v12, off
.LBB102_397:
	s_mov_b64 s[4:5], 0
.LBB102_398:
	s_andn2_b64 vcc, exec, s[4:5]
	s_cbranch_vccnz .LBB102_403
; %bb.399:
	s_sext_i32_i16 s4, s61
	s_cmp_gt_i32 s4, 0
	s_mov_b64 s[4:5], -1
	s_cbranch_scc0 .LBB102_401
; %bb.400:
	s_mov_b64 s[4:5], 0
	global_store_byte v[10:11], v12, off
.LBB102_401:
	s_andn2_b64 vcc, exec, s[4:5]
	s_cbranch_vccnz .LBB102_403
; %bb.402:
	global_store_byte v[10:11], v4, off
.LBB102_403:
	s_or_b64 exec, exec, s[2:3]
	s_and_b64 s[0:1], s[0:1], exec
                                        ; implicit-def: $vgpr20
.LBB102_404:
	s_or_saveexec_b64 s[2:3], s[12:13]
	s_mov_b64 s[12:13], 0
                                        ; implicit-def: $sgpr18
                                        ; implicit-def: $vgpr0_vgpr1
	s_xor_b64 exec, exec, s[2:3]
	s_cbranch_execz .LBB102_433
; %bb.405:
	v_mul_lo_u32 v2, s10, v20
	v_mov_b32_e32 v1, s9
	s_and_b32 s18, s33, 0xff
	s_cmp_lt_i32 s18, 11
	v_ashrrev_i32_e32 v3, 31, v2
	v_add_co_u32_e32 v0, vcc, s8, v2
	v_addc_co_u32_e32 v1, vcc, v1, v3, vcc
	s_cbranch_scc1 .LBB102_436
; %bb.406:
	s_and_b32 s16, 0xffff, s18
	s_mov_b64 s[14:15], -1
	s_cmp_gt_i32 s16, 25
	s_mov_b64 s[4:5], 0
	s_cbranch_scc0 .LBB102_446
; %bb.407:
	s_cmp_gt_i32 s16, 28
	s_cbranch_scc0 .LBB102_422
; %bb.408:
	s_cmp_gt_i32 s16, 43
	;; [unrolled: 3-line block ×3, first 2 shown]
	s_cbranch_scc0 .LBB102_412
; %bb.410:
	s_mov_b64 s[4:5], -1
	s_mov_b64 s[14:15], 0
	s_cmp_eq_u32 s16, 46
	s_cbranch_scc0 .LBB102_412
; %bb.411:
	v_cvt_f32_f16_e32 v3, s11
	v_cmp_o_f16_e64 vcc, s11, s11
	v_mov_b32_e32 v4, 0x7fc0
	s_mov_b64 s[4:5], 0
	v_bfe_u32 v5, v3, 16, 1
	v_add_u32_e32 v3, v3, v5
	v_add_u32_e32 v3, 0x7fff, v3
	v_cndmask_b32_sdwa v3, v4, v3, vcc dst_sel:DWORD dst_unused:UNUSED_PAD src0_sel:DWORD src1_sel:WORD_1
	global_store_dword v[0:1], v3, off
	s_mov_b64 s[12:13], -1
.LBB102_412:
	s_and_b64 vcc, exec, s[14:15]
	s_cbranch_vccz .LBB102_417
; %bb.413:
	s_cmp_eq_u32 s16, 44
	s_mov_b64 s[4:5], -1
	s_cbranch_scc0 .LBB102_417
; %bb.414:
	v_cvt_f32_f16_e32 v3, s11
	v_mov_b32_e32 v4, 0xff
	v_readfirstlane_b32 s4, v3
	s_bfe_u32 s5, s4, 0x80017
	s_cmpk_eq_i32 s5, 0xff
	s_cbranch_scc1 .LBB102_416
; %bb.415:
	s_bitcmp1_b32 s4, 22
	s_cselect_b64 s[12:13], -1, 0
	s_and_b32 s4, s4, 0x3fffff
	s_or_b32 s4, s5, s4
	s_cmp_lg_u32 s4, 0
	s_cselect_b64 s[4:5], -1, 0
	s_and_b64 s[4:5], s[12:13], s[4:5]
	v_lshrrev_b32_e32 v3, 23, v3
	v_cndmask_b32_e64 v4, 0, 1, s[4:5]
	v_add_u32_e32 v4, v3, v4
.LBB102_416:
	s_mov_b64 s[4:5], 0
	s_mov_b64 s[12:13], -1
	global_store_byte v[0:1], v4, off
.LBB102_417:
	s_mov_b64 s[14:15], 0
.LBB102_418:
	s_and_b64 vcc, exec, s[14:15]
	s_cbranch_vccz .LBB102_421
; %bb.419:
	s_cmp_eq_u32 s16, 29
	s_mov_b64 s[4:5], -1
	s_cbranch_scc0 .LBB102_421
; %bb.420:
	v_cvt_f32_f16_e32 v3, s11
	v_mov_b32_e32 v4, 0
	s_mov_b64 s[4:5], 0
	s_mov_b64 s[12:13], -1
	v_cvt_u32_f32_e32 v3, v3
	global_store_dwordx2 v[0:1], v[3:4], off
.LBB102_421:
	s_mov_b64 s[14:15], 0
.LBB102_422:
	s_and_b64 vcc, exec, s[14:15]
	s_cbranch_vccz .LBB102_445
; %bb.423:
	s_cmp_lt_i32 s16, 27
	s_mov_b64 s[12:13], -1
	s_cbranch_scc1 .LBB102_429
; %bb.424:
	s_cmp_gt_i32 s16, 27
	s_cbranch_scc0 .LBB102_426
; %bb.425:
	v_cvt_f32_f16_e32 v3, s11
	s_mov_b64 s[12:13], 0
	v_cvt_u32_f32_e32 v3, v3
	global_store_dword v[0:1], v3, off
.LBB102_426:
	s_andn2_b64 vcc, exec, s[12:13]
	s_cbranch_vccnz .LBB102_428
; %bb.427:
	v_cvt_u16_f16_e32 v3, s11
	global_store_short v[0:1], v3, off
.LBB102_428:
	s_mov_b64 s[12:13], 0
.LBB102_429:
	s_andn2_b64 vcc, exec, s[12:13]
	s_cbranch_vccnz .LBB102_444
; %bb.430:
	v_cvt_f32_f16_e32 v3, s11
	v_mov_b32_e32 v4, 0x80
	v_readfirstlane_b32 s17, v3
	s_and_b32 s12, s17, 0x7fffffff
	s_cmp_gt_u32 s12, 0x437fffff
	s_cbranch_scc1 .LBB102_443
; %bb.431:
	s_cmp_gt_u32 s12, 0x3bffffff
	s_cbranch_scc0 .LBB102_438
; %bb.432:
	s_bfe_u32 s12, s17, 0x10014
	s_add_i32 s12, s17, s12
	s_add_i32 s12, s12, 0x487ffff
	s_lshr_b32 s19, s12, 20
	s_mov_b64 s[14:15], 0
	s_mov_b64 s[12:13], -1
	s_branch .LBB102_439
.LBB102_433:
	s_or_b64 exec, exec, s[2:3]
	s_and_saveexec_b64 s[2:3], s[0:1]
	s_cbranch_execz .LBB102_834
.LBB102_434:
	; divergent unreachable
	s_or_b64 exec, exec, s[2:3]
	s_and_saveexec_b64 s[0:1], s[6:7]
	s_xor_b64 s[0:1], exec, s[0:1]
	s_cbranch_execnz .LBB102_835
.LBB102_435:
	s_or_b64 exec, exec, s[0:1]
	s_and_saveexec_b64 s[0:1], s[12:13]
	s_cbranch_execnz .LBB102_836
	s_branch .LBB102_873
.LBB102_436:
	s_mov_b64 s[4:5], s[0:1]
	s_cbranch_execnz .LBB102_496
.LBB102_437:
	s_andn2_b64 vcc, exec, s[12:13]
	s_cbranch_vccz .LBB102_534
	s_branch .LBB102_832
.LBB102_438:
	s_mov_b64 s[14:15], -1
	s_mov_b64 s[12:13], 0
                                        ; implicit-def: $sgpr19
.LBB102_439:
	s_andn2_b64 vcc, exec, s[14:15]
	v_mov_b32_e32 v3, s19
	s_cbranch_vccnz .LBB102_441
; %bb.440:
	v_mov_b32_e32 v3, 0x46000000
	v_add_f32_e64 v3, |s17|, v3
	v_and_b32_e32 v3, 0xff, v3
	v_cmp_ne_u32_e64 s[12:13], 0, v3
.LBB102_441:
	s_andn2_b64 vcc, exec, s[12:13]
	v_mov_b32_e32 v4, 0
	s_cbranch_vccnz .LBB102_443
; %bb.442:
	s_lshr_b32 s12, s17, 24
	s_and_b32 s12, s12, 0x80
	v_or_b32_e32 v4, s12, v3
.LBB102_443:
	global_store_byte v[0:1], v4, off
.LBB102_444:
	s_mov_b64 s[12:13], -1
.LBB102_445:
	s_mov_b64 s[14:15], 0
.LBB102_446:
	s_and_b64 vcc, exec, s[14:15]
	s_cbranch_vccz .LBB102_492
; %bb.447:
	s_cmp_gt_i32 s16, 22
	s_mov_b64 s[6:7], -1
	s_cbranch_scc0 .LBB102_485
; %bb.448:
	s_cmp_lt_i32 s16, 24
	s_cbranch_scc1 .LBB102_472
; %bb.449:
	s_cmp_gt_i32 s16, 24
	s_cbranch_scc0 .LBB102_459
; %bb.450:
	v_cvt_f32_f16_e32 v3, s11
	v_mov_b32_e32 v4, 0x80
	v_readfirstlane_b32 s14, v3
	s_and_b32 s6, s14, 0x7fffffff
	s_cmp_gt_u32 s6, 0x477fffff
	s_cbranch_scc1 .LBB102_458
; %bb.451:
	s_cmp_gt_u32 s6, 0x37ffffff
	s_cbranch_scc0 .LBB102_453
; %bb.452:
	s_bfe_u32 s6, s14, 0x10015
	s_add_i32 s6, s14, s6
	s_add_i32 s6, s6, 0x88fffff
	s_lshr_b32 s15, s6, 21
	s_mov_b64 s[12:13], 0
	s_mov_b64 s[6:7], -1
	s_branch .LBB102_454
.LBB102_453:
	s_mov_b64 s[12:13], -1
	s_mov_b64 s[6:7], 0
                                        ; implicit-def: $sgpr15
.LBB102_454:
	s_andn2_b64 vcc, exec, s[12:13]
	v_mov_b32_e32 v3, s15
	s_cbranch_vccnz .LBB102_456
; %bb.455:
	v_mov_b32_e32 v3, 0x42800000
	v_add_f32_e64 v3, |s14|, v3
	v_and_b32_e32 v3, 0xff, v3
	v_cmp_ne_u32_e64 s[6:7], 0, v3
.LBB102_456:
	s_andn2_b64 vcc, exec, s[6:7]
	v_mov_b32_e32 v4, 0
	s_cbranch_vccnz .LBB102_458
; %bb.457:
	s_lshr_b32 s6, s14, 24
	s_and_b32 s6, s6, 0x80
	v_or_b32_e32 v4, s6, v3
.LBB102_458:
	s_mov_b64 s[6:7], 0
	global_store_byte v[0:1], v4, off
.LBB102_459:
	s_and_b64 vcc, exec, s[6:7]
	s_cbranch_vccz .LBB102_471
; %bb.460:
	v_cvt_f32_f16_e32 v3, s11
	v_readfirstlane_b32 s12, v3
	s_and_b32 s13, s12, 0x7fffffff
	s_cmp_lt_u32 s13, 0x43f00000
	s_cbranch_scc0 .LBB102_463
; %bb.461:
	s_cmp_gt_u32 s13, 0x3c7fffff
	s_cbranch_scc0 .LBB102_464
; %bb.462:
	s_bfe_u32 s6, s12, 0x10014
	s_add_i32 s6, s12, s6
	s_add_i32 s6, s6, 0x407ffff
	s_lshr_b32 s7, s6, 20
	s_and_b32 s6, s6, 0xff00000
	s_cmp_lg_u32 s6, 0x7f00000
	s_cselect_b32 s14, s7, 0x7e
	s_mov_b64 s[6:7], 0
	s_branch .LBB102_465
.LBB102_463:
	s_mov_b64 s[6:7], -1
                                        ; implicit-def: $vgpr4
	s_branch .LBB102_468
.LBB102_464:
	s_mov_b64 s[6:7], -1
                                        ; implicit-def: $sgpr14
.LBB102_465:
	s_andn2_b64 vcc, exec, s[6:7]
	v_mov_b32_e32 v4, s14
	s_cbranch_vccnz .LBB102_467
; %bb.466:
	s_mov_b32 s6, 0x46800000
	v_add_f32_e64 v4, |v3|, s6
.LBB102_467:
	s_mov_b64 s[6:7], 0
.LBB102_468:
	s_andn2_b64 vcc, exec, s[6:7]
	s_cbranch_vccnz .LBB102_470
; %bb.469:
	s_cmp_gt_u32 s13, 0x7f800000
	s_movk_i32 s6, 0x7f
	s_cselect_b32 s6, s6, 0x7e
	v_mov_b32_e32 v4, s6
.LBB102_470:
	s_lshr_b32 s6, s12, 24
	s_and_b32 s6, s6, 0x80
	v_or_b32_e32 v3, s6, v4
	global_store_byte v[0:1], v3, off
.LBB102_471:
	s_mov_b64 s[6:7], 0
.LBB102_472:
	s_andn2_b64 vcc, exec, s[6:7]
	s_cbranch_vccnz .LBB102_484
; %bb.473:
	v_cvt_f32_f16_e32 v3, s11
	v_readfirstlane_b32 s12, v3
	s_and_b32 s13, s12, 0x7fffffff
	s_cmp_lt_u32 s13, 0x47800000
	s_cbranch_scc0 .LBB102_476
; %bb.474:
	s_cmp_gt_u32 s13, 0x387fffff
	s_cbranch_scc0 .LBB102_477
; %bb.475:
	s_bfe_u32 s6, s12, 0x10015
	s_add_i32 s6, s12, s6
	s_add_i32 s6, s6, 0x80fffff
	s_lshr_b32 s14, s6, 21
	s_mov_b64 s[6:7], 0
	s_branch .LBB102_478
.LBB102_476:
	s_mov_b64 s[6:7], -1
                                        ; implicit-def: $vgpr4
	s_branch .LBB102_481
.LBB102_477:
	s_mov_b64 s[6:7], -1
                                        ; implicit-def: $sgpr14
.LBB102_478:
	s_andn2_b64 vcc, exec, s[6:7]
	v_mov_b32_e32 v4, s14
	s_cbranch_vccnz .LBB102_480
; %bb.479:
	s_mov_b32 s6, 0x43000000
	v_add_f32_e64 v4, |v3|, s6
.LBB102_480:
	s_mov_b64 s[6:7], 0
.LBB102_481:
	s_andn2_b64 vcc, exec, s[6:7]
	s_cbranch_vccnz .LBB102_483
; %bb.482:
	s_cmp_gt_u32 s13, 0x7f800000
	s_movk_i32 s6, 0x7f
	s_cselect_b32 s6, s6, 0x7c
	v_mov_b32_e32 v4, s6
.LBB102_483:
	s_lshr_b32 s6, s12, 24
	s_and_b32 s6, s6, 0x80
	v_or_b32_e32 v3, s6, v4
	global_store_byte v[0:1], v3, off
.LBB102_484:
	s_mov_b64 s[6:7], 0
	s_mov_b64 s[12:13], -1
.LBB102_485:
	s_andn2_b64 vcc, exec, s[6:7]
	s_mov_b64 s[6:7], 0
	s_cbranch_vccnz .LBB102_492
; %bb.486:
	s_cmp_gt_i32 s16, 14
	s_mov_b64 s[14:15], -1
	s_cbranch_scc0 .LBB102_490
; %bb.487:
	s_cmp_eq_u32 s16, 15
	s_mov_b64 s[4:5], -1
	s_cbranch_scc0 .LBB102_489
; %bb.488:
	v_cvt_f32_f16_e32 v3, s11
	v_cmp_o_f16_e64 vcc, s11, s11
	v_mov_b32_e32 v4, 0x7fc0
	s_mov_b64 s[4:5], 0
	v_bfe_u32 v5, v3, 16, 1
	v_add_u32_e32 v3, v3, v5
	v_add_u32_e32 v3, 0x7fff, v3
	v_cndmask_b32_sdwa v3, v4, v3, vcc dst_sel:DWORD dst_unused:UNUSED_PAD src0_sel:DWORD src1_sel:WORD_1
	global_store_short v[0:1], v3, off
	s_mov_b64 s[12:13], -1
.LBB102_489:
	s_mov_b64 s[14:15], 0
.LBB102_490:
	s_and_b64 vcc, exec, s[14:15]
	s_cbranch_vccz .LBB102_492
; %bb.491:
	s_cmp_lg_u32 s16, 11
	s_mov_b64 s[6:7], -1
	s_cselect_b64 s[4:5], -1, 0
.LBB102_492:
	s_and_b64 vcc, exec, s[4:5]
	s_mov_b64 s[4:5], s[0:1]
	s_cbranch_vccnz .LBB102_564
; %bb.493:
	s_andn2_b64 vcc, exec, s[6:7]
	s_cbranch_vccnz .LBB102_495
.LBB102_494:
	s_and_b32 s6, s11, 0x7fff
	s_cmp_lg_u32 s6, 0
	s_cselect_b64 s[6:7], -1, 0
	v_cndmask_b32_e64 v3, 0, 1, s[6:7]
	s_mov_b64 s[12:13], -1
	global_store_byte v[0:1], v3, off
.LBB102_495:
	s_branch .LBB102_437
.LBB102_496:
	s_and_b32 s12, 0xffff, s18
	s_cmp_lt_i32 s12, 5
	s_mov_b64 s[6:7], -1
	s_cbranch_scc1 .LBB102_517
; %bb.497:
	s_cmp_lt_i32 s12, 8
	s_cbranch_scc1 .LBB102_507
; %bb.498:
	s_cmp_lt_i32 s12, 9
	s_cbranch_scc1 .LBB102_504
; %bb.499:
	s_cmp_gt_i32 s12, 9
	s_cbranch_scc0 .LBB102_501
; %bb.500:
	v_cvt_f32_f16_e32 v3, s11
	v_mov_b32_e32 v5, 0
	v_mov_b32_e32 v6, v5
	s_mov_b64 s[6:7], 0
	v_cvt_f64_f32_e32 v[3:4], v3
	global_store_dwordx4 v[0:1], v[3:6], off
.LBB102_501:
	s_andn2_b64 vcc, exec, s[6:7]
	s_cbranch_vccnz .LBB102_503
; %bb.502:
	v_cvt_f32_f16_e32 v3, s11
	v_mov_b32_e32 v4, 0
	global_store_dwordx2 v[0:1], v[3:4], off
.LBB102_503:
	s_mov_b64 s[6:7], 0
.LBB102_504:
	s_andn2_b64 vcc, exec, s[6:7]
	s_cbranch_vccnz .LBB102_506
; %bb.505:
	s_and_b32 s6, 0xffff, s11
	v_mov_b32_e32 v3, s6
	global_store_dword v[0:1], v3, off
.LBB102_506:
	s_mov_b64 s[6:7], 0
.LBB102_507:
	s_andn2_b64 vcc, exec, s[6:7]
	s_cbranch_vccnz .LBB102_516
; %bb.508:
	s_cmp_lt_i32 s12, 6
	s_mov_b64 s[6:7], -1
	s_cbranch_scc1 .LBB102_514
; %bb.509:
	s_cmp_gt_i32 s12, 6
	s_cbranch_scc0 .LBB102_511
; %bb.510:
	v_cvt_f32_f16_e32 v3, s11
	s_mov_b64 s[6:7], 0
	v_cvt_f64_f32_e32 v[3:4], v3
	global_store_dwordx2 v[0:1], v[3:4], off
.LBB102_511:
	s_andn2_b64 vcc, exec, s[6:7]
	s_cbranch_vccnz .LBB102_513
; %bb.512:
	v_cvt_f32_f16_e32 v3, s11
	global_store_dword v[0:1], v3, off
.LBB102_513:
	s_mov_b64 s[6:7], 0
.LBB102_514:
	s_andn2_b64 vcc, exec, s[6:7]
	s_cbranch_vccnz .LBB102_516
; %bb.515:
	v_mov_b32_e32 v3, s11
	global_store_short v[0:1], v3, off
.LBB102_516:
	s_mov_b64 s[6:7], 0
.LBB102_517:
	s_andn2_b64 vcc, exec, s[6:7]
	s_cbranch_vccnz .LBB102_533
; %bb.518:
	s_cmp_lt_i32 s12, 2
	s_mov_b64 s[6:7], -1
	s_cbranch_scc1 .LBB102_528
; %bb.519:
	s_cmp_lt_i32 s12, 3
	s_cbranch_scc1 .LBB102_525
; %bb.520:
	s_cmp_gt_i32 s12, 3
	s_cbranch_scc0 .LBB102_522
; %bb.521:
	v_cvt_f32_f16_e32 v3, s11
	s_mov_b64 s[6:7], 0
	v_cvt_i32_f32_e32 v3, v3
	v_ashrrev_i32_e32 v4, 31, v3
	global_store_dwordx2 v[0:1], v[3:4], off
.LBB102_522:
	s_andn2_b64 vcc, exec, s[6:7]
	s_cbranch_vccnz .LBB102_524
; %bb.523:
	v_cvt_f32_f16_e32 v3, s11
	v_cvt_i32_f32_e32 v3, v3
	global_store_dword v[0:1], v3, off
.LBB102_524:
	s_mov_b64 s[6:7], 0
.LBB102_525:
	s_andn2_b64 vcc, exec, s[6:7]
	s_cbranch_vccnz .LBB102_527
; %bb.526:
	v_cvt_i16_f16_e32 v3, s11
	global_store_short v[0:1], v3, off
.LBB102_527:
	s_mov_b64 s[6:7], 0
.LBB102_528:
	s_andn2_b64 vcc, exec, s[6:7]
	s_cbranch_vccnz .LBB102_533
; %bb.529:
	s_cmp_gt_i32 s12, 0
	s_mov_b64 s[6:7], -1
	s_cbranch_scc0 .LBB102_531
; %bb.530:
	v_cvt_i16_f16_e32 v3, s11
	global_store_byte v[0:1], v3, off
	s_mov_b64 s[6:7], 0
.LBB102_531:
	s_andn2_b64 vcc, exec, s[6:7]
	s_cbranch_vccnz .LBB102_533
; %bb.532:
	v_cvt_f32_f16_e32 v3, s11
	v_cvt_i32_f32_e32 v3, v3
	global_store_byte v[0:1], v3, off
.LBB102_533:
.LBB102_534:
	s_lshl_b32 s10, s10, 7
	v_add_u32_e32 v2, s10, v2
	v_ashrrev_i32_e32 v1, 31, v2
	v_mov_b32_e32 v3, s9
	v_add_co_u32_e32 v0, vcc, s8, v2
	s_cmp_lt_i32 s18, 11
	v_addc_co_u32_e32 v1, vcc, v3, v1, vcc
	s_cbranch_scc1 .LBB102_562
; %bb.535:
	s_and_b32 s19, 0xffff, s18
	s_mov_b64 s[16:17], -1
	s_mov_b64 s[12:13], 0
	s_cmp_gt_i32 s19, 25
	s_mov_b64 s[14:15], 0
	s_mov_b64 s[6:7], 0
	s_cbranch_scc0 .LBB102_573
; %bb.536:
	s_cmp_gt_i32 s19, 28
	s_cbranch_scc0 .LBB102_551
; %bb.537:
	s_cmp_gt_i32 s19, 43
	;; [unrolled: 3-line block ×3, first 2 shown]
	s_cbranch_scc0 .LBB102_541
; %bb.539:
	s_mov_b64 s[6:7], -1
	s_mov_b64 s[16:17], 0
	s_cmp_eq_u32 s19, 46
	s_cbranch_scc0 .LBB102_541
; %bb.540:
	v_cvt_f32_f16_e32 v3, s11
	v_cmp_o_f16_e64 vcc, s11, s11
	v_mov_b32_e32 v4, 0x7fc0
	s_mov_b64 s[6:7], 0
	v_bfe_u32 v5, v3, 16, 1
	v_add_u32_e32 v3, v3, v5
	v_add_u32_e32 v3, 0x7fff, v3
	v_cndmask_b32_sdwa v3, v4, v3, vcc dst_sel:DWORD dst_unused:UNUSED_PAD src0_sel:DWORD src1_sel:WORD_1
	global_store_dword v[0:1], v3, off
	s_mov_b64 s[14:15], -1
.LBB102_541:
	s_and_b64 vcc, exec, s[16:17]
	s_cbranch_vccz .LBB102_546
; %bb.542:
	s_cmp_eq_u32 s19, 44
	s_mov_b64 s[6:7], -1
	s_cbranch_scc0 .LBB102_546
; %bb.543:
	v_cvt_f32_f16_e32 v3, s11
	v_mov_b32_e32 v4, 0xff
	v_readfirstlane_b32 s6, v3
	s_bfe_u32 s7, s6, 0x80017
	s_cmpk_eq_i32 s7, 0xff
	s_cbranch_scc1 .LBB102_545
; %bb.544:
	s_bitcmp1_b32 s6, 22
	s_cselect_b64 s[14:15], -1, 0
	s_and_b32 s6, s6, 0x3fffff
	s_or_b32 s6, s7, s6
	s_cmp_lg_u32 s6, 0
	s_cselect_b64 s[6:7], -1, 0
	s_and_b64 s[6:7], s[14:15], s[6:7]
	v_lshrrev_b32_e32 v3, 23, v3
	v_cndmask_b32_e64 v4, 0, 1, s[6:7]
	v_add_u32_e32 v4, v3, v4
.LBB102_545:
	s_mov_b64 s[6:7], 0
	s_mov_b64 s[14:15], -1
	global_store_byte v[0:1], v4, off
.LBB102_546:
	s_mov_b64 s[16:17], 0
.LBB102_547:
	s_and_b64 vcc, exec, s[16:17]
	s_cbranch_vccz .LBB102_550
; %bb.548:
	s_cmp_eq_u32 s19, 29
	s_mov_b64 s[6:7], -1
	s_cbranch_scc0 .LBB102_550
; %bb.549:
	v_cvt_f32_f16_e32 v3, s11
	v_mov_b32_e32 v4, 0
	s_mov_b64 s[6:7], 0
	s_mov_b64 s[14:15], -1
	v_cvt_u32_f32_e32 v3, v3
	global_store_dwordx2 v[0:1], v[3:4], off
.LBB102_550:
	s_mov_b64 s[16:17], 0
.LBB102_551:
	s_and_b64 vcc, exec, s[16:17]
	s_cbranch_vccz .LBB102_572
; %bb.552:
	s_cmp_lt_i32 s19, 27
	s_mov_b64 s[14:15], -1
	s_cbranch_scc1 .LBB102_558
; %bb.553:
	s_cmp_gt_i32 s19, 27
	s_cbranch_scc0 .LBB102_555
; %bb.554:
	v_cvt_f32_f16_e32 v3, s11
	s_mov_b64 s[14:15], 0
	v_cvt_u32_f32_e32 v3, v3
	global_store_dword v[0:1], v3, off
.LBB102_555:
	s_andn2_b64 vcc, exec, s[14:15]
	s_cbranch_vccnz .LBB102_557
; %bb.556:
	v_cvt_u16_f16_e32 v3, s11
	global_store_short v[0:1], v3, off
.LBB102_557:
	s_mov_b64 s[14:15], 0
.LBB102_558:
	s_andn2_b64 vcc, exec, s[14:15]
	s_cbranch_vccnz .LBB102_571
; %bb.559:
	v_cvt_f32_f16_e32 v3, s11
	v_mov_b32_e32 v4, 0x80
	v_readfirstlane_b32 s20, v3
	s_and_b32 s14, s20, 0x7fffffff
	s_cmp_gt_u32 s14, 0x437fffff
	s_cbranch_scc1 .LBB102_570
; %bb.560:
	s_cmp_gt_u32 s14, 0x3bffffff
	s_cbranch_scc0 .LBB102_565
; %bb.561:
	s_bfe_u32 s14, s20, 0x10014
	s_add_i32 s14, s20, s14
	s_add_i32 s14, s14, 0x487ffff
	s_lshr_b32 s21, s14, 20
	s_mov_b64 s[16:17], 0
	s_mov_b64 s[14:15], -1
	s_branch .LBB102_566
.LBB102_562:
	s_mov_b64 s[14:15], 0
	s_cbranch_execnz .LBB102_623
.LBB102_563:
	s_andn2_b64 vcc, exec, s[14:15]
	s_cbranch_vccz .LBB102_661
	s_branch .LBB102_832
.LBB102_564:
	s_or_b64 s[4:5], s[0:1], exec
	s_trap 2
	s_cbranch_execz .LBB102_494
	s_branch .LBB102_495
.LBB102_565:
	s_mov_b64 s[16:17], -1
	s_mov_b64 s[14:15], 0
                                        ; implicit-def: $sgpr21
.LBB102_566:
	s_andn2_b64 vcc, exec, s[16:17]
	v_mov_b32_e32 v3, s21
	s_cbranch_vccnz .LBB102_568
; %bb.567:
	v_mov_b32_e32 v3, 0x46000000
	v_add_f32_e64 v3, |s20|, v3
	v_and_b32_e32 v3, 0xff, v3
	v_cmp_ne_u32_e64 s[14:15], 0, v3
.LBB102_568:
	s_andn2_b64 vcc, exec, s[14:15]
	v_mov_b32_e32 v4, 0
	s_cbranch_vccnz .LBB102_570
; %bb.569:
	s_lshr_b32 s14, s20, 24
	s_and_b32 s14, s14, 0x80
	v_or_b32_e32 v4, s14, v3
.LBB102_570:
	global_store_byte v[0:1], v4, off
.LBB102_571:
	s_mov_b64 s[14:15], -1
.LBB102_572:
	s_mov_b64 s[16:17], 0
.LBB102_573:
	s_and_b64 vcc, exec, s[16:17]
	s_cbranch_vccz .LBB102_619
; %bb.574:
	s_cmp_gt_i32 s19, 22
	s_mov_b64 s[12:13], -1
	s_cbranch_scc0 .LBB102_612
; %bb.575:
	s_cmp_lt_i32 s19, 24
	s_cbranch_scc1 .LBB102_599
; %bb.576:
	s_cmp_gt_i32 s19, 24
	s_cbranch_scc0 .LBB102_586
; %bb.577:
	v_cvt_f32_f16_e32 v3, s11
	v_mov_b32_e32 v4, 0x80
	v_readfirstlane_b32 s16, v3
	s_and_b32 s12, s16, 0x7fffffff
	s_cmp_gt_u32 s12, 0x477fffff
	s_cbranch_scc1 .LBB102_585
; %bb.578:
	s_cmp_gt_u32 s12, 0x37ffffff
	s_cbranch_scc0 .LBB102_580
; %bb.579:
	s_bfe_u32 s12, s16, 0x10015
	s_add_i32 s12, s16, s12
	s_add_i32 s12, s12, 0x88fffff
	s_lshr_b32 s17, s12, 21
	s_mov_b64 s[14:15], 0
	s_mov_b64 s[12:13], -1
	s_branch .LBB102_581
.LBB102_580:
	s_mov_b64 s[14:15], -1
	s_mov_b64 s[12:13], 0
                                        ; implicit-def: $sgpr17
.LBB102_581:
	s_andn2_b64 vcc, exec, s[14:15]
	v_mov_b32_e32 v3, s17
	s_cbranch_vccnz .LBB102_583
; %bb.582:
	v_mov_b32_e32 v3, 0x42800000
	v_add_f32_e64 v3, |s16|, v3
	v_and_b32_e32 v3, 0xff, v3
	v_cmp_ne_u32_e64 s[12:13], 0, v3
.LBB102_583:
	s_andn2_b64 vcc, exec, s[12:13]
	v_mov_b32_e32 v4, 0
	s_cbranch_vccnz .LBB102_585
; %bb.584:
	s_lshr_b32 s12, s16, 24
	s_and_b32 s12, s12, 0x80
	v_or_b32_e32 v4, s12, v3
.LBB102_585:
	s_mov_b64 s[12:13], 0
	global_store_byte v[0:1], v4, off
.LBB102_586:
	s_and_b64 vcc, exec, s[12:13]
	s_cbranch_vccz .LBB102_598
; %bb.587:
	v_cvt_f32_f16_e32 v3, s11
	v_readfirstlane_b32 s14, v3
	s_and_b32 s15, s14, 0x7fffffff
	s_cmp_lt_u32 s15, 0x43f00000
	s_cbranch_scc0 .LBB102_590
; %bb.588:
	s_cmp_gt_u32 s15, 0x3c7fffff
	s_cbranch_scc0 .LBB102_591
; %bb.589:
	s_bfe_u32 s12, s14, 0x10014
	s_add_i32 s12, s14, s12
	s_add_i32 s12, s12, 0x407ffff
	s_lshr_b32 s13, s12, 20
	s_and_b32 s12, s12, 0xff00000
	s_cmp_lg_u32 s12, 0x7f00000
	s_cselect_b32 s16, s13, 0x7e
	s_mov_b64 s[12:13], 0
	s_branch .LBB102_592
.LBB102_590:
	s_mov_b64 s[12:13], -1
                                        ; implicit-def: $vgpr4
	s_branch .LBB102_595
.LBB102_591:
	s_mov_b64 s[12:13], -1
                                        ; implicit-def: $sgpr16
.LBB102_592:
	s_andn2_b64 vcc, exec, s[12:13]
	v_mov_b32_e32 v4, s16
	s_cbranch_vccnz .LBB102_594
; %bb.593:
	s_mov_b32 s12, 0x46800000
	v_add_f32_e64 v4, |v3|, s12
.LBB102_594:
	s_mov_b64 s[12:13], 0
.LBB102_595:
	s_andn2_b64 vcc, exec, s[12:13]
	s_cbranch_vccnz .LBB102_597
; %bb.596:
	s_cmp_gt_u32 s15, 0x7f800000
	s_movk_i32 s12, 0x7f
	s_cselect_b32 s12, s12, 0x7e
	v_mov_b32_e32 v4, s12
.LBB102_597:
	s_lshr_b32 s12, s14, 24
	s_and_b32 s12, s12, 0x80
	v_or_b32_e32 v3, s12, v4
	global_store_byte v[0:1], v3, off
.LBB102_598:
	s_mov_b64 s[12:13], 0
.LBB102_599:
	s_andn2_b64 vcc, exec, s[12:13]
	s_cbranch_vccnz .LBB102_611
; %bb.600:
	v_cvt_f32_f16_e32 v3, s11
	v_readfirstlane_b32 s14, v3
	s_and_b32 s15, s14, 0x7fffffff
	s_cmp_lt_u32 s15, 0x47800000
	s_cbranch_scc0 .LBB102_603
; %bb.601:
	s_cmp_gt_u32 s15, 0x387fffff
	s_cbranch_scc0 .LBB102_604
; %bb.602:
	s_bfe_u32 s12, s14, 0x10015
	s_add_i32 s12, s14, s12
	s_add_i32 s12, s12, 0x80fffff
	s_lshr_b32 s16, s12, 21
	s_mov_b64 s[12:13], 0
	s_branch .LBB102_605
.LBB102_603:
	s_mov_b64 s[12:13], -1
                                        ; implicit-def: $vgpr4
	s_branch .LBB102_608
.LBB102_604:
	s_mov_b64 s[12:13], -1
                                        ; implicit-def: $sgpr16
.LBB102_605:
	s_andn2_b64 vcc, exec, s[12:13]
	v_mov_b32_e32 v4, s16
	s_cbranch_vccnz .LBB102_607
; %bb.606:
	s_mov_b32 s12, 0x43000000
	v_add_f32_e64 v4, |v3|, s12
.LBB102_607:
	s_mov_b64 s[12:13], 0
.LBB102_608:
	s_andn2_b64 vcc, exec, s[12:13]
	s_cbranch_vccnz .LBB102_610
; %bb.609:
	s_cmp_gt_u32 s15, 0x7f800000
	s_movk_i32 s12, 0x7f
	s_cselect_b32 s12, s12, 0x7c
	v_mov_b32_e32 v4, s12
.LBB102_610:
	s_lshr_b32 s12, s14, 24
	s_and_b32 s12, s12, 0x80
	v_or_b32_e32 v3, s12, v4
	global_store_byte v[0:1], v3, off
.LBB102_611:
	s_mov_b64 s[12:13], 0
	s_mov_b64 s[14:15], -1
.LBB102_612:
	s_andn2_b64 vcc, exec, s[12:13]
	s_mov_b64 s[12:13], 0
	s_cbranch_vccnz .LBB102_619
; %bb.613:
	s_cmp_gt_i32 s19, 14
	s_mov_b64 s[16:17], -1
	s_cbranch_scc0 .LBB102_617
; %bb.614:
	s_cmp_eq_u32 s19, 15
	s_mov_b64 s[6:7], -1
	s_cbranch_scc0 .LBB102_616
; %bb.615:
	v_cvt_f32_f16_e32 v3, s11
	v_cmp_o_f16_e64 vcc, s11, s11
	v_mov_b32_e32 v4, 0x7fc0
	s_mov_b64 s[6:7], 0
	v_bfe_u32 v5, v3, 16, 1
	v_add_u32_e32 v3, v3, v5
	v_add_u32_e32 v3, 0x7fff, v3
	v_cndmask_b32_sdwa v3, v4, v3, vcc dst_sel:DWORD dst_unused:UNUSED_PAD src0_sel:DWORD src1_sel:WORD_1
	global_store_short v[0:1], v3, off
	s_mov_b64 s[14:15], -1
.LBB102_616:
	s_mov_b64 s[16:17], 0
.LBB102_617:
	s_and_b64 vcc, exec, s[16:17]
	s_cbranch_vccz .LBB102_619
; %bb.618:
	s_cmp_lg_u32 s19, 11
	s_mov_b64 s[12:13], -1
	s_cselect_b64 s[6:7], -1, 0
.LBB102_619:
	s_and_b64 vcc, exec, s[6:7]
	s_cbranch_vccnz .LBB102_721
; %bb.620:
	s_andn2_b64 vcc, exec, s[12:13]
	s_cbranch_vccnz .LBB102_622
.LBB102_621:
	s_and_b32 s6, s11, 0x7fff
	s_cmp_lg_u32 s6, 0
	s_cselect_b64 s[6:7], -1, 0
	v_cndmask_b32_e64 v3, 0, 1, s[6:7]
	s_mov_b64 s[14:15], -1
	global_store_byte v[0:1], v3, off
.LBB102_622:
	s_branch .LBB102_563
.LBB102_623:
	s_and_b32 s12, 0xffff, s18
	s_cmp_lt_i32 s12, 5
	s_mov_b64 s[6:7], -1
	s_cbranch_scc1 .LBB102_644
; %bb.624:
	s_cmp_lt_i32 s12, 8
	s_cbranch_scc1 .LBB102_634
; %bb.625:
	s_cmp_lt_i32 s12, 9
	s_cbranch_scc1 .LBB102_631
; %bb.626:
	s_cmp_gt_i32 s12, 9
	s_cbranch_scc0 .LBB102_628
; %bb.627:
	v_cvt_f32_f16_e32 v3, s11
	v_mov_b32_e32 v5, 0
	v_mov_b32_e32 v6, v5
	s_mov_b64 s[6:7], 0
	v_cvt_f64_f32_e32 v[3:4], v3
	global_store_dwordx4 v[0:1], v[3:6], off
.LBB102_628:
	s_andn2_b64 vcc, exec, s[6:7]
	s_cbranch_vccnz .LBB102_630
; %bb.629:
	v_cvt_f32_f16_e32 v3, s11
	v_mov_b32_e32 v4, 0
	global_store_dwordx2 v[0:1], v[3:4], off
.LBB102_630:
	s_mov_b64 s[6:7], 0
.LBB102_631:
	s_andn2_b64 vcc, exec, s[6:7]
	s_cbranch_vccnz .LBB102_633
; %bb.632:
	s_and_b32 s6, 0xffff, s11
	v_mov_b32_e32 v3, s6
	global_store_dword v[0:1], v3, off
.LBB102_633:
	s_mov_b64 s[6:7], 0
.LBB102_634:
	s_andn2_b64 vcc, exec, s[6:7]
	s_cbranch_vccnz .LBB102_643
; %bb.635:
	s_cmp_lt_i32 s12, 6
	s_mov_b64 s[6:7], -1
	s_cbranch_scc1 .LBB102_641
; %bb.636:
	s_cmp_gt_i32 s12, 6
	s_cbranch_scc0 .LBB102_638
; %bb.637:
	v_cvt_f32_f16_e32 v3, s11
	s_mov_b64 s[6:7], 0
	v_cvt_f64_f32_e32 v[3:4], v3
	global_store_dwordx2 v[0:1], v[3:4], off
.LBB102_638:
	s_andn2_b64 vcc, exec, s[6:7]
	s_cbranch_vccnz .LBB102_640
; %bb.639:
	v_cvt_f32_f16_e32 v3, s11
	global_store_dword v[0:1], v3, off
.LBB102_640:
	s_mov_b64 s[6:7], 0
.LBB102_641:
	s_andn2_b64 vcc, exec, s[6:7]
	s_cbranch_vccnz .LBB102_643
; %bb.642:
	v_mov_b32_e32 v3, s11
	global_store_short v[0:1], v3, off
.LBB102_643:
	s_mov_b64 s[6:7], 0
.LBB102_644:
	s_andn2_b64 vcc, exec, s[6:7]
	s_cbranch_vccnz .LBB102_660
; %bb.645:
	s_cmp_lt_i32 s12, 2
	s_mov_b64 s[6:7], -1
	s_cbranch_scc1 .LBB102_655
; %bb.646:
	s_cmp_lt_i32 s12, 3
	s_cbranch_scc1 .LBB102_652
; %bb.647:
	s_cmp_gt_i32 s12, 3
	s_cbranch_scc0 .LBB102_649
; %bb.648:
	v_cvt_f32_f16_e32 v3, s11
	s_mov_b64 s[6:7], 0
	v_cvt_i32_f32_e32 v3, v3
	v_ashrrev_i32_e32 v4, 31, v3
	global_store_dwordx2 v[0:1], v[3:4], off
.LBB102_649:
	s_andn2_b64 vcc, exec, s[6:7]
	s_cbranch_vccnz .LBB102_651
; %bb.650:
	v_cvt_f32_f16_e32 v3, s11
	v_cvt_i32_f32_e32 v3, v3
	global_store_dword v[0:1], v3, off
.LBB102_651:
	s_mov_b64 s[6:7], 0
.LBB102_652:
	s_andn2_b64 vcc, exec, s[6:7]
	s_cbranch_vccnz .LBB102_654
; %bb.653:
	v_cvt_i16_f16_e32 v3, s11
	global_store_short v[0:1], v3, off
.LBB102_654:
	s_mov_b64 s[6:7], 0
.LBB102_655:
	s_andn2_b64 vcc, exec, s[6:7]
	s_cbranch_vccnz .LBB102_660
; %bb.656:
	s_cmp_gt_i32 s12, 0
	s_mov_b64 s[6:7], -1
	s_cbranch_scc0 .LBB102_658
; %bb.657:
	v_cvt_i16_f16_e32 v3, s11
	global_store_byte v[0:1], v3, off
	s_mov_b64 s[6:7], 0
.LBB102_658:
	s_andn2_b64 vcc, exec, s[6:7]
	s_cbranch_vccnz .LBB102_660
; %bb.659:
	v_cvt_f32_f16_e32 v3, s11
	v_cvt_i32_f32_e32 v3, v3
	global_store_byte v[0:1], v3, off
.LBB102_660:
.LBB102_661:
	v_add_u32_e32 v2, s10, v2
	v_ashrrev_i32_e32 v1, 31, v2
	v_mov_b32_e32 v3, s9
	v_add_co_u32_e32 v0, vcc, s8, v2
	s_cmp_lt_i32 s18, 11
	v_addc_co_u32_e32 v1, vcc, v3, v1, vcc
	s_cbranch_scc1 .LBB102_689
; %bb.662:
	s_and_b32 s19, 0xffff, s18
	s_mov_b64 s[16:17], -1
	s_mov_b64 s[12:13], 0
	s_cmp_gt_i32 s19, 25
	s_mov_b64 s[14:15], 0
	s_mov_b64 s[6:7], 0
	s_cbranch_scc0 .LBB102_730
; %bb.663:
	s_cmp_gt_i32 s19, 28
	s_cbranch_scc0 .LBB102_678
; %bb.664:
	s_cmp_gt_i32 s19, 43
	;; [unrolled: 3-line block ×3, first 2 shown]
	s_cbranch_scc0 .LBB102_668
; %bb.666:
	s_mov_b64 s[6:7], -1
	s_mov_b64 s[16:17], 0
	s_cmp_eq_u32 s19, 46
	s_cbranch_scc0 .LBB102_668
; %bb.667:
	v_cvt_f32_f16_e32 v3, s11
	v_cmp_o_f16_e64 vcc, s11, s11
	v_mov_b32_e32 v4, 0x7fc0
	s_mov_b64 s[6:7], 0
	v_bfe_u32 v5, v3, 16, 1
	v_add_u32_e32 v3, v3, v5
	v_add_u32_e32 v3, 0x7fff, v3
	v_cndmask_b32_sdwa v3, v4, v3, vcc dst_sel:DWORD dst_unused:UNUSED_PAD src0_sel:DWORD src1_sel:WORD_1
	global_store_dword v[0:1], v3, off
	s_mov_b64 s[14:15], -1
.LBB102_668:
	s_and_b64 vcc, exec, s[16:17]
	s_cbranch_vccz .LBB102_673
; %bb.669:
	s_cmp_eq_u32 s19, 44
	s_mov_b64 s[6:7], -1
	s_cbranch_scc0 .LBB102_673
; %bb.670:
	v_cvt_f32_f16_e32 v3, s11
	v_mov_b32_e32 v4, 0xff
	v_readfirstlane_b32 s6, v3
	s_bfe_u32 s7, s6, 0x80017
	s_cmpk_eq_i32 s7, 0xff
	s_cbranch_scc1 .LBB102_672
; %bb.671:
	s_bitcmp1_b32 s6, 22
	s_cselect_b64 s[14:15], -1, 0
	s_and_b32 s6, s6, 0x3fffff
	s_or_b32 s6, s7, s6
	s_cmp_lg_u32 s6, 0
	s_cselect_b64 s[6:7], -1, 0
	s_and_b64 s[6:7], s[14:15], s[6:7]
	v_lshrrev_b32_e32 v3, 23, v3
	v_cndmask_b32_e64 v4, 0, 1, s[6:7]
	v_add_u32_e32 v4, v3, v4
.LBB102_672:
	s_mov_b64 s[6:7], 0
	s_mov_b64 s[14:15], -1
	global_store_byte v[0:1], v4, off
.LBB102_673:
	s_mov_b64 s[16:17], 0
.LBB102_674:
	s_and_b64 vcc, exec, s[16:17]
	s_cbranch_vccz .LBB102_677
; %bb.675:
	s_cmp_eq_u32 s19, 29
	s_mov_b64 s[6:7], -1
	s_cbranch_scc0 .LBB102_677
; %bb.676:
	v_cvt_f32_f16_e32 v3, s11
	v_mov_b32_e32 v4, 0
	s_mov_b64 s[6:7], 0
	s_mov_b64 s[14:15], -1
	v_cvt_u32_f32_e32 v3, v3
	global_store_dwordx2 v[0:1], v[3:4], off
.LBB102_677:
	s_mov_b64 s[16:17], 0
.LBB102_678:
	s_and_b64 vcc, exec, s[16:17]
	s_cbranch_vccz .LBB102_729
; %bb.679:
	s_cmp_lt_i32 s19, 27
	s_mov_b64 s[14:15], -1
	s_cbranch_scc1 .LBB102_685
; %bb.680:
	s_cmp_gt_i32 s19, 27
	s_cbranch_scc0 .LBB102_682
; %bb.681:
	v_cvt_f32_f16_e32 v3, s11
	s_mov_b64 s[14:15], 0
	v_cvt_u32_f32_e32 v3, v3
	global_store_dword v[0:1], v3, off
.LBB102_682:
	s_andn2_b64 vcc, exec, s[14:15]
	s_cbranch_vccnz .LBB102_684
; %bb.683:
	v_cvt_u16_f16_e32 v3, s11
	global_store_short v[0:1], v3, off
.LBB102_684:
	s_mov_b64 s[14:15], 0
.LBB102_685:
	s_andn2_b64 vcc, exec, s[14:15]
	s_cbranch_vccnz .LBB102_728
; %bb.686:
	v_cvt_f32_f16_e32 v3, s11
	v_mov_b32_e32 v4, 0x80
	v_readfirstlane_b32 s20, v3
	s_and_b32 s14, s20, 0x7fffffff
	s_cmp_gt_u32 s14, 0x437fffff
	s_cbranch_scc1 .LBB102_727
; %bb.687:
	s_cmp_gt_u32 s14, 0x3bffffff
	s_cbranch_scc0 .LBB102_722
; %bb.688:
	s_bfe_u32 s14, s20, 0x10014
	s_add_i32 s14, s20, s14
	s_add_i32 s14, s14, 0x487ffff
	s_lshr_b32 s21, s14, 20
	s_mov_b64 s[16:17], 0
	s_mov_b64 s[14:15], -1
	s_branch .LBB102_723
.LBB102_689:
	s_mov_b64 s[14:15], 0
	s_cbranch_execnz .LBB102_794
.LBB102_690:
	s_andn2_b64 vcc, exec, s[14:15]
	s_cbranch_vccnz .LBB102_832
.LBB102_691:
	v_add_u32_e32 v0, s10, v2
	v_ashrrev_i32_e32 v1, 31, v0
	v_mov_b32_e32 v2, s9
	v_add_co_u32_e32 v0, vcc, s8, v0
	s_cmp_lt_i32 s18, 11
	v_addc_co_u32_e32 v1, vcc, v2, v1, vcc
	s_cbranch_scc1 .LBB102_720
; %bb.692:
	s_and_b32 s10, 0xffff, s18
	s_mov_b64 s[12:13], -1
	s_mov_b64 s[8:9], 0
	s_cmp_gt_i32 s10, 25
	s_mov_b64 s[6:7], 0
	s_cbranch_scc0 .LBB102_744
; %bb.693:
	s_cmp_gt_i32 s10, 28
	s_cbranch_scc0 .LBB102_709
; %bb.694:
	s_cmp_gt_i32 s10, 43
	s_cbranch_scc0 .LBB102_705
; %bb.695:
	s_cmp_gt_i32 s10, 45
	s_cbranch_scc0 .LBB102_699
; %bb.696:
	s_cmp_eq_u32 s10, 46
	s_mov_b64 s[6:7], -1
	s_cbranch_scc0 .LBB102_698
; %bb.697:
	v_cvt_f32_f16_e32 v2, s11
	v_cmp_o_f16_e64 vcc, s11, s11
	v_mov_b32_e32 v3, 0x7fc0
	s_mov_b64 s[6:7], 0
	v_bfe_u32 v4, v2, 16, 1
	v_add_u32_e32 v2, v2, v4
	v_add_u32_e32 v2, 0x7fff, v2
	v_cndmask_b32_sdwa v2, v3, v2, vcc dst_sel:DWORD dst_unused:UNUSED_PAD src0_sel:DWORD src1_sel:WORD_1
	global_store_dword v[0:1], v2, off
.LBB102_698:
	s_mov_b64 s[12:13], 0
.LBB102_699:
	s_and_b64 vcc, exec, s[12:13]
	s_cbranch_vccz .LBB102_704
; %bb.700:
	s_cmp_eq_u32 s10, 44
	s_mov_b64 s[6:7], -1
	s_cbranch_scc0 .LBB102_704
; %bb.701:
	v_cvt_f32_f16_e32 v2, s11
	v_mov_b32_e32 v3, 0xff
	v_readfirstlane_b32 s6, v2
	s_bfe_u32 s7, s6, 0x80017
	s_cmpk_eq_i32 s7, 0xff
	s_cbranch_scc1 .LBB102_703
; %bb.702:
	s_bitcmp1_b32 s6, 22
	s_cselect_b64 s[12:13], -1, 0
	s_and_b32 s6, s6, 0x3fffff
	s_or_b32 s6, s7, s6
	s_cmp_lg_u32 s6, 0
	s_cselect_b64 s[6:7], -1, 0
	s_and_b64 s[6:7], s[12:13], s[6:7]
	v_lshrrev_b32_e32 v2, 23, v2
	v_cndmask_b32_e64 v3, 0, 1, s[6:7]
	v_add_u32_e32 v3, v2, v3
.LBB102_703:
	s_mov_b64 s[6:7], 0
	global_store_byte v[0:1], v3, off
.LBB102_704:
	s_mov_b64 s[12:13], 0
.LBB102_705:
	s_and_b64 vcc, exec, s[12:13]
	s_cbranch_vccz .LBB102_708
; %bb.706:
	s_cmp_eq_u32 s10, 29
	s_mov_b64 s[6:7], -1
	s_cbranch_scc0 .LBB102_708
; %bb.707:
	v_cvt_f32_f16_e32 v2, s11
	v_mov_b32_e32 v3, 0
	s_mov_b64 s[6:7], 0
	v_cvt_u32_f32_e32 v2, v2
	global_store_dwordx2 v[0:1], v[2:3], off
.LBB102_708:
	s_mov_b64 s[12:13], 0
.LBB102_709:
	s_and_b64 vcc, exec, s[12:13]
	s_cbranch_vccz .LBB102_743
; %bb.710:
	s_cmp_lt_i32 s10, 27
	s_mov_b64 s[12:13], -1
	s_cbranch_scc1 .LBB102_716
; %bb.711:
	s_cmp_gt_i32 s10, 27
	s_cbranch_scc0 .LBB102_713
; %bb.712:
	v_cvt_f32_f16_e32 v2, s11
	s_mov_b64 s[12:13], 0
	v_cvt_u32_f32_e32 v2, v2
	global_store_dword v[0:1], v2, off
.LBB102_713:
	s_andn2_b64 vcc, exec, s[12:13]
	s_cbranch_vccnz .LBB102_715
; %bb.714:
	v_cvt_u16_f16_e32 v2, s11
	global_store_short v[0:1], v2, off
.LBB102_715:
	s_mov_b64 s[12:13], 0
.LBB102_716:
	s_andn2_b64 vcc, exec, s[12:13]
	s_cbranch_vccnz .LBB102_743
; %bb.717:
	v_cvt_f32_f16_e32 v2, s11
	v_mov_b32_e32 v3, 0x80
	v_readfirstlane_b32 s16, v2
	s_and_b32 s12, s16, 0x7fffffff
	s_cmp_gt_u32 s12, 0x437fffff
	s_cbranch_scc1 .LBB102_742
; %bb.718:
	s_cmp_gt_u32 s12, 0x3bffffff
	s_cbranch_scc0 .LBB102_737
; %bb.719:
	s_bfe_u32 s12, s16, 0x10014
	s_add_i32 s12, s16, s12
	s_add_i32 s12, s12, 0x487ffff
	s_lshr_b32 s17, s12, 20
	s_mov_b64 s[14:15], 0
	s_mov_b64 s[12:13], -1
	s_branch .LBB102_738
.LBB102_720:
	s_mov_b64 s[8:9], 0
	s_mov_b64 s[6:7], -1
	s_branch .LBB102_833
.LBB102_721:
	s_trap 2
	s_or_b64 s[4:5], s[4:5], exec
	s_cbranch_execz .LBB102_621
	s_branch .LBB102_622
.LBB102_722:
	s_mov_b64 s[16:17], -1
	s_mov_b64 s[14:15], 0
                                        ; implicit-def: $sgpr21
.LBB102_723:
	s_andn2_b64 vcc, exec, s[16:17]
	v_mov_b32_e32 v3, s21
	s_cbranch_vccnz .LBB102_725
; %bb.724:
	v_mov_b32_e32 v3, 0x46000000
	v_add_f32_e64 v3, |s20|, v3
	v_and_b32_e32 v3, 0xff, v3
	v_cmp_ne_u32_e64 s[14:15], 0, v3
.LBB102_725:
	s_andn2_b64 vcc, exec, s[14:15]
	v_mov_b32_e32 v4, 0
	s_cbranch_vccnz .LBB102_727
; %bb.726:
	s_lshr_b32 s14, s20, 24
	s_and_b32 s14, s14, 0x80
	v_or_b32_e32 v4, s14, v3
.LBB102_727:
	global_store_byte v[0:1], v4, off
.LBB102_728:
	s_mov_b64 s[14:15], -1
.LBB102_729:
	s_mov_b64 s[16:17], 0
.LBB102_730:
	s_and_b64 vcc, exec, s[16:17]
	s_cbranch_vccz .LBB102_790
; %bb.731:
	s_cmp_gt_i32 s19, 22
	s_mov_b64 s[12:13], -1
	s_cbranch_scc0 .LBB102_783
; %bb.732:
	s_cmp_lt_i32 s19, 24
	s_cbranch_scc1 .LBB102_770
; %bb.733:
	s_cmp_gt_i32 s19, 24
	s_cbranch_scc0 .LBB102_757
; %bb.734:
	v_cvt_f32_f16_e32 v3, s11
	v_mov_b32_e32 v4, 0x80
	v_readfirstlane_b32 s16, v3
	s_and_b32 s12, s16, 0x7fffffff
	s_cmp_gt_u32 s12, 0x477fffff
	s_cbranch_scc1 .LBB102_756
; %bb.735:
	s_cmp_gt_u32 s12, 0x37ffffff
	s_cbranch_scc0 .LBB102_751
; %bb.736:
	s_bfe_u32 s12, s16, 0x10015
	s_add_i32 s12, s16, s12
	s_add_i32 s12, s12, 0x88fffff
	s_lshr_b32 s17, s12, 21
	s_mov_b64 s[14:15], 0
	s_mov_b64 s[12:13], -1
	s_branch .LBB102_752
.LBB102_737:
	s_mov_b64 s[14:15], -1
	s_mov_b64 s[12:13], 0
                                        ; implicit-def: $sgpr17
.LBB102_738:
	s_andn2_b64 vcc, exec, s[14:15]
	v_mov_b32_e32 v2, s17
	s_cbranch_vccnz .LBB102_740
; %bb.739:
	v_mov_b32_e32 v2, 0x46000000
	v_add_f32_e64 v2, |s16|, v2
	v_and_b32_e32 v2, 0xff, v2
	v_cmp_ne_u32_e64 s[12:13], 0, v2
.LBB102_740:
	s_andn2_b64 vcc, exec, s[12:13]
	v_mov_b32_e32 v3, 0
	s_cbranch_vccnz .LBB102_742
; %bb.741:
	s_lshr_b32 s12, s16, 24
	s_and_b32 s12, s12, 0x80
	v_or_b32_e32 v3, s12, v2
.LBB102_742:
	global_store_byte v[0:1], v3, off
.LBB102_743:
	s_mov_b64 s[12:13], 0
.LBB102_744:
	s_and_b64 vcc, exec, s[12:13]
	s_cbranch_vccz .LBB102_914
; %bb.745:
	s_cmp_gt_i32 s10, 22
	s_mov_b64 s[8:9], -1
	s_cbranch_scc0 .LBB102_907
; %bb.746:
	s_cmp_lt_i32 s10, 24
	s_cbranch_scc1 .LBB102_894
; %bb.747:
	s_cmp_gt_i32 s10, 24
	s_cbranch_scc0 .LBB102_881
; %bb.748:
	v_cvt_f32_f16_e32 v2, s11
	v_mov_b32_e32 v3, 0x80
	v_readfirstlane_b32 s14, v2
	s_and_b32 s8, s14, 0x7fffffff
	s_cmp_gt_u32 s8, 0x477fffff
	s_cbranch_scc1 .LBB102_880
; %bb.749:
	s_cmp_gt_u32 s8, 0x37ffffff
	s_cbranch_scc0 .LBB102_875
; %bb.750:
	s_bfe_u32 s8, s14, 0x10015
	s_add_i32 s8, s14, s8
	s_add_i32 s8, s8, 0x88fffff
	s_lshr_b32 s15, s8, 21
	s_mov_b64 s[12:13], 0
	s_mov_b64 s[8:9], -1
	s_branch .LBB102_876
.LBB102_751:
	s_mov_b64 s[14:15], -1
	s_mov_b64 s[12:13], 0
                                        ; implicit-def: $sgpr17
.LBB102_752:
	s_andn2_b64 vcc, exec, s[14:15]
	v_mov_b32_e32 v3, s17
	s_cbranch_vccnz .LBB102_754
; %bb.753:
	v_mov_b32_e32 v3, 0x42800000
	v_add_f32_e64 v3, |s16|, v3
	v_and_b32_e32 v3, 0xff, v3
	v_cmp_ne_u32_e64 s[12:13], 0, v3
.LBB102_754:
	s_andn2_b64 vcc, exec, s[12:13]
	v_mov_b32_e32 v4, 0
	s_cbranch_vccnz .LBB102_756
; %bb.755:
	s_lshr_b32 s12, s16, 24
	s_and_b32 s12, s12, 0x80
	v_or_b32_e32 v4, s12, v3
.LBB102_756:
	s_mov_b64 s[12:13], 0
	global_store_byte v[0:1], v4, off
.LBB102_757:
	s_and_b64 vcc, exec, s[12:13]
	s_cbranch_vccz .LBB102_769
; %bb.758:
	v_cvt_f32_f16_e32 v3, s11
	v_readfirstlane_b32 s14, v3
	s_and_b32 s15, s14, 0x7fffffff
	s_cmp_lt_u32 s15, 0x43f00000
	s_cbranch_scc0 .LBB102_761
; %bb.759:
	s_cmp_gt_u32 s15, 0x3c7fffff
	s_cbranch_scc0 .LBB102_762
; %bb.760:
	s_bfe_u32 s12, s14, 0x10014
	s_add_i32 s12, s14, s12
	s_add_i32 s12, s12, 0x407ffff
	s_lshr_b32 s13, s12, 20
	s_and_b32 s12, s12, 0xff00000
	s_cmp_lg_u32 s12, 0x7f00000
	s_cselect_b32 s16, s13, 0x7e
	s_mov_b64 s[12:13], 0
	s_branch .LBB102_763
.LBB102_761:
	s_mov_b64 s[12:13], -1
                                        ; implicit-def: $vgpr4
	s_branch .LBB102_766
.LBB102_762:
	s_mov_b64 s[12:13], -1
                                        ; implicit-def: $sgpr16
.LBB102_763:
	s_andn2_b64 vcc, exec, s[12:13]
	v_mov_b32_e32 v4, s16
	s_cbranch_vccnz .LBB102_765
; %bb.764:
	s_mov_b32 s12, 0x46800000
	v_add_f32_e64 v4, |v3|, s12
.LBB102_765:
	s_mov_b64 s[12:13], 0
.LBB102_766:
	s_andn2_b64 vcc, exec, s[12:13]
	s_cbranch_vccnz .LBB102_768
; %bb.767:
	s_cmp_gt_u32 s15, 0x7f800000
	s_movk_i32 s12, 0x7f
	s_cselect_b32 s12, s12, 0x7e
	v_mov_b32_e32 v4, s12
.LBB102_768:
	s_lshr_b32 s12, s14, 24
	s_and_b32 s12, s12, 0x80
	v_or_b32_e32 v3, s12, v4
	global_store_byte v[0:1], v3, off
.LBB102_769:
	s_mov_b64 s[12:13], 0
.LBB102_770:
	s_andn2_b64 vcc, exec, s[12:13]
	s_cbranch_vccnz .LBB102_782
; %bb.771:
	v_cvt_f32_f16_e32 v3, s11
	v_readfirstlane_b32 s14, v3
	s_and_b32 s15, s14, 0x7fffffff
	s_cmp_lt_u32 s15, 0x47800000
	s_cbranch_scc0 .LBB102_774
; %bb.772:
	s_cmp_gt_u32 s15, 0x387fffff
	s_cbranch_scc0 .LBB102_775
; %bb.773:
	s_bfe_u32 s12, s14, 0x10015
	s_add_i32 s12, s14, s12
	s_add_i32 s12, s12, 0x80fffff
	s_lshr_b32 s16, s12, 21
	s_mov_b64 s[12:13], 0
	s_branch .LBB102_776
.LBB102_774:
	s_mov_b64 s[12:13], -1
                                        ; implicit-def: $vgpr4
	s_branch .LBB102_779
.LBB102_775:
	s_mov_b64 s[12:13], -1
                                        ; implicit-def: $sgpr16
.LBB102_776:
	s_andn2_b64 vcc, exec, s[12:13]
	v_mov_b32_e32 v4, s16
	s_cbranch_vccnz .LBB102_778
; %bb.777:
	s_mov_b32 s12, 0x43000000
	v_add_f32_e64 v4, |v3|, s12
.LBB102_778:
	s_mov_b64 s[12:13], 0
.LBB102_779:
	s_andn2_b64 vcc, exec, s[12:13]
	s_cbranch_vccnz .LBB102_781
; %bb.780:
	s_cmp_gt_u32 s15, 0x7f800000
	s_movk_i32 s12, 0x7f
	s_cselect_b32 s12, s12, 0x7c
	v_mov_b32_e32 v4, s12
.LBB102_781:
	s_lshr_b32 s12, s14, 24
	s_and_b32 s12, s12, 0x80
	v_or_b32_e32 v3, s12, v4
	global_store_byte v[0:1], v3, off
.LBB102_782:
	s_mov_b64 s[12:13], 0
	s_mov_b64 s[14:15], -1
.LBB102_783:
	s_andn2_b64 vcc, exec, s[12:13]
	s_mov_b64 s[12:13], 0
	s_cbranch_vccnz .LBB102_790
; %bb.784:
	s_cmp_gt_i32 s19, 14
	s_mov_b64 s[16:17], -1
	s_cbranch_scc0 .LBB102_788
; %bb.785:
	s_cmp_eq_u32 s19, 15
	s_mov_b64 s[6:7], -1
	s_cbranch_scc0 .LBB102_787
; %bb.786:
	v_cvt_f32_f16_e32 v3, s11
	v_cmp_o_f16_e64 vcc, s11, s11
	v_mov_b32_e32 v4, 0x7fc0
	s_mov_b64 s[6:7], 0
	v_bfe_u32 v5, v3, 16, 1
	v_add_u32_e32 v3, v3, v5
	v_add_u32_e32 v3, 0x7fff, v3
	v_cndmask_b32_sdwa v3, v4, v3, vcc dst_sel:DWORD dst_unused:UNUSED_PAD src0_sel:DWORD src1_sel:WORD_1
	global_store_short v[0:1], v3, off
	s_mov_b64 s[14:15], -1
.LBB102_787:
	s_mov_b64 s[16:17], 0
.LBB102_788:
	s_and_b64 vcc, exec, s[16:17]
	s_cbranch_vccz .LBB102_790
; %bb.789:
	s_cmp_lg_u32 s19, 11
	s_mov_b64 s[12:13], -1
	s_cselect_b64 s[6:7], -1, 0
.LBB102_790:
	s_and_b64 vcc, exec, s[6:7]
	s_cbranch_vccnz .LBB102_874
; %bb.791:
	s_andn2_b64 vcc, exec, s[12:13]
	s_cbranch_vccnz .LBB102_793
.LBB102_792:
	s_and_b32 s6, s11, 0x7fff
	s_cmp_lg_u32 s6, 0
	s_cselect_b64 s[6:7], -1, 0
	v_cndmask_b32_e64 v3, 0, 1, s[6:7]
	s_mov_b64 s[14:15], -1
	global_store_byte v[0:1], v3, off
.LBB102_793:
	s_branch .LBB102_690
.LBB102_794:
	s_and_b32 s12, 0xffff, s18
	s_cmp_lt_i32 s12, 5
	s_mov_b64 s[6:7], -1
	s_cbranch_scc1 .LBB102_815
; %bb.795:
	s_cmp_lt_i32 s12, 8
	s_cbranch_scc1 .LBB102_805
; %bb.796:
	s_cmp_lt_i32 s12, 9
	s_cbranch_scc1 .LBB102_802
; %bb.797:
	s_cmp_gt_i32 s12, 9
	s_cbranch_scc0 .LBB102_799
; %bb.798:
	v_cvt_f32_f16_e32 v3, s11
	v_mov_b32_e32 v5, 0
	v_mov_b32_e32 v6, v5
	s_mov_b64 s[6:7], 0
	v_cvt_f64_f32_e32 v[3:4], v3
	global_store_dwordx4 v[0:1], v[3:6], off
.LBB102_799:
	s_andn2_b64 vcc, exec, s[6:7]
	s_cbranch_vccnz .LBB102_801
; %bb.800:
	v_cvt_f32_f16_e32 v3, s11
	v_mov_b32_e32 v4, 0
	global_store_dwordx2 v[0:1], v[3:4], off
.LBB102_801:
	s_mov_b64 s[6:7], 0
.LBB102_802:
	s_andn2_b64 vcc, exec, s[6:7]
	s_cbranch_vccnz .LBB102_804
; %bb.803:
	s_and_b32 s6, 0xffff, s11
	v_mov_b32_e32 v3, s6
	global_store_dword v[0:1], v3, off
.LBB102_804:
	s_mov_b64 s[6:7], 0
.LBB102_805:
	s_andn2_b64 vcc, exec, s[6:7]
	s_cbranch_vccnz .LBB102_814
; %bb.806:
	s_cmp_lt_i32 s12, 6
	s_mov_b64 s[6:7], -1
	s_cbranch_scc1 .LBB102_812
; %bb.807:
	s_cmp_gt_i32 s12, 6
	s_cbranch_scc0 .LBB102_809
; %bb.808:
	v_cvt_f32_f16_e32 v3, s11
	s_mov_b64 s[6:7], 0
	v_cvt_f64_f32_e32 v[3:4], v3
	global_store_dwordx2 v[0:1], v[3:4], off
.LBB102_809:
	s_andn2_b64 vcc, exec, s[6:7]
	s_cbranch_vccnz .LBB102_811
; %bb.810:
	v_cvt_f32_f16_e32 v3, s11
	global_store_dword v[0:1], v3, off
.LBB102_811:
	s_mov_b64 s[6:7], 0
.LBB102_812:
	s_andn2_b64 vcc, exec, s[6:7]
	s_cbranch_vccnz .LBB102_814
; %bb.813:
	v_mov_b32_e32 v3, s11
	global_store_short v[0:1], v3, off
.LBB102_814:
	s_mov_b64 s[6:7], 0
.LBB102_815:
	s_andn2_b64 vcc, exec, s[6:7]
	s_cbranch_vccnz .LBB102_831
; %bb.816:
	s_cmp_lt_i32 s12, 2
	s_mov_b64 s[6:7], -1
	s_cbranch_scc1 .LBB102_826
; %bb.817:
	s_cmp_lt_i32 s12, 3
	s_cbranch_scc1 .LBB102_823
; %bb.818:
	s_cmp_gt_i32 s12, 3
	s_cbranch_scc0 .LBB102_820
; %bb.819:
	v_cvt_f32_f16_e32 v3, s11
	s_mov_b64 s[6:7], 0
	v_cvt_i32_f32_e32 v3, v3
	v_ashrrev_i32_e32 v4, 31, v3
	global_store_dwordx2 v[0:1], v[3:4], off
.LBB102_820:
	s_andn2_b64 vcc, exec, s[6:7]
	s_cbranch_vccnz .LBB102_822
; %bb.821:
	v_cvt_f32_f16_e32 v3, s11
	v_cvt_i32_f32_e32 v3, v3
	global_store_dword v[0:1], v3, off
.LBB102_822:
	s_mov_b64 s[6:7], 0
.LBB102_823:
	s_andn2_b64 vcc, exec, s[6:7]
	s_cbranch_vccnz .LBB102_825
; %bb.824:
	v_cvt_i16_f16_e32 v3, s11
	global_store_short v[0:1], v3, off
.LBB102_825:
	s_mov_b64 s[6:7], 0
.LBB102_826:
	s_andn2_b64 vcc, exec, s[6:7]
	s_cbranch_vccnz .LBB102_831
; %bb.827:
	s_cmp_gt_i32 s12, 0
	s_mov_b64 s[6:7], -1
	s_cbranch_scc0 .LBB102_829
; %bb.828:
	v_cvt_i16_f16_e32 v3, s11
	global_store_byte v[0:1], v3, off
	s_mov_b64 s[6:7], 0
.LBB102_829:
	s_andn2_b64 vcc, exec, s[6:7]
	s_cbranch_vccnz .LBB102_831
; %bb.830:
	v_cvt_f32_f16_e32 v3, s11
	v_cvt_i32_f32_e32 v3, v3
	global_store_byte v[0:1], v3, off
.LBB102_831:
	s_branch .LBB102_691
.LBB102_832:
	s_mov_b64 s[6:7], 0
	s_mov_b64 s[8:9], 0
                                        ; implicit-def: $sgpr18
                                        ; implicit-def: $vgpr0_vgpr1
.LBB102_833:
	s_andn2_b64 s[0:1], s[0:1], exec
	s_and_b64 s[4:5], s[4:5], exec
	s_and_b64 s[12:13], s[6:7], exec
	;; [unrolled: 1-line block ×3, first 2 shown]
	s_or_b64 s[0:1], s[0:1], s[4:5]
	s_or_b64 exec, exec, s[2:3]
	s_and_saveexec_b64 s[2:3], s[0:1]
	s_cbranch_execnz .LBB102_434
.LBB102_834:
	s_or_b64 exec, exec, s[2:3]
	s_and_saveexec_b64 s[0:1], s[6:7]
	s_xor_b64 s[0:1], exec, s[0:1]
	s_cbranch_execz .LBB102_435
.LBB102_835:
	s_and_b32 s2, s11, 0x7fff
	s_cmp_lg_u32 s2, 0
	s_cselect_b64 s[2:3], -1, 0
	v_cndmask_b32_e64 v2, 0, 1, s[2:3]
	global_store_byte v[0:1], v2, off
	s_or_b64 exec, exec, s[0:1]
	s_and_saveexec_b64 s[0:1], s[12:13]
	s_cbranch_execz .LBB102_873
.LBB102_836:
	s_sext_i32_i16 s2, s18
	s_cmp_lt_i32 s2, 5
	s_mov_b64 s[0:1], -1
	s_cbranch_scc1 .LBB102_857
; %bb.837:
	s_cmp_lt_i32 s2, 8
	s_cbranch_scc1 .LBB102_847
; %bb.838:
	s_cmp_lt_i32 s2, 9
	s_cbranch_scc1 .LBB102_844
; %bb.839:
	s_cmp_gt_i32 s2, 9
	s_cbranch_scc0 .LBB102_841
; %bb.840:
	v_cvt_f32_f16_e32 v2, s11
	v_mov_b32_e32 v4, 0
	v_mov_b32_e32 v5, v4
	s_mov_b64 s[0:1], 0
	v_cvt_f64_f32_e32 v[2:3], v2
	global_store_dwordx4 v[0:1], v[2:5], off
.LBB102_841:
	s_andn2_b64 vcc, exec, s[0:1]
	s_cbranch_vccnz .LBB102_843
; %bb.842:
	v_cvt_f32_f16_e32 v2, s11
	v_mov_b32_e32 v3, 0
	global_store_dwordx2 v[0:1], v[2:3], off
.LBB102_843:
	s_mov_b64 s[0:1], 0
.LBB102_844:
	s_andn2_b64 vcc, exec, s[0:1]
	s_cbranch_vccnz .LBB102_846
; %bb.845:
	s_and_b32 s0, 0xffff, s11
	v_mov_b32_e32 v2, s0
	global_store_dword v[0:1], v2, off
.LBB102_846:
	s_mov_b64 s[0:1], 0
.LBB102_847:
	s_andn2_b64 vcc, exec, s[0:1]
	s_cbranch_vccnz .LBB102_856
; %bb.848:
	s_sext_i32_i16 s2, s18
	s_cmp_lt_i32 s2, 6
	s_mov_b64 s[0:1], -1
	s_cbranch_scc1 .LBB102_854
; %bb.849:
	s_cmp_gt_i32 s2, 6
	s_cbranch_scc0 .LBB102_851
; %bb.850:
	v_cvt_f32_f16_e32 v2, s11
	s_mov_b64 s[0:1], 0
	v_cvt_f64_f32_e32 v[2:3], v2
	global_store_dwordx2 v[0:1], v[2:3], off
.LBB102_851:
	s_andn2_b64 vcc, exec, s[0:1]
	s_cbranch_vccnz .LBB102_853
; %bb.852:
	v_cvt_f32_f16_e32 v2, s11
	global_store_dword v[0:1], v2, off
.LBB102_853:
	s_mov_b64 s[0:1], 0
.LBB102_854:
	s_andn2_b64 vcc, exec, s[0:1]
	s_cbranch_vccnz .LBB102_856
; %bb.855:
	v_mov_b32_e32 v2, s11
	global_store_short v[0:1], v2, off
.LBB102_856:
	s_mov_b64 s[0:1], 0
.LBB102_857:
	s_andn2_b64 vcc, exec, s[0:1]
	s_cbranch_vccnz .LBB102_873
; %bb.858:
	s_sext_i32_i16 s2, s18
	s_cmp_lt_i32 s2, 2
	s_mov_b64 s[0:1], -1
	s_cbranch_scc1 .LBB102_868
; %bb.859:
	s_cmp_lt_i32 s2, 3
	s_cbranch_scc1 .LBB102_865
; %bb.860:
	s_cmp_gt_i32 s2, 3
	s_cbranch_scc0 .LBB102_862
; %bb.861:
	v_cvt_f32_f16_e32 v2, s11
	s_mov_b64 s[0:1], 0
	v_cvt_i32_f32_e32 v2, v2
	v_ashrrev_i32_e32 v3, 31, v2
	global_store_dwordx2 v[0:1], v[2:3], off
.LBB102_862:
	s_andn2_b64 vcc, exec, s[0:1]
	s_cbranch_vccnz .LBB102_864
; %bb.863:
	v_cvt_f32_f16_e32 v2, s11
	v_cvt_i32_f32_e32 v2, v2
	global_store_dword v[0:1], v2, off
.LBB102_864:
	s_mov_b64 s[0:1], 0
.LBB102_865:
	s_andn2_b64 vcc, exec, s[0:1]
	s_cbranch_vccnz .LBB102_867
; %bb.866:
	v_cvt_i16_f16_e32 v2, s11
	global_store_short v[0:1], v2, off
.LBB102_867:
	s_mov_b64 s[0:1], 0
.LBB102_868:
	s_andn2_b64 vcc, exec, s[0:1]
	s_cbranch_vccnz .LBB102_873
; %bb.869:
	s_sext_i32_i16 s0, s18
	s_cmp_gt_i32 s0, 0
	s_mov_b64 s[0:1], -1
	s_cbranch_scc0 .LBB102_871
; %bb.870:
	v_cvt_i16_f16_e32 v2, s11
	global_store_byte v[0:1], v2, off
	s_mov_b64 s[0:1], 0
.LBB102_871:
	s_andn2_b64 vcc, exec, s[0:1]
	s_cbranch_vccnz .LBB102_873
; %bb.872:
	v_cvt_f32_f16_e32 v2, s11
	v_cvt_i32_f32_e32 v2, v2
	global_store_byte v[0:1], v2, off
	s_endpgm
.LBB102_873:
	s_endpgm
.LBB102_874:
	s_trap 2
	s_or_b64 s[4:5], s[4:5], exec
	s_cbranch_execz .LBB102_792
	s_branch .LBB102_793
.LBB102_875:
	s_mov_b64 s[12:13], -1
	s_mov_b64 s[8:9], 0
                                        ; implicit-def: $sgpr15
.LBB102_876:
	s_andn2_b64 vcc, exec, s[12:13]
	v_mov_b32_e32 v2, s15
	s_cbranch_vccnz .LBB102_878
; %bb.877:
	v_mov_b32_e32 v2, 0x42800000
	v_add_f32_e64 v2, |s14|, v2
	v_and_b32_e32 v2, 0xff, v2
	v_cmp_ne_u32_e64 s[8:9], 0, v2
.LBB102_878:
	s_andn2_b64 vcc, exec, s[8:9]
	v_mov_b32_e32 v3, 0
	s_cbranch_vccnz .LBB102_880
; %bb.879:
	s_lshr_b32 s8, s14, 24
	s_and_b32 s8, s8, 0x80
	v_or_b32_e32 v3, s8, v2
.LBB102_880:
	s_mov_b64 s[8:9], 0
	global_store_byte v[0:1], v3, off
.LBB102_881:
	s_and_b64 vcc, exec, s[8:9]
	s_cbranch_vccz .LBB102_893
; %bb.882:
	v_cvt_f32_f16_e32 v2, s11
	v_readfirstlane_b32 s12, v2
	s_and_b32 s13, s12, 0x7fffffff
	s_cmp_lt_u32 s13, 0x43f00000
	s_cbranch_scc0 .LBB102_885
; %bb.883:
	s_cmp_gt_u32 s13, 0x3c7fffff
	s_cbranch_scc0 .LBB102_886
; %bb.884:
	s_bfe_u32 s8, s12, 0x10014
	s_add_i32 s8, s12, s8
	s_add_i32 s8, s8, 0x407ffff
	s_lshr_b32 s9, s8, 20
	s_and_b32 s8, s8, 0xff00000
	s_cmp_lg_u32 s8, 0x7f00000
	s_cselect_b32 s14, s9, 0x7e
	s_mov_b64 s[8:9], 0
	s_branch .LBB102_887
.LBB102_885:
	s_mov_b64 s[8:9], -1
                                        ; implicit-def: $vgpr3
	s_branch .LBB102_890
.LBB102_886:
	s_mov_b64 s[8:9], -1
                                        ; implicit-def: $sgpr14
.LBB102_887:
	s_andn2_b64 vcc, exec, s[8:9]
	v_mov_b32_e32 v3, s14
	s_cbranch_vccnz .LBB102_889
; %bb.888:
	s_mov_b32 s8, 0x46800000
	v_add_f32_e64 v3, |v2|, s8
.LBB102_889:
	s_mov_b64 s[8:9], 0
.LBB102_890:
	s_andn2_b64 vcc, exec, s[8:9]
	s_cbranch_vccnz .LBB102_892
; %bb.891:
	s_cmp_gt_u32 s13, 0x7f800000
	s_movk_i32 s8, 0x7f
	s_cselect_b32 s8, s8, 0x7e
	v_mov_b32_e32 v3, s8
.LBB102_892:
	s_lshr_b32 s8, s12, 24
	s_and_b32 s8, s8, 0x80
	v_or_b32_e32 v2, s8, v3
	global_store_byte v[0:1], v2, off
.LBB102_893:
	s_mov_b64 s[8:9], 0
.LBB102_894:
	s_andn2_b64 vcc, exec, s[8:9]
	s_cbranch_vccnz .LBB102_906
; %bb.895:
	v_cvt_f32_f16_e32 v2, s11
	v_readfirstlane_b32 s12, v2
	s_and_b32 s13, s12, 0x7fffffff
	s_cmp_lt_u32 s13, 0x47800000
	s_cbranch_scc0 .LBB102_898
; %bb.896:
	s_cmp_gt_u32 s13, 0x387fffff
	s_cbranch_scc0 .LBB102_899
; %bb.897:
	s_bfe_u32 s8, s12, 0x10015
	s_add_i32 s8, s12, s8
	s_add_i32 s8, s8, 0x80fffff
	s_lshr_b32 s14, s8, 21
	s_mov_b64 s[8:9], 0
	s_branch .LBB102_900
.LBB102_898:
	s_mov_b64 s[8:9], -1
                                        ; implicit-def: $vgpr3
	s_branch .LBB102_903
.LBB102_899:
	s_mov_b64 s[8:9], -1
                                        ; implicit-def: $sgpr14
.LBB102_900:
	s_andn2_b64 vcc, exec, s[8:9]
	v_mov_b32_e32 v3, s14
	s_cbranch_vccnz .LBB102_902
; %bb.901:
	s_mov_b32 s8, 0x43000000
	v_add_f32_e64 v3, |v2|, s8
.LBB102_902:
	s_mov_b64 s[8:9], 0
.LBB102_903:
	s_andn2_b64 vcc, exec, s[8:9]
	s_cbranch_vccnz .LBB102_905
; %bb.904:
	s_cmp_gt_u32 s13, 0x7f800000
	s_movk_i32 s8, 0x7f
	s_cselect_b32 s8, s8, 0x7c
	v_mov_b32_e32 v3, s8
.LBB102_905:
	s_lshr_b32 s8, s12, 24
	s_and_b32 s8, s8, 0x80
	v_or_b32_e32 v2, s8, v3
	global_store_byte v[0:1], v2, off
.LBB102_906:
	s_mov_b64 s[8:9], 0
.LBB102_907:
	s_andn2_b64 vcc, exec, s[8:9]
	s_mov_b64 s[8:9], 0
	s_cbranch_vccnz .LBB102_914
; %bb.908:
	s_cmp_gt_i32 s10, 14
	s_mov_b64 s[12:13], -1
	s_cbranch_scc0 .LBB102_912
; %bb.909:
	s_cmp_eq_u32 s10, 15
	s_mov_b64 s[6:7], -1
	s_cbranch_scc0 .LBB102_911
; %bb.910:
	v_cvt_f32_f16_e32 v2, s11
	v_cmp_o_f16_e64 vcc, s11, s11
	v_mov_b32_e32 v3, 0x7fc0
	s_mov_b64 s[6:7], 0
	v_bfe_u32 v4, v2, 16, 1
	v_add_u32_e32 v2, v2, v4
	v_add_u32_e32 v2, 0x7fff, v2
	v_cndmask_b32_sdwa v2, v3, v2, vcc dst_sel:DWORD dst_unused:UNUSED_PAD src0_sel:DWORD src1_sel:WORD_1
	global_store_short v[0:1], v2, off
.LBB102_911:
	s_mov_b64 s[12:13], 0
.LBB102_912:
	s_and_b64 vcc, exec, s[12:13]
	s_cbranch_vccz .LBB102_914
; %bb.913:
	s_cmp_lg_u32 s10, 11
	s_mov_b64 s[8:9], -1
	s_cselect_b64 s[6:7], -1, 0
.LBB102_914:
	s_and_b64 vcc, exec, s[6:7]
	s_cbranch_vccnz .LBB102_916
.LBB102_915:
	s_mov_b64 s[6:7], 0
	s_branch .LBB102_833
.LBB102_916:
	s_mov_b64 s[8:9], 0
	s_or_b64 s[4:5], s[4:5], exec
	s_trap 2
	s_branch .LBB102_915
	.section	.rodata,"a",@progbits
	.p2align	6, 0x0
	.amdhsa_kernel _ZN2at6native32elementwise_kernel_manual_unrollILi128ELi4EZNS0_15gpu_kernel_implINS0_11FillFunctorIN3c104HalfEEEEEvRNS_18TensorIteratorBaseERKT_EUlibE_EEviT1_
		.amdhsa_group_segment_fixed_size 0
		.amdhsa_private_segment_fixed_size 0
		.amdhsa_kernarg_size 24
		.amdhsa_user_sgpr_count 6
		.amdhsa_user_sgpr_private_segment_buffer 1
		.amdhsa_user_sgpr_dispatch_ptr 0
		.amdhsa_user_sgpr_queue_ptr 0
		.amdhsa_user_sgpr_kernarg_segment_ptr 1
		.amdhsa_user_sgpr_dispatch_id 0
		.amdhsa_user_sgpr_flat_scratch_init 0
		.amdhsa_user_sgpr_private_segment_size 0
		.amdhsa_uses_dynamic_stack 0
		.amdhsa_system_sgpr_private_segment_wavefront_offset 0
		.amdhsa_system_sgpr_workgroup_id_x 1
		.amdhsa_system_sgpr_workgroup_id_y 0
		.amdhsa_system_sgpr_workgroup_id_z 0
		.amdhsa_system_sgpr_workgroup_info 0
		.amdhsa_system_vgpr_workitem_id 0
		.amdhsa_next_free_vgpr 21
		.amdhsa_next_free_sgpr 62
		.amdhsa_reserve_vcc 1
		.amdhsa_reserve_flat_scratch 0
		.amdhsa_float_round_mode_32 0
		.amdhsa_float_round_mode_16_64 0
		.amdhsa_float_denorm_mode_32 3
		.amdhsa_float_denorm_mode_16_64 3
		.amdhsa_dx10_clamp 1
		.amdhsa_ieee_mode 1
		.amdhsa_fp16_overflow 0
		.amdhsa_exception_fp_ieee_invalid_op 0
		.amdhsa_exception_fp_denorm_src 0
		.amdhsa_exception_fp_ieee_div_zero 0
		.amdhsa_exception_fp_ieee_overflow 0
		.amdhsa_exception_fp_ieee_underflow 0
		.amdhsa_exception_fp_ieee_inexact 0
		.amdhsa_exception_int_div_zero 0
	.end_amdhsa_kernel
	.section	.text._ZN2at6native32elementwise_kernel_manual_unrollILi128ELi4EZNS0_15gpu_kernel_implINS0_11FillFunctorIN3c104HalfEEEEEvRNS_18TensorIteratorBaseERKT_EUlibE_EEviT1_,"axG",@progbits,_ZN2at6native32elementwise_kernel_manual_unrollILi128ELi4EZNS0_15gpu_kernel_implINS0_11FillFunctorIN3c104HalfEEEEEvRNS_18TensorIteratorBaseERKT_EUlibE_EEviT1_,comdat
.Lfunc_end102:
	.size	_ZN2at6native32elementwise_kernel_manual_unrollILi128ELi4EZNS0_15gpu_kernel_implINS0_11FillFunctorIN3c104HalfEEEEEvRNS_18TensorIteratorBaseERKT_EUlibE_EEviT1_, .Lfunc_end102-_ZN2at6native32elementwise_kernel_manual_unrollILi128ELi4EZNS0_15gpu_kernel_implINS0_11FillFunctorIN3c104HalfEEEEEvRNS_18TensorIteratorBaseERKT_EUlibE_EEviT1_
                                        ; -- End function
	.set _ZN2at6native32elementwise_kernel_manual_unrollILi128ELi4EZNS0_15gpu_kernel_implINS0_11FillFunctorIN3c104HalfEEEEEvRNS_18TensorIteratorBaseERKT_EUlibE_EEviT1_.num_vgpr, 21
	.set _ZN2at6native32elementwise_kernel_manual_unrollILi128ELi4EZNS0_15gpu_kernel_implINS0_11FillFunctorIN3c104HalfEEEEEvRNS_18TensorIteratorBaseERKT_EUlibE_EEviT1_.num_agpr, 0
	.set _ZN2at6native32elementwise_kernel_manual_unrollILi128ELi4EZNS0_15gpu_kernel_implINS0_11FillFunctorIN3c104HalfEEEEEvRNS_18TensorIteratorBaseERKT_EUlibE_EEviT1_.numbered_sgpr, 62
	.set _ZN2at6native32elementwise_kernel_manual_unrollILi128ELi4EZNS0_15gpu_kernel_implINS0_11FillFunctorIN3c104HalfEEEEEvRNS_18TensorIteratorBaseERKT_EUlibE_EEviT1_.num_named_barrier, 0
	.set _ZN2at6native32elementwise_kernel_manual_unrollILi128ELi4EZNS0_15gpu_kernel_implINS0_11FillFunctorIN3c104HalfEEEEEvRNS_18TensorIteratorBaseERKT_EUlibE_EEviT1_.private_seg_size, 0
	.set _ZN2at6native32elementwise_kernel_manual_unrollILi128ELi4EZNS0_15gpu_kernel_implINS0_11FillFunctorIN3c104HalfEEEEEvRNS_18TensorIteratorBaseERKT_EUlibE_EEviT1_.uses_vcc, 1
	.set _ZN2at6native32elementwise_kernel_manual_unrollILi128ELi4EZNS0_15gpu_kernel_implINS0_11FillFunctorIN3c104HalfEEEEEvRNS_18TensorIteratorBaseERKT_EUlibE_EEviT1_.uses_flat_scratch, 0
	.set _ZN2at6native32elementwise_kernel_manual_unrollILi128ELi4EZNS0_15gpu_kernel_implINS0_11FillFunctorIN3c104HalfEEEEEvRNS_18TensorIteratorBaseERKT_EUlibE_EEviT1_.has_dyn_sized_stack, 0
	.set _ZN2at6native32elementwise_kernel_manual_unrollILi128ELi4EZNS0_15gpu_kernel_implINS0_11FillFunctorIN3c104HalfEEEEEvRNS_18TensorIteratorBaseERKT_EUlibE_EEviT1_.has_recursion, 0
	.set _ZN2at6native32elementwise_kernel_manual_unrollILi128ELi4EZNS0_15gpu_kernel_implINS0_11FillFunctorIN3c104HalfEEEEEvRNS_18TensorIteratorBaseERKT_EUlibE_EEviT1_.has_indirect_call, 0
	.section	.AMDGPU.csdata,"",@progbits
; Kernel info:
; codeLenInByte = 12452
; TotalNumSgprs: 66
; NumVgprs: 21
; ScratchSize: 0
; MemoryBound: 0
; FloatMode: 240
; IeeeMode: 1
; LDSByteSize: 0 bytes/workgroup (compile time only)
; SGPRBlocks: 8
; VGPRBlocks: 5
; NumSGPRsForWavesPerEU: 66
; NumVGPRsForWavesPerEU: 21
; Occupancy: 10
; WaveLimiterHint : 0
; COMPUTE_PGM_RSRC2:SCRATCH_EN: 0
; COMPUTE_PGM_RSRC2:USER_SGPR: 6
; COMPUTE_PGM_RSRC2:TRAP_HANDLER: 0
; COMPUTE_PGM_RSRC2:TGID_X_EN: 1
; COMPUTE_PGM_RSRC2:TGID_Y_EN: 0
; COMPUTE_PGM_RSRC2:TGID_Z_EN: 0
; COMPUTE_PGM_RSRC2:TIDIG_COMP_CNT: 0
	.section	.text._ZN2at6native32elementwise_kernel_manual_unrollILi128ELi4EZNS0_15gpu_kernel_implINS0_11FillFunctorIN3c104HalfEEEEEvRNS_18TensorIteratorBaseERKT_EUlibE0_EEviT1_,"axG",@progbits,_ZN2at6native32elementwise_kernel_manual_unrollILi128ELi4EZNS0_15gpu_kernel_implINS0_11FillFunctorIN3c104HalfEEEEEvRNS_18TensorIteratorBaseERKT_EUlibE0_EEviT1_,comdat
	.protected	_ZN2at6native32elementwise_kernel_manual_unrollILi128ELi4EZNS0_15gpu_kernel_implINS0_11FillFunctorIN3c104HalfEEEEEvRNS_18TensorIteratorBaseERKT_EUlibE0_EEviT1_ ; -- Begin function _ZN2at6native32elementwise_kernel_manual_unrollILi128ELi4EZNS0_15gpu_kernel_implINS0_11FillFunctorIN3c104HalfEEEEEvRNS_18TensorIteratorBaseERKT_EUlibE0_EEviT1_
	.globl	_ZN2at6native32elementwise_kernel_manual_unrollILi128ELi4EZNS0_15gpu_kernel_implINS0_11FillFunctorIN3c104HalfEEEEEvRNS_18TensorIteratorBaseERKT_EUlibE0_EEviT1_
	.p2align	8
	.type	_ZN2at6native32elementwise_kernel_manual_unrollILi128ELi4EZNS0_15gpu_kernel_implINS0_11FillFunctorIN3c104HalfEEEEEvRNS_18TensorIteratorBaseERKT_EUlibE0_EEviT1_,@function
_ZN2at6native32elementwise_kernel_manual_unrollILi128ELi4EZNS0_15gpu_kernel_implINS0_11FillFunctorIN3c104HalfEEEEEvRNS_18TensorIteratorBaseERKT_EUlibE0_EEviT1_: ; @_ZN2at6native32elementwise_kernel_manual_unrollILi128ELi4EZNS0_15gpu_kernel_implINS0_11FillFunctorIN3c104HalfEEEEEvRNS_18TensorIteratorBaseERKT_EUlibE0_EEviT1_
; %bb.0:
	s_load_dword s92, s[4:5], 0x0
	s_load_dword s33, s[4:5], 0x8
	s_add_u32 s28, s4, 8
	s_addc_u32 s29, s5, 0
	v_lshl_or_b32 v13, s6, 9, v0
	v_or_b32_e32 v8, 0x180, v13
	s_waitcnt lgkmcnt(0)
	s_add_i32 s80, s33, -1
	s_cmp_gt_u32 s80, 1
	v_cmp_le_i32_e32 vcc, s92, v8
	s_cselect_b64 s[34:35], -1, 0
	s_mov_b64 s[30:31], 0
	s_mov_b64 s[6:7], 0
	s_and_saveexec_b64 s[0:1], vcc
	s_xor_b64 s[36:37], exec, s[0:1]
	s_cbranch_execz .LBB103_462
; %bb.1:
	s_load_dword s81, s[28:29], 0x110
	s_load_dwordx2 s[56:57], s[28:29], 0xc4
	s_load_dword s0, s[4:5], 0x118
	s_load_dwordx2 s[54:55], s[28:29], 0x108
	s_cmp_lg_u32 s33, 0
	s_waitcnt lgkmcnt(0)
	v_cvt_f32_f16_e32 v6, s81
	s_cselect_b64 s[64:65], -1, 0
	s_add_u32 s62, s28, 0xc4
	s_addc_u32 s63, s29, 0
	s_min_u32 s93, s80, 15
	s_cmp_gt_u32 s33, 1
	v_and_b32_e32 v2, 0x400000, v6
	s_cselect_b64 s[58:59], -1, 0
	s_lshr_b32 s91, s0, 16
	v_bfe_u32 v1, v6, 23, 8
	s_movk_i32 s0, 0xff
	v_cmp_ne_u32_e32 vcc, 0, v2
	v_and_b32_e32 v2, 0x3fffff, v6
	v_cmp_eq_u32_e64 s[6:7], s0, v1
	v_or_b32_e32 v1, v1, v2
	v_cmp_ne_u32_e64 s[0:1], 0, v1
	v_readfirstlane_b32 s8, v6
	s_and_b32 s82, s81, 0xffff
	s_and_b64 s[0:1], vcc, s[0:1]
	s_and_b32 s9, s8, 0x7fffffff
	s_cmp_lt_u32 s9, 0x43800000
	s_cselect_b64 s[50:51], -1, 0
	s_cmp_gt_u32 s9, 0x3bffffff
	v_cndmask_b32_e64 v1, 0, 1, s[0:1]
	s_cselect_b64 s[2:3], -1, 0
	s_bfe_u32 s0, s8, 0x10014
	s_add_i32 s10, s8, s0
	s_add_i32 s0, s10, 0x487ffff
	s_lshr_b32 s90, s0, 20
	s_mov_b32 s0, 0x46000000
	v_add_f32_e64 v18, |v6|, s0
	v_readfirstlane_b32 s0, v18
	s_and_b32 s0, s0, 0xff
	s_cmp_lg_u32 s0, 0
	s_cselect_b64 s[52:53], -1, 0
	s_cmp_gt_u32 s9, 0x477fffff
	s_cselect_b64 s[38:39], -1, 0
	s_cmp_lt_u32 s9, 0x47800000
	s_movk_i32 s0, 0x80
	s_cselect_b64 s[46:47], -1, 0
	s_cmp_gt_u32 s9, 0x37ffffff
	v_and_b32_sdwa v15, v6, s0 dst_sel:DWORD dst_unused:UNUSED_PAD src0_sel:BYTE_3 src1_sel:DWORD
	s_cselect_b64 s[0:1], -1, 0
	s_bfe_u32 s11, s8, 0x10015
	s_add_i32 s8, s8, s11
	s_add_i32 s11, s8, 0x88fffff
	s_lshr_b32 s88, s11, 21
	s_mov_b32 s11, 0x42800000
	v_add_f32_e64 v17, |v6|, s11
	v_readfirstlane_b32 s11, v17
	s_and_b32 s11, s11, 0xff
	s_cmp_lg_u32 s11, 0
	s_cselect_b64 s[48:49], -1, 0
	s_cmp_gt_u32 s9, 0x43efffff
	s_cselect_b64 s[42:43], -1, 0
	s_cmp_lt_u32 s9, 0x3c800000
	s_cselect_b64 s[44:45], -1, 0
	s_add_i32 s10, s10, 0x407ffff
	s_lshr_b32 s11, s10, 20
	s_and_b32 s10, s10, 0xff00000
	s_cmp_lg_u32 s10, 0x7f00000
	s_cselect_b32 s86, s11, 0x7e
	s_cmp_lt_u32 s9, 0x38800000
	s_cselect_b64 s[40:41], -1, 0
	s_add_i32 s8, s8, 0x80fffff
	s_lshr_b32 s83, s8, 21
	v_lshrrev_b32_e32 v0, 23, v6
	s_mov_b32 s10, 0x46800000
	s_cmp_gt_u32 s9, 0x7f800000
	s_movk_i32 s8, 0x7f
	v_add_u32_e32 v20, v0, v1
	v_add_f32_e64 v0, |v6|, s10
	s_cselect_b32 s89, s8, 0x7e
	s_mov_b32 s8, 0x43000000
	v_readfirstlane_b32 s87, v0
	v_add_f32_e64 v0, |v6|, s8
	v_readfirstlane_b32 s84, v0
	v_bfe_u32 v0, v6, 16, 1
	v_add_u32_e32 v0, v6, v0
	v_add_u32_e32 v0, 0x7fff, v0
	s_movk_i32 s8, 0x7c
	v_lshrrev_b32_e32 v0, 16, v0
	v_mov_b32_e32 v1, 0x7fc0
	v_cmp_o_f16_e64 vcc, s81, s81
	v_cvt_i32_f32_e32 v4, v6
	s_load_dwordx2 s[60:61], s[28:29], 0x14
	s_load_dwordx4 s[16:19], s[28:29], 0x4
	v_cvt_u32_f32_e32 v8, v6
	s_cselect_b32 s85, 0x7f, s8
	v_cndmask_b32_e32 v16, v1, v0, vcc
	s_and_b32 s8, s81, 0x7fff
	v_cvt_f64_f32_e32 v[0:1], v6
	s_cmp_lg_u32 s8, 0
	s_cselect_b64 s[8:9], -1, 0
	v_mov_b32_e32 v9, 0
	v_cvt_u16_f16_e32 v19, s81
	v_cndmask_b32_e64 v14, 0, 1, s[8:9]
	v_ashrrev_i32_e32 v5, 31, v4
	v_cvt_i16_f16_e32 v12, s81
	v_cmp_gt_i32_e32 vcc, s92, v13
	s_mov_b64 s[10:11], -1
	s_mov_b64 s[72:73], 0
	s_mov_b64 s[66:67], 0
	s_and_saveexec_b64 s[68:69], vcc
	s_cbranch_execz .LBB103_114
; %bb.2:
	s_andn2_b64 vcc, exec, s[34:35]
	s_cbranch_vccnz .LBB103_7
; %bb.3:
	s_andn2_b64 vcc, exec, s[64:65]
	s_cbranch_vccnz .LBB103_8
; %bb.4:
	s_add_i32 s75, s93, 1
	s_cmp_eq_u32 s80, 2
	s_cbranch_scc1 .LBB103_9
; %bb.5:
	s_and_b32 s74, s75, 28
	s_mov_b32 s76, 0
	v_mov_b32_e32 v2, 0
	s_mov_b64 s[66:67], s[28:29]
	s_mov_b64 s[70:71], s[62:63]
	v_mov_b32_e32 v3, v13
.LBB103_6:                              ; =>This Inner Loop Header: Depth=1
	s_load_dwordx8 s[8:15], s[66:67], 0x4
	s_load_dwordx4 s[20:23], s[66:67], 0x24
	s_load_dwordx4 s[24:27], s[70:71], 0x0
	s_add_u32 s66, s66, 48
	s_addc_u32 s67, s67, 0
	s_waitcnt lgkmcnt(0)
	v_mul_hi_u32 v7, s9, v3
	s_add_i32 s76, s76, 4
	s_add_u32 s70, s70, 16
	s_addc_u32 s71, s71, 0
	v_add_u32_e32 v7, v3, v7
	v_lshrrev_b32_e32 v7, s10, v7
	v_mul_lo_u32 v10, v7, s8
	v_mul_hi_u32 v11, s12, v7
	s_cmp_lg_u32 s74, s76
	v_sub_u32_e32 v3, v3, v10
	v_add_u32_e32 v10, v7, v11
	v_lshrrev_b32_e32 v10, s13, v10
	v_mul_lo_u32 v11, v3, s24
	v_mul_hi_u32 v3, s15, v10
	v_mul_lo_u32 v22, v10, s11
	v_add_u32_e32 v3, v10, v3
	v_lshrrev_b32_e32 v21, s20, v3
	v_mul_hi_u32 v3, s22, v21
	v_sub_u32_e32 v7, v7, v22
	v_mul_lo_u32 v22, v21, s14
	v_mul_lo_u32 v7, v7, s25
	v_add_u32_e32 v3, v21, v3
	v_lshrrev_b32_e32 v3, s23, v3
	v_mul_lo_u32 v23, v3, s21
	v_sub_u32_e32 v10, v10, v22
	v_mul_lo_u32 v10, v10, s26
	v_add3_u32 v2, v11, v2, v7
	v_sub_u32_e32 v21, v21, v23
	v_mul_lo_u32 v21, v21, s27
	v_add3_u32 v2, v10, v2, v21
	s_cbranch_scc1 .LBB103_6
	s_branch .LBB103_10
.LBB103_7:
                                        ; implicit-def: $vgpr2
	s_branch .LBB103_14
.LBB103_8:
	v_mov_b32_e32 v2, 0
	s_branch .LBB103_13
.LBB103_9:
	v_mov_b32_e32 v2, 0
	s_mov_b32 s74, 0
	v_mov_b32_e32 v3, v13
.LBB103_10:
	s_and_b32 s12, s75, 3
	s_cmp_eq_u32 s12, 0
	s_cbranch_scc1 .LBB103_13
; %bb.11:
	s_lshl_b32 s8, s74, 2
	s_add_u32 s8, s28, s8
	s_addc_u32 s9, s29, 0
	s_add_u32 s8, s8, 0xc4
	s_addc_u32 s9, s9, 0
	s_mul_i32 s10, s74, 12
	s_add_u32 s10, s28, s10
	s_addc_u32 s11, s29, 0
.LBB103_12:                             ; =>This Inner Loop Header: Depth=1
	s_load_dwordx2 s[14:15], s[10:11], 0x4
	s_load_dword s13, s[10:11], 0xc
	s_add_u32 s10, s10, 12
	s_addc_u32 s11, s11, 0
	s_waitcnt lgkmcnt(0)
	v_mul_hi_u32 v7, s15, v3
	s_load_dword s15, s[8:9], 0x0
	s_add_u32 s8, s8, 4
	s_addc_u32 s9, s9, 0
	v_add_u32_e32 v7, v3, v7
	v_lshrrev_b32_e32 v7, s13, v7
	v_mul_lo_u32 v10, v7, s14
	s_add_i32 s12, s12, -1
	s_cmp_lg_u32 s12, 0
	v_sub_u32_e32 v3, v3, v10
	s_waitcnt lgkmcnt(0)
	v_mad_u64_u32 v[2:3], s[14:15], v3, s15, v[2:3]
	v_mov_b32_e32 v3, v7
	s_cbranch_scc1 .LBB103_12
.LBB103_13:
	s_cbranch_execnz .LBB103_16
.LBB103_14:
	s_waitcnt lgkmcnt(0)
	v_mul_hi_u32 v2, s17, v13
	s_andn2_b64 vcc, exec, s[58:59]
	v_add_u32_e32 v2, v13, v2
	v_lshrrev_b32_e32 v3, s18, v2
	v_mul_lo_u32 v2, v3, s16
	v_sub_u32_e32 v2, v13, v2
	v_mul_lo_u32 v2, v2, s56
	s_cbranch_vccnz .LBB103_16
; %bb.15:
	v_mul_hi_u32 v7, s60, v3
	v_add_u32_e32 v7, v3, v7
	v_lshrrev_b32_e32 v7, s61, v7
	v_mul_lo_u32 v7, v7, s19
	v_sub_u32_e32 v3, v3, v7
	v_mad_u64_u32 v[2:3], s[8:9], v3, s57, v[2:3]
.LBB103_16:
	v_mov_b32_e32 v3, s55
	s_and_b32 s14, s91, 0xff
	v_add_co_u32_e32 v10, vcc, s54, v2
	s_cmp_lt_i32 s14, 11
	v_addc_co_u32_e32 v11, vcc, 0, v3, vcc
	s_cbranch_scc1 .LBB103_23
; %bb.17:
	s_and_b32 s15, 0xffff, s14
	s_cmp_gt_i32 s15, 25
	s_cbranch_scc0 .LBB103_26
; %bb.18:
	s_cmp_gt_i32 s15, 28
	s_cbranch_scc0 .LBB103_27
; %bb.19:
	;; [unrolled: 3-line block ×4, first 2 shown]
	s_mov_b64 s[12:13], 0
	s_mov_b64 s[8:9], -1
	s_cmp_eq_u32 s15, 46
	s_mov_b64 s[10:11], 0
	s_cbranch_scc0 .LBB103_30
; %bb.22:
	global_store_dword v[10:11], v16, off
	s_mov_b64 s[10:11], -1
	s_mov_b64 s[8:9], 0
	s_branch .LBB103_30
.LBB103_23:
	s_mov_b64 s[8:9], 0
	s_mov_b64 s[10:11], 0
	s_cbranch_execnz .LBB103_74
.LBB103_24:
	s_andn2_b64 vcc, exec, s[10:11]
	s_cbranch_vccnz .LBB103_112
.LBB103_25:
	v_add_u32_e32 v13, 0x80, v13
	s_mov_b64 s[10:11], -1
	s_branch .LBB103_113
.LBB103_26:
	s_mov_b64 s[8:9], 0
	s_mov_b64 s[10:11], 0
	s_cbranch_execnz .LBB103_52
	s_branch .LBB103_73
.LBB103_27:
	s_mov_b64 s[12:13], -1
	s_mov_b64 s[8:9], 0
	s_mov_b64 s[10:11], 0
	s_branch .LBB103_38
.LBB103_28:
	s_mov_b64 s[12:13], -1
	s_mov_b64 s[8:9], 0
	s_mov_b64 s[10:11], 0
	s_branch .LBB103_34
.LBB103_29:
	s_mov_b64 s[12:13], -1
	s_mov_b64 s[8:9], 0
	s_mov_b64 s[10:11], 0
.LBB103_30:
	s_and_b64 vcc, exec, s[12:13]
	s_cbranch_vccz .LBB103_33
; %bb.31:
	s_cmp_eq_u32 s15, 44
	s_mov_b64 s[8:9], -1
	s_cbranch_scc0 .LBB103_33
; %bb.32:
	v_mov_b32_e32 v2, 0xffff
	v_cndmask_b32_e64 v2, v20, v2, s[6:7]
	global_store_byte v[10:11], v2, off
	s_mov_b64 s[10:11], -1
	s_mov_b64 s[8:9], 0
.LBB103_33:
	s_mov_b64 s[12:13], 0
.LBB103_34:
	s_and_b64 vcc, exec, s[12:13]
	s_cbranch_vccz .LBB103_37
; %bb.35:
	s_cmp_eq_u32 s15, 29
	s_mov_b64 s[8:9], -1
	s_cbranch_scc0 .LBB103_37
; %bb.36:
	global_store_dwordx2 v[10:11], v[8:9], off
	s_mov_b64 s[10:11], -1
	s_mov_b64 s[8:9], 0
.LBB103_37:
	s_mov_b64 s[12:13], 0
.LBB103_38:
	s_and_b64 vcc, exec, s[12:13]
	s_cbranch_vccz .LBB103_51
; %bb.39:
	s_cmp_lt_i32 s15, 27
	s_mov_b64 s[10:11], -1
	s_cbranch_scc1 .LBB103_45
; %bb.40:
	s_cmp_gt_i32 s15, 27
	s_cbranch_scc0 .LBB103_42
; %bb.41:
	s_mov_b64 s[10:11], 0
	global_store_dword v[10:11], v8, off
.LBB103_42:
	s_andn2_b64 vcc, exec, s[10:11]
	s_cbranch_vccnz .LBB103_44
; %bb.43:
	global_store_short v[10:11], v19, off
.LBB103_44:
	s_mov_b64 s[10:11], 0
.LBB103_45:
	s_andn2_b64 vcc, exec, s[10:11]
	s_cbranch_vccnz .LBB103_50
; %bb.46:
	s_andn2_b64 vcc, exec, s[50:51]
	v_mov_b32_e32 v2, 0x80
	s_cbranch_vccnz .LBB103_49
; %bb.47:
	s_or_b64 s[10:11], s[2:3], s[52:53]
	s_andn2_b64 vcc, exec, s[10:11]
	v_mov_b32_e32 v2, 0
	s_cbranch_vccnz .LBB103_49
; %bb.48:
	v_mov_b32_e32 v2, s90
	v_cndmask_b32_e64 v2, v18, v2, s[2:3]
	v_or_b32_e32 v2, v2, v15
.LBB103_49:
	global_store_byte v[10:11], v2, off
.LBB103_50:
	s_mov_b64 s[10:11], -1
.LBB103_51:
	s_branch .LBB103_73
.LBB103_52:
	s_cmp_gt_i32 s15, 22
	s_mov_b64 s[12:13], -1
	s_cbranch_scc0 .LBB103_65
; %bb.53:
	s_cmp_lt_i32 s15, 24
	s_mov_b64 s[10:11], -1
	s_cbranch_scc1 .LBB103_62
; %bb.54:
	s_cmp_gt_i32 s15, 24
	s_cbranch_scc0 .LBB103_59
; %bb.55:
	s_andn2_b64 vcc, exec, s[46:47]
	v_mov_b32_e32 v2, 0x80
	s_cbranch_vccnz .LBB103_58
; %bb.56:
	s_or_b64 s[10:11], s[0:1], s[48:49]
	s_andn2_b64 vcc, exec, s[10:11]
	v_mov_b32_e32 v2, 0
	s_cbranch_vccnz .LBB103_58
; %bb.57:
	v_mov_b32_e32 v2, s88
	v_cndmask_b32_e64 v2, v17, v2, s[0:1]
	v_or_b32_e32 v2, v2, v15
.LBB103_58:
	s_mov_b64 s[10:11], 0
	global_store_byte v[10:11], v2, off
.LBB103_59:
	s_and_b64 vcc, exec, s[10:11]
	s_cbranch_vccz .LBB103_61
; %bb.60:
	s_and_b64 s[10:11], s[44:45], exec
	s_cselect_b32 s12, s87, s86
	s_and_b64 s[10:11], s[42:43], exec
	s_cselect_b32 s10, s89, s12
	v_or_b32_e32 v2, s10, v15
	global_store_byte v[10:11], v2, off
.LBB103_61:
	s_mov_b64 s[10:11], 0
.LBB103_62:
	s_andn2_b64 vcc, exec, s[10:11]
	s_cbranch_vccnz .LBB103_64
; %bb.63:
	s_and_b64 s[10:11], s[40:41], exec
	s_cselect_b32 s12, s84, s83
	s_and_b64 s[10:11], s[38:39], exec
	s_cselect_b32 s10, s85, s12
	v_or_b32_e32 v2, s10, v15
	global_store_byte v[10:11], v2, off
.LBB103_64:
	s_mov_b64 s[12:13], 0
	s_mov_b64 s[10:11], -1
.LBB103_65:
	s_andn2_b64 vcc, exec, s[12:13]
	s_cbranch_vccnz .LBB103_73
; %bb.66:
	s_cmp_gt_i32 s15, 14
	s_mov_b64 s[12:13], -1
	s_cbranch_scc0 .LBB103_70
; %bb.67:
	s_cmp_eq_u32 s15, 15
	s_mov_b64 s[8:9], -1
	s_cbranch_scc0 .LBB103_69
; %bb.68:
	global_store_short v[10:11], v16, off
	s_mov_b64 s[10:11], -1
	s_mov_b64 s[8:9], 0
.LBB103_69:
	s_mov_b64 s[12:13], 0
.LBB103_70:
	s_and_b64 vcc, exec, s[12:13]
	s_cbranch_vccz .LBB103_73
; %bb.71:
	s_cmp_eq_u32 s15, 11
	s_mov_b64 s[8:9], -1
	s_cbranch_scc0 .LBB103_73
; %bb.72:
	s_mov_b64 s[10:11], -1
	s_mov_b64 s[8:9], 0
	global_store_byte v[10:11], v14, off
.LBB103_73:
	s_branch .LBB103_24
.LBB103_74:
	s_and_b32 s12, 0xffff, s14
	s_cmp_lt_i32 s12, 5
	s_mov_b64 s[10:11], -1
	s_cbranch_scc1 .LBB103_95
; %bb.75:
	s_cmp_lt_i32 s12, 8
	s_cbranch_scc1 .LBB103_85
; %bb.76:
	s_cmp_lt_i32 s12, 9
	s_cbranch_scc1 .LBB103_82
; %bb.77:
	s_cmp_gt_i32 s12, 9
	s_cbranch_scc0 .LBB103_79
; %bb.78:
	v_mov_b32_e32 v2, 0
	v_mov_b32_e32 v3, v2
	global_store_dwordx4 v[10:11], v[0:3], off
	s_mov_b64 s[10:11], 0
.LBB103_79:
	s_andn2_b64 vcc, exec, s[10:11]
	s_cbranch_vccnz .LBB103_81
; %bb.80:
	v_mov_b32_e32 v7, 0
	global_store_dwordx2 v[10:11], v[6:7], off
.LBB103_81:
	s_mov_b64 s[10:11], 0
.LBB103_82:
	s_andn2_b64 vcc, exec, s[10:11]
	s_cbranch_vccnz .LBB103_84
; %bb.83:
	v_mov_b32_e32 v2, s82
	global_store_dword v[10:11], v2, off
.LBB103_84:
	s_mov_b64 s[10:11], 0
.LBB103_85:
	s_andn2_b64 vcc, exec, s[10:11]
	s_cbranch_vccnz .LBB103_94
; %bb.86:
	s_cmp_lt_i32 s12, 6
	s_mov_b64 s[10:11], -1
	s_cbranch_scc1 .LBB103_92
; %bb.87:
	s_cmp_gt_i32 s12, 6
	s_cbranch_scc0 .LBB103_89
; %bb.88:
	global_store_dwordx2 v[10:11], v[0:1], off
	s_mov_b64 s[10:11], 0
.LBB103_89:
	s_andn2_b64 vcc, exec, s[10:11]
	s_cbranch_vccnz .LBB103_91
; %bb.90:
	global_store_dword v[10:11], v6, off
.LBB103_91:
	s_mov_b64 s[10:11], 0
.LBB103_92:
	s_andn2_b64 vcc, exec, s[10:11]
	s_cbranch_vccnz .LBB103_94
; %bb.93:
	v_mov_b32_e32 v2, s81
	global_store_short v[10:11], v2, off
.LBB103_94:
	s_mov_b64 s[10:11], 0
.LBB103_95:
	s_andn2_b64 vcc, exec, s[10:11]
	s_cbranch_vccnz .LBB103_111
; %bb.96:
	s_cmp_lt_i32 s12, 2
	s_mov_b64 s[10:11], -1
	s_cbranch_scc1 .LBB103_106
; %bb.97:
	s_cmp_lt_i32 s12, 3
	s_cbranch_scc1 .LBB103_103
; %bb.98:
	s_cmp_gt_i32 s12, 3
	s_cbranch_scc0 .LBB103_100
; %bb.99:
	global_store_dwordx2 v[10:11], v[4:5], off
	s_mov_b64 s[10:11], 0
.LBB103_100:
	s_andn2_b64 vcc, exec, s[10:11]
	s_cbranch_vccnz .LBB103_102
; %bb.101:
	global_store_dword v[10:11], v4, off
.LBB103_102:
	s_mov_b64 s[10:11], 0
.LBB103_103:
	s_andn2_b64 vcc, exec, s[10:11]
	s_cbranch_vccnz .LBB103_105
; %bb.104:
	global_store_short v[10:11], v12, off
.LBB103_105:
	s_mov_b64 s[10:11], 0
.LBB103_106:
	s_andn2_b64 vcc, exec, s[10:11]
	s_cbranch_vccnz .LBB103_111
; %bb.107:
	s_cmp_gt_i32 s12, 0
	s_mov_b64 s[10:11], -1
	s_cbranch_scc0 .LBB103_109
; %bb.108:
	global_store_byte v[10:11], v12, off
	s_mov_b64 s[10:11], 0
.LBB103_109:
	s_andn2_b64 vcc, exec, s[10:11]
	s_cbranch_vccnz .LBB103_111
; %bb.110:
	global_store_byte v[10:11], v4, off
.LBB103_111:
	s_branch .LBB103_25
.LBB103_112:
	s_mov_b64 s[10:11], 0
                                        ; implicit-def: $vgpr13
.LBB103_113:
	s_and_b64 s[66:67], s[8:9], exec
	s_orn2_b64 s[10:11], s[10:11], exec
.LBB103_114:
	s_or_b64 exec, exec, s[68:69]
	s_mov_b64 s[8:9], 0
                                        ; implicit-def: $sgpr20
                                        ; implicit-def: $vgpr10_vgpr11
	s_and_saveexec_b64 s[68:69], s[10:11]
	s_cbranch_execz .LBB103_121
; %bb.115:
	v_cmp_gt_i32_e32 vcc, s92, v13
	s_mov_b64 s[8:9], -1
	s_mov_b64 s[70:71], s[66:67]
	s_and_saveexec_b64 s[72:73], vcc
	s_cbranch_execz .LBB103_232
; %bb.116:
	s_andn2_b64 vcc, exec, s[34:35]
	s_cbranch_vccnz .LBB103_124
; %bb.117:
	s_andn2_b64 vcc, exec, s[64:65]
	s_cbranch_vccnz .LBB103_125
; %bb.118:
	s_add_i32 s77, s93, 1
	s_cmp_eq_u32 s80, 2
	s_cbranch_scc1 .LBB103_126
; %bb.119:
	s_and_b32 s76, s77, 28
	s_mov_b32 s78, 0
	v_mov_b32_e32 v2, 0
	s_mov_b64 s[70:71], s[28:29]
	s_mov_b64 s[74:75], s[62:63]
	v_mov_b32_e32 v3, v13
.LBB103_120:                            ; =>This Inner Loop Header: Depth=1
	s_load_dwordx8 s[8:15], s[70:71], 0x4
	s_load_dwordx4 s[20:23], s[70:71], 0x24
	s_load_dwordx4 s[24:27], s[74:75], 0x0
	s_add_u32 s70, s70, 48
	s_addc_u32 s71, s71, 0
	s_waitcnt lgkmcnt(0)
	v_mul_hi_u32 v7, s9, v3
	s_add_i32 s78, s78, 4
	s_add_u32 s74, s74, 16
	s_addc_u32 s75, s75, 0
	v_add_u32_e32 v7, v3, v7
	v_lshrrev_b32_e32 v7, s10, v7
	v_mul_lo_u32 v10, v7, s8
	v_mul_hi_u32 v11, s12, v7
	s_cmp_eq_u32 s76, s78
	v_sub_u32_e32 v3, v3, v10
	v_add_u32_e32 v10, v7, v11
	v_lshrrev_b32_e32 v10, s13, v10
	v_mul_lo_u32 v11, v3, s24
	v_mul_hi_u32 v3, s15, v10
	v_mul_lo_u32 v22, v10, s11
	v_add_u32_e32 v3, v10, v3
	v_lshrrev_b32_e32 v21, s20, v3
	v_mul_hi_u32 v3, s22, v21
	v_sub_u32_e32 v7, v7, v22
	v_mul_lo_u32 v22, v21, s14
	v_mul_lo_u32 v7, v7, s25
	v_add_u32_e32 v3, v21, v3
	v_lshrrev_b32_e32 v3, s23, v3
	v_mul_lo_u32 v23, v3, s21
	v_sub_u32_e32 v10, v10, v22
	v_mul_lo_u32 v10, v10, s26
	v_add3_u32 v2, v11, v2, v7
	v_sub_u32_e32 v21, v21, v23
	v_mul_lo_u32 v21, v21, s27
	v_add3_u32 v2, v10, v2, v21
	s_cbranch_scc0 .LBB103_120
	s_branch .LBB103_127
.LBB103_121:
	s_or_b64 exec, exec, s[68:69]
	s_mov_b64 s[0:1], 0
	s_and_saveexec_b64 s[2:3], s[66:67]
	s_cbranch_execnz .LBB103_422
.LBB103_122:
	s_or_b64 exec, exec, s[2:3]
	s_and_saveexec_b64 s[2:3], s[72:73]
	s_xor_b64 s[2:3], exec, s[2:3]
	s_cbranch_execz .LBB103_423
.LBB103_123:
	global_store_byte v[10:11], v14, off
	s_or_b64 exec, exec, s[2:3]
	s_and_saveexec_b64 s[2:3], s[8:9]
	s_xor_b64 s[2:3], exec, s[2:3]
	s_cbranch_execz .LBB103_461
	s_branch .LBB103_424
.LBB103_124:
                                        ; implicit-def: $vgpr2
	s_andn2_b64 vcc, exec, s[8:9]
	s_cbranch_vccz .LBB103_131
	s_branch .LBB103_133
.LBB103_125:
	v_mov_b32_e32 v2, 0
	s_branch .LBB103_130
.LBB103_126:
	v_mov_b32_e32 v2, 0
	s_mov_b32 s76, 0
	v_mov_b32_e32 v3, v13
.LBB103_127:
	s_and_b32 s12, s77, 3
	s_cmp_eq_u32 s12, 0
	s_cbranch_scc1 .LBB103_130
; %bb.128:
	s_lshl_b32 s8, s76, 2
	s_add_u32 s8, s28, s8
	s_addc_u32 s9, s29, 0
	s_add_u32 s8, s8, 0xc4
	s_addc_u32 s9, s9, 0
	s_mul_i32 s10, s76, 12
	s_add_u32 s10, s28, s10
	s_addc_u32 s11, s29, 0
.LBB103_129:                            ; =>This Inner Loop Header: Depth=1
	s_load_dwordx2 s[14:15], s[10:11], 0x4
	s_load_dword s13, s[10:11], 0xc
	s_add_u32 s10, s10, 12
	s_addc_u32 s11, s11, 0
	s_waitcnt lgkmcnt(0)
	v_mul_hi_u32 v7, s15, v3
	s_load_dword s15, s[8:9], 0x0
	s_add_u32 s8, s8, 4
	s_addc_u32 s9, s9, 0
	v_add_u32_e32 v7, v3, v7
	v_lshrrev_b32_e32 v7, s13, v7
	v_mul_lo_u32 v10, v7, s14
	s_add_i32 s12, s12, -1
	s_cmp_lg_u32 s12, 0
	v_sub_u32_e32 v3, v3, v10
	s_waitcnt lgkmcnt(0)
	v_mad_u64_u32 v[2:3], s[14:15], v3, s15, v[2:3]
	v_mov_b32_e32 v3, v7
	s_cbranch_scc1 .LBB103_129
.LBB103_130:
	s_cbranch_execnz .LBB103_133
.LBB103_131:
	s_waitcnt lgkmcnt(0)
	v_mul_hi_u32 v2, s17, v13
	s_andn2_b64 vcc, exec, s[58:59]
	v_add_u32_e32 v2, v13, v2
	v_lshrrev_b32_e32 v3, s18, v2
	v_mul_lo_u32 v2, v3, s16
	v_sub_u32_e32 v2, v13, v2
	v_mul_lo_u32 v2, v2, s56
	s_cbranch_vccnz .LBB103_133
; %bb.132:
	v_mul_hi_u32 v7, s60, v3
	v_add_u32_e32 v7, v3, v7
	v_lshrrev_b32_e32 v7, s61, v7
	v_mul_lo_u32 v7, v7, s19
	v_sub_u32_e32 v3, v3, v7
	v_mad_u64_u32 v[2:3], s[8:9], v3, s57, v[2:3]
.LBB103_133:
	v_mov_b32_e32 v3, s55
	s_and_b32 s14, s91, 0xff
	v_add_co_u32_e32 v10, vcc, s54, v2
	s_cmp_lt_i32 s14, 11
	v_addc_co_u32_e32 v11, vcc, 0, v3, vcc
	s_cbranch_scc1 .LBB103_140
; %bb.134:
	s_and_b32 s15, 0xffff, s14
	s_cmp_gt_i32 s15, 25
	s_cbranch_scc0 .LBB103_143
; %bb.135:
	s_cmp_gt_i32 s15, 28
	s_cbranch_scc0 .LBB103_144
; %bb.136:
	;; [unrolled: 3-line block ×4, first 2 shown]
	s_mov_b64 s[12:13], 0
	s_mov_b64 s[8:9], -1
	s_cmp_eq_u32 s15, 46
	s_mov_b64 s[10:11], 0
	s_cbranch_scc0 .LBB103_147
; %bb.139:
	global_store_dword v[10:11], v16, off
	s_mov_b64 s[10:11], -1
	s_mov_b64 s[8:9], 0
	s_branch .LBB103_147
.LBB103_140:
	s_mov_b64 s[10:11], 0
	s_mov_b64 s[8:9], s[66:67]
	s_cbranch_execnz .LBB103_192
.LBB103_141:
	s_andn2_b64 vcc, exec, s[10:11]
	s_cbranch_vccnz .LBB103_230
.LBB103_142:
	v_add_u32_e32 v13, 0x80, v13
	s_mov_b64 s[10:11], -1
	s_branch .LBB103_231
.LBB103_143:
	s_mov_b64 s[12:13], -1
	s_mov_b64 s[10:11], 0
	s_mov_b64 s[8:9], s[66:67]
	s_branch .LBB103_169
.LBB103_144:
	s_mov_b64 s[12:13], -1
	s_mov_b64 s[10:11], 0
	s_mov_b64 s[8:9], s[66:67]
	s_branch .LBB103_155
.LBB103_145:
	s_mov_b64 s[12:13], -1
	s_mov_b64 s[10:11], 0
	s_mov_b64 s[8:9], s[66:67]
	s_branch .LBB103_151
.LBB103_146:
	s_mov_b64 s[12:13], -1
	s_mov_b64 s[10:11], 0
	s_mov_b64 s[8:9], s[66:67]
.LBB103_147:
	s_and_b64 vcc, exec, s[12:13]
	s_cbranch_vccz .LBB103_150
; %bb.148:
	s_cmp_eq_u32 s15, 44
	s_mov_b64 s[8:9], -1
	s_cbranch_scc0 .LBB103_150
; %bb.149:
	v_mov_b32_e32 v2, 0xffff
	v_cndmask_b32_e64 v2, v20, v2, s[6:7]
	s_mov_b64 s[10:11], -1
	s_mov_b64 s[8:9], 0
	global_store_byte v[10:11], v2, off
.LBB103_150:
	s_mov_b64 s[12:13], 0
.LBB103_151:
	s_and_b64 vcc, exec, s[12:13]
	s_cbranch_vccz .LBB103_154
; %bb.152:
	s_cmp_eq_u32 s15, 29
	s_mov_b64 s[8:9], -1
	s_cbranch_scc0 .LBB103_154
; %bb.153:
	global_store_dwordx2 v[10:11], v[8:9], off
	s_mov_b64 s[10:11], -1
	s_mov_b64 s[8:9], 0
.LBB103_154:
	s_mov_b64 s[12:13], 0
.LBB103_155:
	s_and_b64 vcc, exec, s[12:13]
	s_cbranch_vccz .LBB103_168
; %bb.156:
	s_cmp_lt_i32 s15, 27
	s_mov_b64 s[10:11], -1
	s_cbranch_scc1 .LBB103_162
; %bb.157:
	s_cmp_gt_i32 s15, 27
	s_cbranch_scc0 .LBB103_159
; %bb.158:
	s_mov_b64 s[10:11], 0
	global_store_dword v[10:11], v8, off
.LBB103_159:
	s_andn2_b64 vcc, exec, s[10:11]
	s_cbranch_vccnz .LBB103_161
; %bb.160:
	global_store_short v[10:11], v19, off
.LBB103_161:
	s_mov_b64 s[10:11], 0
.LBB103_162:
	s_andn2_b64 vcc, exec, s[10:11]
	s_cbranch_vccnz .LBB103_167
; %bb.163:
	s_andn2_b64 vcc, exec, s[50:51]
	v_mov_b32_e32 v2, 0x80
	s_cbranch_vccnz .LBB103_166
; %bb.164:
	s_or_b64 s[10:11], s[2:3], s[52:53]
	s_andn2_b64 vcc, exec, s[10:11]
	v_mov_b32_e32 v2, 0
	s_cbranch_vccnz .LBB103_166
; %bb.165:
	v_mov_b32_e32 v2, s90
	v_cndmask_b32_e64 v2, v18, v2, s[2:3]
	v_or_b32_e32 v2, v2, v15
.LBB103_166:
	global_store_byte v[10:11], v2, off
.LBB103_167:
	s_mov_b64 s[10:11], -1
.LBB103_168:
	s_mov_b64 s[12:13], 0
.LBB103_169:
	s_and_b64 vcc, exec, s[12:13]
	s_cbranch_vccz .LBB103_191
; %bb.170:
	s_cmp_gt_i32 s15, 22
	s_mov_b64 s[12:13], -1
	s_cbranch_scc0 .LBB103_183
; %bb.171:
	s_cmp_lt_i32 s15, 24
	s_mov_b64 s[10:11], -1
	s_cbranch_scc1 .LBB103_180
; %bb.172:
	s_cmp_gt_i32 s15, 24
	s_cbranch_scc0 .LBB103_177
; %bb.173:
	s_andn2_b64 vcc, exec, s[46:47]
	v_mov_b32_e32 v2, 0x80
	s_cbranch_vccnz .LBB103_176
; %bb.174:
	s_or_b64 s[10:11], s[0:1], s[48:49]
	s_andn2_b64 vcc, exec, s[10:11]
	v_mov_b32_e32 v2, 0
	s_cbranch_vccnz .LBB103_176
; %bb.175:
	v_mov_b32_e32 v2, s88
	v_cndmask_b32_e64 v2, v17, v2, s[0:1]
	v_or_b32_e32 v2, v2, v15
.LBB103_176:
	s_mov_b64 s[10:11], 0
	global_store_byte v[10:11], v2, off
.LBB103_177:
	s_and_b64 vcc, exec, s[10:11]
	s_cbranch_vccz .LBB103_179
; %bb.178:
	s_and_b64 s[10:11], s[44:45], exec
	s_cselect_b32 s12, s87, s86
	s_and_b64 s[10:11], s[42:43], exec
	s_cselect_b32 s10, s89, s12
	v_or_b32_e32 v2, s10, v15
	global_store_byte v[10:11], v2, off
.LBB103_179:
	s_mov_b64 s[10:11], 0
.LBB103_180:
	s_andn2_b64 vcc, exec, s[10:11]
	s_cbranch_vccnz .LBB103_182
; %bb.181:
	s_and_b64 s[10:11], s[40:41], exec
	s_cselect_b32 s12, s84, s83
	s_and_b64 s[10:11], s[38:39], exec
	s_cselect_b32 s10, s85, s12
	v_or_b32_e32 v2, s10, v15
	global_store_byte v[10:11], v2, off
.LBB103_182:
	s_mov_b64 s[12:13], 0
	s_mov_b64 s[10:11], -1
.LBB103_183:
	s_andn2_b64 vcc, exec, s[12:13]
	s_cbranch_vccnz .LBB103_191
; %bb.184:
	s_cmp_gt_i32 s15, 14
	s_mov_b64 s[12:13], -1
	s_cbranch_scc0 .LBB103_188
; %bb.185:
	s_cmp_eq_u32 s15, 15
	s_mov_b64 s[8:9], -1
	s_cbranch_scc0 .LBB103_187
; %bb.186:
	global_store_short v[10:11], v16, off
	s_mov_b64 s[10:11], -1
	s_mov_b64 s[8:9], 0
.LBB103_187:
	s_mov_b64 s[12:13], 0
.LBB103_188:
	s_and_b64 vcc, exec, s[12:13]
	s_cbranch_vccz .LBB103_191
; %bb.189:
	s_cmp_eq_u32 s15, 11
	s_mov_b64 s[8:9], -1
	s_cbranch_scc0 .LBB103_191
; %bb.190:
	s_mov_b64 s[10:11], -1
	s_mov_b64 s[8:9], 0
	global_store_byte v[10:11], v14, off
.LBB103_191:
	s_branch .LBB103_141
.LBB103_192:
	s_and_b32 s12, 0xffff, s14
	s_cmp_lt_i32 s12, 5
	s_mov_b64 s[10:11], -1
	s_cbranch_scc1 .LBB103_213
; %bb.193:
	s_cmp_lt_i32 s12, 8
	s_cbranch_scc1 .LBB103_203
; %bb.194:
	s_cmp_lt_i32 s12, 9
	s_cbranch_scc1 .LBB103_200
; %bb.195:
	s_cmp_gt_i32 s12, 9
	s_cbranch_scc0 .LBB103_197
; %bb.196:
	v_mov_b32_e32 v2, 0
	v_mov_b32_e32 v3, v2
	s_mov_b64 s[10:11], 0
	global_store_dwordx4 v[10:11], v[0:3], off
.LBB103_197:
	s_andn2_b64 vcc, exec, s[10:11]
	s_cbranch_vccnz .LBB103_199
; %bb.198:
	v_mov_b32_e32 v7, 0
	global_store_dwordx2 v[10:11], v[6:7], off
.LBB103_199:
	s_mov_b64 s[10:11], 0
.LBB103_200:
	s_andn2_b64 vcc, exec, s[10:11]
	s_cbranch_vccnz .LBB103_202
; %bb.201:
	v_mov_b32_e32 v2, s82
	global_store_dword v[10:11], v2, off
.LBB103_202:
	s_mov_b64 s[10:11], 0
.LBB103_203:
	s_andn2_b64 vcc, exec, s[10:11]
	s_cbranch_vccnz .LBB103_212
; %bb.204:
	s_cmp_lt_i32 s12, 6
	s_mov_b64 s[10:11], -1
	s_cbranch_scc1 .LBB103_210
; %bb.205:
	s_cmp_gt_i32 s12, 6
	s_cbranch_scc0 .LBB103_207
; %bb.206:
	s_mov_b64 s[10:11], 0
	global_store_dwordx2 v[10:11], v[0:1], off
.LBB103_207:
	s_andn2_b64 vcc, exec, s[10:11]
	s_cbranch_vccnz .LBB103_209
; %bb.208:
	global_store_dword v[10:11], v6, off
.LBB103_209:
	s_mov_b64 s[10:11], 0
.LBB103_210:
	s_andn2_b64 vcc, exec, s[10:11]
	s_cbranch_vccnz .LBB103_212
; %bb.211:
	v_mov_b32_e32 v2, s81
	global_store_short v[10:11], v2, off
.LBB103_212:
	s_mov_b64 s[10:11], 0
.LBB103_213:
	s_andn2_b64 vcc, exec, s[10:11]
	s_cbranch_vccnz .LBB103_229
; %bb.214:
	s_cmp_lt_i32 s12, 2
	s_mov_b64 s[10:11], -1
	s_cbranch_scc1 .LBB103_224
; %bb.215:
	s_cmp_lt_i32 s12, 3
	s_cbranch_scc1 .LBB103_221
; %bb.216:
	s_cmp_gt_i32 s12, 3
	s_cbranch_scc0 .LBB103_218
; %bb.217:
	s_mov_b64 s[10:11], 0
	global_store_dwordx2 v[10:11], v[4:5], off
.LBB103_218:
	s_andn2_b64 vcc, exec, s[10:11]
	s_cbranch_vccnz .LBB103_220
; %bb.219:
	global_store_dword v[10:11], v4, off
.LBB103_220:
	s_mov_b64 s[10:11], 0
.LBB103_221:
	s_andn2_b64 vcc, exec, s[10:11]
	s_cbranch_vccnz .LBB103_223
; %bb.222:
	global_store_short v[10:11], v12, off
.LBB103_223:
	s_mov_b64 s[10:11], 0
.LBB103_224:
	s_andn2_b64 vcc, exec, s[10:11]
	s_cbranch_vccnz .LBB103_229
; %bb.225:
	s_cmp_gt_i32 s12, 0
	s_mov_b64 s[10:11], -1
	s_cbranch_scc0 .LBB103_227
; %bb.226:
	s_mov_b64 s[10:11], 0
	global_store_byte v[10:11], v12, off
.LBB103_227:
	s_andn2_b64 vcc, exec, s[10:11]
	s_cbranch_vccnz .LBB103_229
; %bb.228:
	global_store_byte v[10:11], v4, off
.LBB103_229:
	s_branch .LBB103_142
.LBB103_230:
	s_mov_b64 s[10:11], 0
                                        ; implicit-def: $vgpr13
.LBB103_231:
	s_andn2_b64 s[12:13], s[66:67], exec
	s_and_b64 s[8:9], s[8:9], exec
	s_or_b64 s[70:71], s[12:13], s[8:9]
	s_orn2_b64 s[8:9], s[10:11], exec
.LBB103_232:
	s_or_b64 exec, exec, s[72:73]
	s_mov_b64 s[10:11], 0
	s_mov_b64 s[12:13], 0
                                        ; implicit-def: $sgpr20
                                        ; implicit-def: $vgpr10_vgpr11
	s_and_saveexec_b64 s[72:73], s[8:9]
	s_cbranch_execz .LBB103_421
; %bb.233:
	v_cmp_gt_i32_e32 vcc, s92, v13
	s_mov_b64 s[10:11], -1
	s_mov_b64 s[76:77], s[70:71]
	s_and_saveexec_b64 s[74:75], vcc
	s_cbranch_execz .LBB103_349
; %bb.234:
	s_andn2_b64 vcc, exec, s[34:35]
	s_cbranch_vccnz .LBB103_239
; %bb.235:
	s_andn2_b64 vcc, exec, s[64:65]
	s_cbranch_vccnz .LBB103_240
; %bb.236:
	s_add_i32 s95, s93, 1
	s_cmp_eq_u32 s80, 2
	s_cbranch_scc1 .LBB103_241
; %bb.237:
	s_and_b32 s94, s95, 28
	s_mov_b32 vcc_lo, 0
	v_mov_b32_e32 v2, 0
	s_mov_b64 s[76:77], s[28:29]
	s_mov_b64 s[78:79], s[62:63]
	v_mov_b32_e32 v3, v13
.LBB103_238:                            ; =>This Inner Loop Header: Depth=1
	s_load_dwordx8 s[8:15], s[76:77], 0x4
	s_load_dwordx4 s[20:23], s[76:77], 0x24
	s_load_dwordx4 s[24:27], s[78:79], 0x0
	s_add_u32 s76, s76, 48
	s_addc_u32 s77, s77, 0
	s_waitcnt lgkmcnt(0)
	v_mul_hi_u32 v7, s9, v3
	s_add_i32 vcc_lo, vcc_lo, 4
	s_add_u32 s78, s78, 16
	s_addc_u32 s79, s79, 0
	v_add_u32_e32 v7, v3, v7
	v_lshrrev_b32_e32 v7, s10, v7
	v_mul_lo_u32 v10, v7, s8
	v_mul_hi_u32 v11, s12, v7
	s_cmp_eq_u32 s94, vcc_lo
	v_sub_u32_e32 v3, v3, v10
	v_add_u32_e32 v10, v7, v11
	v_lshrrev_b32_e32 v10, s13, v10
	v_mul_lo_u32 v11, v3, s24
	v_mul_hi_u32 v3, s15, v10
	v_mul_lo_u32 v22, v10, s11
	v_add_u32_e32 v3, v10, v3
	v_lshrrev_b32_e32 v21, s20, v3
	v_mul_hi_u32 v3, s22, v21
	v_sub_u32_e32 v7, v7, v22
	v_mul_lo_u32 v22, v21, s14
	v_mul_lo_u32 v7, v7, s25
	v_add_u32_e32 v3, v21, v3
	v_lshrrev_b32_e32 v3, s23, v3
	v_mul_lo_u32 v23, v3, s21
	v_sub_u32_e32 v10, v10, v22
	v_mul_lo_u32 v10, v10, s26
	v_add3_u32 v2, v11, v2, v7
	v_sub_u32_e32 v21, v21, v23
	v_mul_lo_u32 v21, v21, s27
	v_add3_u32 v2, v10, v2, v21
	s_cbranch_scc0 .LBB103_238
	s_branch .LBB103_242
.LBB103_239:
	s_mov_b64 s[8:9], -1
                                        ; implicit-def: $vgpr2
	s_branch .LBB103_246
.LBB103_240:
	v_mov_b32_e32 v2, 0
	s_branch .LBB103_245
.LBB103_241:
	v_mov_b32_e32 v2, 0
	s_mov_b32 s94, 0
	v_mov_b32_e32 v3, v13
.LBB103_242:
	s_and_b32 s12, s95, 3
	s_cmp_eq_u32 s12, 0
	s_cbranch_scc1 .LBB103_245
; %bb.243:
	s_lshl_b32 s8, s94, 2
	s_add_u32 s8, s28, s8
	s_addc_u32 s9, s29, 0
	s_add_u32 s8, s8, 0xc4
	s_addc_u32 s9, s9, 0
	s_mul_i32 s10, s94, 12
	s_add_u32 s10, s28, s10
	s_addc_u32 s11, s29, 0
.LBB103_244:                            ; =>This Inner Loop Header: Depth=1
	s_load_dwordx2 s[14:15], s[10:11], 0x4
	s_load_dword s13, s[10:11], 0xc
	s_add_u32 s10, s10, 12
	s_addc_u32 s11, s11, 0
	s_waitcnt lgkmcnt(0)
	v_mul_hi_u32 v7, s15, v3
	s_load_dword s15, s[8:9], 0x0
	s_add_u32 s8, s8, 4
	s_addc_u32 s9, s9, 0
	v_add_u32_e32 v7, v3, v7
	v_lshrrev_b32_e32 v7, s13, v7
	v_mul_lo_u32 v10, v7, s14
	s_add_i32 s12, s12, -1
	s_cmp_lg_u32 s12, 0
	v_sub_u32_e32 v3, v3, v10
	s_waitcnt lgkmcnt(0)
	v_mad_u64_u32 v[2:3], s[14:15], v3, s15, v[2:3]
	v_mov_b32_e32 v3, v7
	s_cbranch_scc1 .LBB103_244
.LBB103_245:
	s_mov_b64 s[8:9], 0
.LBB103_246:
	s_andn2_b64 vcc, exec, s[8:9]
	s_cbranch_vccnz .LBB103_249
; %bb.247:
	s_waitcnt lgkmcnt(0)
	v_mul_hi_u32 v2, s17, v13
	s_andn2_b64 vcc, exec, s[58:59]
	v_add_u32_e32 v2, v13, v2
	v_lshrrev_b32_e32 v3, s18, v2
	v_mul_lo_u32 v2, v3, s16
	v_sub_u32_e32 v2, v13, v2
	v_mul_lo_u32 v2, v2, s56
	s_cbranch_vccnz .LBB103_249
; %bb.248:
	v_mul_hi_u32 v7, s60, v3
	v_add_u32_e32 v7, v3, v7
	v_lshrrev_b32_e32 v7, s61, v7
	v_mul_lo_u32 v7, v7, s19
	v_sub_u32_e32 v3, v3, v7
	v_mad_u64_u32 v[2:3], s[8:9], v3, s57, v[2:3]
.LBB103_249:
	v_mov_b32_e32 v3, s55
	s_and_b32 s14, s91, 0xff
	v_add_co_u32_e32 v10, vcc, s54, v2
	s_cmp_lt_i32 s14, 11
	v_addc_co_u32_e32 v11, vcc, 0, v3, vcc
	s_cbranch_scc1 .LBB103_256
; %bb.250:
	s_and_b32 s15, 0xffff, s14
	s_cmp_gt_i32 s15, 25
	s_cbranch_scc0 .LBB103_257
; %bb.251:
	s_cmp_gt_i32 s15, 28
	s_cbranch_scc0 .LBB103_258
; %bb.252:
	;; [unrolled: 3-line block ×4, first 2 shown]
	s_mov_b64 s[12:13], 0
	s_mov_b64 s[8:9], -1
	s_cmp_eq_u32 s15, 46
	s_mov_b64 s[10:11], 0
	s_cbranch_scc0 .LBB103_261
; %bb.255:
	global_store_dword v[10:11], v16, off
	s_mov_b64 s[10:11], -1
	s_mov_b64 s[8:9], 0
	s_branch .LBB103_261
.LBB103_256:
	s_mov_b64 s[12:13], -1
	s_mov_b64 s[10:11], 0
	s_mov_b64 s[8:9], s[70:71]
	s_branch .LBB103_306
.LBB103_257:
	s_mov_b64 s[12:13], -1
	s_mov_b64 s[10:11], 0
	s_mov_b64 s[8:9], s[70:71]
	s_branch .LBB103_283
.LBB103_258:
	s_mov_b64 s[12:13], -1
	s_mov_b64 s[10:11], 0
	s_mov_b64 s[8:9], s[70:71]
	s_branch .LBB103_269
.LBB103_259:
	s_mov_b64 s[12:13], -1
	s_mov_b64 s[10:11], 0
	s_mov_b64 s[8:9], s[70:71]
	s_branch .LBB103_265
.LBB103_260:
	s_mov_b64 s[12:13], -1
	s_mov_b64 s[10:11], 0
	s_mov_b64 s[8:9], s[70:71]
.LBB103_261:
	s_and_b64 vcc, exec, s[12:13]
	s_cbranch_vccz .LBB103_264
; %bb.262:
	s_cmp_eq_u32 s15, 44
	s_mov_b64 s[8:9], -1
	s_cbranch_scc0 .LBB103_264
; %bb.263:
	v_mov_b32_e32 v2, 0xffff
	v_cndmask_b32_e64 v2, v20, v2, s[6:7]
	s_mov_b64 s[10:11], -1
	s_mov_b64 s[8:9], 0
	global_store_byte v[10:11], v2, off
.LBB103_264:
	s_mov_b64 s[12:13], 0
.LBB103_265:
	s_and_b64 vcc, exec, s[12:13]
	s_cbranch_vccz .LBB103_268
; %bb.266:
	s_cmp_eq_u32 s15, 29
	s_mov_b64 s[8:9], -1
	s_cbranch_scc0 .LBB103_268
; %bb.267:
	global_store_dwordx2 v[10:11], v[8:9], off
	s_mov_b64 s[10:11], -1
	s_mov_b64 s[8:9], 0
.LBB103_268:
	s_mov_b64 s[12:13], 0
.LBB103_269:
	s_and_b64 vcc, exec, s[12:13]
	s_cbranch_vccz .LBB103_282
; %bb.270:
	s_cmp_lt_i32 s15, 27
	s_mov_b64 s[10:11], -1
	s_cbranch_scc1 .LBB103_276
; %bb.271:
	s_cmp_gt_i32 s15, 27
	s_cbranch_scc0 .LBB103_273
; %bb.272:
	s_mov_b64 s[10:11], 0
	global_store_dword v[10:11], v8, off
.LBB103_273:
	s_andn2_b64 vcc, exec, s[10:11]
	s_cbranch_vccnz .LBB103_275
; %bb.274:
	global_store_short v[10:11], v19, off
.LBB103_275:
	s_mov_b64 s[10:11], 0
.LBB103_276:
	s_andn2_b64 vcc, exec, s[10:11]
	s_cbranch_vccnz .LBB103_281
; %bb.277:
	s_andn2_b64 vcc, exec, s[50:51]
	v_mov_b32_e32 v2, 0x80
	s_cbranch_vccnz .LBB103_280
; %bb.278:
	s_or_b64 s[10:11], s[2:3], s[52:53]
	s_andn2_b64 vcc, exec, s[10:11]
	v_mov_b32_e32 v2, 0
	s_cbranch_vccnz .LBB103_280
; %bb.279:
	v_mov_b32_e32 v2, s90
	v_cndmask_b32_e64 v2, v18, v2, s[2:3]
	v_or_b32_e32 v2, v2, v15
.LBB103_280:
	global_store_byte v[10:11], v2, off
.LBB103_281:
	s_mov_b64 s[10:11], -1
.LBB103_282:
	s_mov_b64 s[12:13], 0
.LBB103_283:
	s_and_b64 vcc, exec, s[12:13]
	s_cbranch_vccz .LBB103_305
; %bb.284:
	s_cmp_gt_i32 s15, 22
	s_mov_b64 s[12:13], -1
	s_cbranch_scc0 .LBB103_297
; %bb.285:
	s_cmp_lt_i32 s15, 24
	s_mov_b64 s[10:11], -1
	s_cbranch_scc1 .LBB103_294
; %bb.286:
	s_cmp_gt_i32 s15, 24
	s_cbranch_scc0 .LBB103_291
; %bb.287:
	s_andn2_b64 vcc, exec, s[46:47]
	v_mov_b32_e32 v2, 0x80
	s_cbranch_vccnz .LBB103_290
; %bb.288:
	s_or_b64 s[10:11], s[0:1], s[48:49]
	s_andn2_b64 vcc, exec, s[10:11]
	v_mov_b32_e32 v2, 0
	s_cbranch_vccnz .LBB103_290
; %bb.289:
	v_mov_b32_e32 v2, s88
	v_cndmask_b32_e64 v2, v17, v2, s[0:1]
	v_or_b32_e32 v2, v2, v15
.LBB103_290:
	s_mov_b64 s[10:11], 0
	global_store_byte v[10:11], v2, off
.LBB103_291:
	s_and_b64 vcc, exec, s[10:11]
	s_cbranch_vccz .LBB103_293
; %bb.292:
	s_and_b64 s[10:11], s[44:45], exec
	s_cselect_b32 s12, s87, s86
	s_and_b64 s[10:11], s[42:43], exec
	s_cselect_b32 s10, s89, s12
	v_or_b32_e32 v2, s10, v15
	global_store_byte v[10:11], v2, off
.LBB103_293:
	s_mov_b64 s[10:11], 0
.LBB103_294:
	s_andn2_b64 vcc, exec, s[10:11]
	s_cbranch_vccnz .LBB103_296
; %bb.295:
	s_and_b64 s[10:11], s[40:41], exec
	s_cselect_b32 s12, s84, s83
	s_and_b64 s[10:11], s[38:39], exec
	s_cselect_b32 s10, s85, s12
	v_or_b32_e32 v2, s10, v15
	global_store_byte v[10:11], v2, off
.LBB103_296:
	s_mov_b64 s[12:13], 0
	s_mov_b64 s[10:11], -1
.LBB103_297:
	s_andn2_b64 vcc, exec, s[12:13]
	s_cbranch_vccnz .LBB103_305
; %bb.298:
	s_cmp_gt_i32 s15, 14
	s_mov_b64 s[12:13], -1
	s_cbranch_scc0 .LBB103_302
; %bb.299:
	s_cmp_eq_u32 s15, 15
	s_mov_b64 s[8:9], -1
	s_cbranch_scc0 .LBB103_301
; %bb.300:
	global_store_short v[10:11], v16, off
	s_mov_b64 s[10:11], -1
	s_mov_b64 s[8:9], 0
.LBB103_301:
	s_mov_b64 s[12:13], 0
.LBB103_302:
	s_and_b64 vcc, exec, s[12:13]
	s_cbranch_vccz .LBB103_305
; %bb.303:
	s_cmp_eq_u32 s15, 11
	s_mov_b64 s[8:9], -1
	s_cbranch_scc0 .LBB103_305
; %bb.304:
	s_mov_b64 s[10:11], -1
	s_mov_b64 s[8:9], 0
	global_store_byte v[10:11], v14, off
.LBB103_305:
	s_mov_b64 s[12:13], 0
.LBB103_306:
	s_and_b64 vcc, exec, s[12:13]
	s_cbranch_vccz .LBB103_345
; %bb.307:
	s_and_b32 s12, 0xffff, s14
	s_cmp_lt_i32 s12, 5
	s_mov_b64 s[10:11], -1
	s_cbranch_scc1 .LBB103_328
; %bb.308:
	s_cmp_lt_i32 s12, 8
	s_cbranch_scc1 .LBB103_318
; %bb.309:
	s_cmp_lt_i32 s12, 9
	s_cbranch_scc1 .LBB103_315
; %bb.310:
	s_cmp_gt_i32 s12, 9
	s_cbranch_scc0 .LBB103_312
; %bb.311:
	v_mov_b32_e32 v2, 0
	v_mov_b32_e32 v3, v2
	s_mov_b64 s[10:11], 0
	global_store_dwordx4 v[10:11], v[0:3], off
.LBB103_312:
	s_andn2_b64 vcc, exec, s[10:11]
	s_cbranch_vccnz .LBB103_314
; %bb.313:
	v_mov_b32_e32 v7, 0
	global_store_dwordx2 v[10:11], v[6:7], off
.LBB103_314:
	s_mov_b64 s[10:11], 0
.LBB103_315:
	s_andn2_b64 vcc, exec, s[10:11]
	s_cbranch_vccnz .LBB103_317
; %bb.316:
	v_mov_b32_e32 v2, s82
	global_store_dword v[10:11], v2, off
.LBB103_317:
	s_mov_b64 s[10:11], 0
.LBB103_318:
	s_andn2_b64 vcc, exec, s[10:11]
	s_cbranch_vccnz .LBB103_327
; %bb.319:
	s_cmp_lt_i32 s12, 6
	s_mov_b64 s[10:11], -1
	s_cbranch_scc1 .LBB103_325
; %bb.320:
	s_cmp_gt_i32 s12, 6
	s_cbranch_scc0 .LBB103_322
; %bb.321:
	s_mov_b64 s[10:11], 0
	global_store_dwordx2 v[10:11], v[0:1], off
.LBB103_322:
	s_andn2_b64 vcc, exec, s[10:11]
	s_cbranch_vccnz .LBB103_324
; %bb.323:
	global_store_dword v[10:11], v6, off
.LBB103_324:
	s_mov_b64 s[10:11], 0
.LBB103_325:
	s_andn2_b64 vcc, exec, s[10:11]
	s_cbranch_vccnz .LBB103_327
; %bb.326:
	v_mov_b32_e32 v2, s81
	global_store_short v[10:11], v2, off
.LBB103_327:
	s_mov_b64 s[10:11], 0
.LBB103_328:
	s_andn2_b64 vcc, exec, s[10:11]
	s_cbranch_vccnz .LBB103_344
; %bb.329:
	s_cmp_lt_i32 s12, 2
	s_mov_b64 s[10:11], -1
	s_cbranch_scc1 .LBB103_339
; %bb.330:
	s_cmp_lt_i32 s12, 3
	s_cbranch_scc1 .LBB103_336
; %bb.331:
	s_cmp_gt_i32 s12, 3
	s_cbranch_scc0 .LBB103_333
; %bb.332:
	s_mov_b64 s[10:11], 0
	global_store_dwordx2 v[10:11], v[4:5], off
.LBB103_333:
	s_andn2_b64 vcc, exec, s[10:11]
	s_cbranch_vccnz .LBB103_335
; %bb.334:
	global_store_dword v[10:11], v4, off
.LBB103_335:
	s_mov_b64 s[10:11], 0
.LBB103_336:
	s_andn2_b64 vcc, exec, s[10:11]
	s_cbranch_vccnz .LBB103_338
; %bb.337:
	global_store_short v[10:11], v12, off
.LBB103_338:
	s_mov_b64 s[10:11], 0
.LBB103_339:
	s_andn2_b64 vcc, exec, s[10:11]
	s_cbranch_vccnz .LBB103_344
; %bb.340:
	s_cmp_gt_i32 s12, 0
	s_mov_b64 s[10:11], -1
	s_cbranch_scc0 .LBB103_342
; %bb.341:
	s_mov_b64 s[10:11], 0
	global_store_byte v[10:11], v12, off
.LBB103_342:
	s_andn2_b64 vcc, exec, s[10:11]
	s_cbranch_vccnz .LBB103_344
; %bb.343:
	global_store_byte v[10:11], v4, off
.LBB103_344:
	s_mov_b64 s[10:11], -1
.LBB103_345:
	s_andn2_b64 vcc, exec, s[10:11]
	s_cbranch_vccnz .LBB103_347
; %bb.346:
	v_add_u32_e32 v13, 0x80, v13
	s_mov_b64 s[10:11], -1
	s_branch .LBB103_348
.LBB103_347:
	s_mov_b64 s[10:11], 0
                                        ; implicit-def: $vgpr13
.LBB103_348:
	s_andn2_b64 s[12:13], s[70:71], exec
	s_and_b64 s[8:9], s[8:9], exec
	s_or_b64 s[76:77], s[12:13], s[8:9]
	s_orn2_b64 s[10:11], s[10:11], exec
.LBB103_349:
	s_or_b64 exec, exec, s[74:75]
	s_mov_b64 s[8:9], 0
	s_mov_b64 s[14:15], 0
                                        ; implicit-def: $sgpr20
                                        ; implicit-def: $vgpr10_vgpr11
	s_and_saveexec_b64 s[74:75], s[10:11]
	s_cbranch_execz .LBB103_420
; %bb.350:
	v_cmp_gt_i32_e32 vcc, s92, v13
	s_mov_b64 s[10:11], 0
	s_mov_b64 s[12:13], s[76:77]
                                        ; implicit-def: $sgpr20
                                        ; implicit-def: $vgpr10_vgpr11
	s_and_saveexec_b64 s[78:79], vcc
	s_cbranch_execz .LBB103_419
; %bb.351:
	s_andn2_b64 vcc, exec, s[34:35]
	s_cbranch_vccnz .LBB103_356
; %bb.352:
	s_andn2_b64 vcc, exec, s[64:65]
	s_cbranch_vccnz .LBB103_357
; %bb.353:
	s_add_i32 s93, s93, 1
	s_cmp_eq_u32 s80, 2
	s_cbranch_scc1 .LBB103_358
; %bb.354:
	s_and_b32 s92, s93, 28
	s_mov_b32 s94, 0
	v_mov_b32_e32 v2, 0
	s_mov_b64 s[64:65], s[28:29]
	v_mov_b32_e32 v3, v13
.LBB103_355:                            ; =>This Inner Loop Header: Depth=1
	s_load_dwordx8 s[8:15], s[64:65], 0x4
	s_load_dwordx4 s[20:23], s[64:65], 0x24
	s_load_dwordx4 s[24:27], s[62:63], 0x0
	s_add_u32 s64, s64, 48
	s_addc_u32 s65, s65, 0
	s_waitcnt lgkmcnt(0)
	v_mul_hi_u32 v7, s9, v3
	s_add_i32 s94, s94, 4
	s_add_u32 s62, s62, 16
	s_addc_u32 s63, s63, 0
	v_add_u32_e32 v7, v3, v7
	v_lshrrev_b32_e32 v7, s10, v7
	v_mul_lo_u32 v10, v7, s8
	v_mul_hi_u32 v11, s12, v7
	s_cmp_eq_u32 s92, s94
	v_sub_u32_e32 v3, v3, v10
	v_add_u32_e32 v10, v7, v11
	v_lshrrev_b32_e32 v10, s13, v10
	v_mul_lo_u32 v11, v3, s24
	v_mul_hi_u32 v3, s15, v10
	v_mul_lo_u32 v22, v10, s11
	v_add_u32_e32 v3, v10, v3
	v_lshrrev_b32_e32 v21, s20, v3
	v_mul_hi_u32 v3, s22, v21
	v_sub_u32_e32 v7, v7, v22
	v_mul_lo_u32 v22, v21, s14
	v_mul_lo_u32 v7, v7, s25
	v_add_u32_e32 v3, v21, v3
	v_lshrrev_b32_e32 v3, s23, v3
	v_mul_lo_u32 v23, v3, s21
	v_sub_u32_e32 v10, v10, v22
	v_mul_lo_u32 v10, v10, s26
	v_add3_u32 v2, v11, v2, v7
	v_sub_u32_e32 v21, v21, v23
	v_mul_lo_u32 v21, v21, s27
	v_add3_u32 v2, v10, v2, v21
	s_cbranch_scc0 .LBB103_355
	s_branch .LBB103_359
.LBB103_356:
	s_mov_b64 s[8:9], -1
                                        ; implicit-def: $vgpr2
	s_branch .LBB103_363
.LBB103_357:
	v_mov_b32_e32 v2, 0
	s_branch .LBB103_362
.LBB103_358:
	v_mov_b32_e32 v2, 0
	s_mov_b32 s92, 0
	v_mov_b32_e32 v3, v13
.LBB103_359:
	s_and_b32 s12, s93, 3
	s_cmp_eq_u32 s12, 0
	s_cbranch_scc1 .LBB103_362
; %bb.360:
	s_lshl_b32 s8, s92, 2
	s_add_u32 s8, s28, s8
	s_addc_u32 s9, s29, 0
	s_add_u32 s8, s8, 0xc4
	s_addc_u32 s9, s9, 0
	s_mul_i32 s10, s92, 12
	s_add_u32 s10, s28, s10
	s_addc_u32 s11, s29, 0
.LBB103_361:                            ; =>This Inner Loop Header: Depth=1
	s_load_dwordx2 s[14:15], s[10:11], 0x4
	s_load_dword s13, s[10:11], 0xc
	s_add_u32 s10, s10, 12
	s_addc_u32 s11, s11, 0
	s_waitcnt lgkmcnt(0)
	v_mul_hi_u32 v7, s15, v3
	s_load_dword s15, s[8:9], 0x0
	s_add_u32 s8, s8, 4
	s_addc_u32 s9, s9, 0
	v_add_u32_e32 v7, v3, v7
	v_lshrrev_b32_e32 v7, s13, v7
	v_mul_lo_u32 v10, v7, s14
	s_add_i32 s12, s12, -1
	s_cmp_lg_u32 s12, 0
	v_sub_u32_e32 v3, v3, v10
	s_waitcnt lgkmcnt(0)
	v_mad_u64_u32 v[2:3], s[14:15], v3, s15, v[2:3]
	v_mov_b32_e32 v3, v7
	s_cbranch_scc1 .LBB103_361
.LBB103_362:
	s_mov_b64 s[8:9], 0
.LBB103_363:
	s_andn2_b64 vcc, exec, s[8:9]
	s_cbranch_vccnz .LBB103_366
; %bb.364:
	s_waitcnt lgkmcnt(0)
	v_mul_hi_u32 v2, s17, v13
	s_andn2_b64 vcc, exec, s[58:59]
	v_add_u32_e32 v2, v13, v2
	v_lshrrev_b32_e32 v3, s18, v2
	v_mul_lo_u32 v2, v3, s16
	v_sub_u32_e32 v2, v13, v2
	v_mul_lo_u32 v2, v2, s56
	s_cbranch_vccnz .LBB103_366
; %bb.365:
	v_mul_hi_u32 v7, s60, v3
	v_add_u32_e32 v7, v3, v7
	v_lshrrev_b32_e32 v7, s61, v7
	v_mul_lo_u32 v7, v7, s19
	v_sub_u32_e32 v3, v3, v7
	v_mad_u64_u32 v[2:3], s[8:9], v3, s57, v[2:3]
.LBB103_366:
	v_mov_b32_e32 v3, s55
	s_and_b32 s20, s91, 0xff
	v_add_co_u32_e32 v10, vcc, s54, v2
	s_cmp_lt_i32 s20, 11
	v_addc_co_u32_e32 v11, vcc, 0, v3, vcc
	s_cbranch_scc1 .LBB103_416
; %bb.367:
	s_and_b32 s12, 0xffff, s20
	s_mov_b64 s[10:11], -1
	s_cmp_gt_i32 s12, 25
	s_mov_b64 s[8:9], s[76:77]
	s_cbranch_scc0 .LBB103_395
; %bb.368:
	s_cmp_gt_i32 s12, 28
	s_mov_b64 s[8:9], s[76:77]
	s_cbranch_scc0 .LBB103_382
; %bb.369:
	s_cmp_gt_i32 s12, 43
	s_mov_b64 s[8:9], s[76:77]
	s_cbranch_scc0 .LBB103_378
; %bb.370:
	s_cmp_gt_i32 s12, 45
	s_mov_b64 s[8:9], s[76:77]
	s_cbranch_scc0 .LBB103_374
; %bb.371:
	s_cmp_eq_u32 s12, 46
	s_mov_b64 s[8:9], -1
	s_cbranch_scc0 .LBB103_373
; %bb.372:
	global_store_dword v[10:11], v16, off
	s_mov_b64 s[8:9], 0
.LBB103_373:
	s_mov_b64 s[10:11], 0
.LBB103_374:
	s_and_b64 vcc, exec, s[10:11]
	s_cbranch_vccz .LBB103_377
; %bb.375:
	s_cmp_eq_u32 s12, 44
	s_mov_b64 s[8:9], -1
	s_cbranch_scc0 .LBB103_377
; %bb.376:
	v_mov_b32_e32 v2, 0xffff
	v_cndmask_b32_e64 v2, v20, v2, s[6:7]
	global_store_byte v[10:11], v2, off
	s_mov_b64 s[8:9], 0
.LBB103_377:
	s_mov_b64 s[10:11], 0
.LBB103_378:
	s_and_b64 vcc, exec, s[10:11]
	s_cbranch_vccz .LBB103_381
; %bb.379:
	s_cmp_eq_u32 s12, 29
	s_mov_b64 s[8:9], -1
	s_cbranch_scc0 .LBB103_381
; %bb.380:
	global_store_dwordx2 v[10:11], v[8:9], off
	s_mov_b64 s[8:9], 0
.LBB103_381:
	s_mov_b64 s[10:11], 0
.LBB103_382:
	s_and_b64 vcc, exec, s[10:11]
	s_cbranch_vccz .LBB103_394
; %bb.383:
	s_cmp_lt_i32 s12, 27
	s_mov_b64 s[6:7], -1
	s_cbranch_scc1 .LBB103_389
; %bb.384:
	s_cmp_gt_i32 s12, 27
	s_cbranch_scc0 .LBB103_386
; %bb.385:
	s_mov_b64 s[6:7], 0
	global_store_dword v[10:11], v8, off
.LBB103_386:
	s_andn2_b64 vcc, exec, s[6:7]
	s_cbranch_vccnz .LBB103_388
; %bb.387:
	global_store_short v[10:11], v19, off
.LBB103_388:
	s_mov_b64 s[6:7], 0
.LBB103_389:
	s_andn2_b64 vcc, exec, s[6:7]
	s_cbranch_vccnz .LBB103_394
; %bb.390:
	s_andn2_b64 vcc, exec, s[50:51]
	v_mov_b32_e32 v2, 0x80
	s_cbranch_vccnz .LBB103_393
; %bb.391:
	s_or_b64 s[6:7], s[2:3], s[52:53]
	s_andn2_b64 vcc, exec, s[6:7]
	v_mov_b32_e32 v2, 0
	s_cbranch_vccnz .LBB103_393
; %bb.392:
	v_mov_b32_e32 v2, s90
	v_cndmask_b32_e64 v2, v18, v2, s[2:3]
	v_or_b32_e32 v2, v2, v15
.LBB103_393:
	global_store_byte v[10:11], v2, off
.LBB103_394:
	s_mov_b64 s[10:11], 0
.LBB103_395:
	s_mov_b64 s[2:3], 0
	s_and_b64 vcc, exec, s[10:11]
	s_cbranch_vccz .LBB103_417
; %bb.396:
	s_cmp_gt_i32 s12, 22
	s_mov_b64 s[6:7], -1
	s_cbranch_scc0 .LBB103_409
; %bb.397:
	s_cmp_lt_i32 s12, 24
	s_cbranch_scc1 .LBB103_406
; %bb.398:
	s_cmp_gt_i32 s12, 24
	s_cbranch_scc0 .LBB103_403
; %bb.399:
	s_andn2_b64 vcc, exec, s[46:47]
	v_mov_b32_e32 v2, 0x80
	s_cbranch_vccnz .LBB103_402
; %bb.400:
	s_or_b64 s[6:7], s[0:1], s[48:49]
	s_andn2_b64 vcc, exec, s[6:7]
	v_mov_b32_e32 v2, 0
	s_cbranch_vccnz .LBB103_402
; %bb.401:
	v_mov_b32_e32 v2, s88
	v_cndmask_b32_e64 v2, v17, v2, s[0:1]
	v_or_b32_e32 v2, v2, v15
.LBB103_402:
	s_mov_b64 s[6:7], 0
	global_store_byte v[10:11], v2, off
.LBB103_403:
	s_and_b64 vcc, exec, s[6:7]
	s_cbranch_vccz .LBB103_405
; %bb.404:
	s_and_b64 s[0:1], s[44:45], exec
	s_cselect_b32 s6, s87, s86
	s_and_b64 s[0:1], s[42:43], exec
	s_cselect_b32 s0, s89, s6
	v_or_b32_e32 v2, s0, v15
	global_store_byte v[10:11], v2, off
.LBB103_405:
	s_mov_b64 s[6:7], 0
.LBB103_406:
	s_andn2_b64 vcc, exec, s[6:7]
	s_cbranch_vccnz .LBB103_408
; %bb.407:
	s_and_b64 s[0:1], s[40:41], exec
	s_cselect_b32 s6, s84, s83
	s_and_b64 s[0:1], s[38:39], exec
	s_cselect_b32 s0, s85, s6
	v_or_b32_e32 v2, s0, v15
	global_store_byte v[10:11], v2, off
.LBB103_408:
	s_mov_b64 s[6:7], 0
.LBB103_409:
	s_andn2_b64 vcc, exec, s[6:7]
	s_mov_b64 s[0:1], 0
	s_cbranch_vccnz .LBB103_418
; %bb.410:
	s_cmp_gt_i32 s12, 14
	s_mov_b64 s[6:7], -1
	s_cbranch_scc0 .LBB103_414
; %bb.411:
	s_cmp_eq_u32 s12, 15
	s_mov_b64 s[8:9], -1
	s_cbranch_scc0 .LBB103_413
; %bb.412:
	global_store_short v[10:11], v16, off
	s_mov_b64 s[8:9], 0
.LBB103_413:
	s_mov_b64 s[6:7], 0
.LBB103_414:
	s_and_b64 vcc, exec, s[6:7]
	s_cbranch_vccz .LBB103_418
; %bb.415:
	s_cmp_lg_u32 s12, 11
	s_cselect_b64 s[6:7], -1, 0
	s_andn2_b64 s[8:9], s[8:9], exec
	s_and_b64 s[6:7], s[6:7], exec
	s_mov_b64 s[0:1], -1
	s_or_b64 s[8:9], s[8:9], s[6:7]
	s_branch .LBB103_418
.LBB103_416:
	s_mov_b64 s[0:1], 0
	s_mov_b64 s[2:3], -1
	s_mov_b64 s[8:9], s[76:77]
	s_branch .LBB103_418
.LBB103_417:
	s_mov_b64 s[0:1], 0
.LBB103_418:
	s_and_b64 s[14:15], s[2:3], exec
	s_and_b64 s[10:11], s[0:1], exec
	s_andn2_b64 s[0:1], s[76:77], exec
	s_and_b64 s[2:3], s[8:9], exec
	s_or_b64 s[12:13], s[0:1], s[2:3]
.LBB103_419:
	s_or_b64 exec, exec, s[78:79]
	s_andn2_b64 s[0:1], s[76:77], exec
	s_and_b64 s[2:3], s[12:13], exec
	s_and_b64 s[14:15], s[14:15], exec
	;; [unrolled: 1-line block ×3, first 2 shown]
	s_or_b64 s[76:77], s[0:1], s[2:3]
.LBB103_420:
	s_or_b64 exec, exec, s[74:75]
	s_andn2_b64 s[0:1], s[70:71], exec
	s_and_b64 s[2:3], s[76:77], exec
	s_and_b64 s[12:13], s[14:15], exec
	;; [unrolled: 1-line block ×3, first 2 shown]
	s_or_b64 s[70:71], s[0:1], s[2:3]
.LBB103_421:
	s_or_b64 exec, exec, s[72:73]
	s_andn2_b64 s[0:1], s[66:67], exec
	s_and_b64 s[2:3], s[70:71], exec
	s_and_b64 s[8:9], s[12:13], exec
	;; [unrolled: 1-line block ×3, first 2 shown]
	s_or_b64 s[66:67], s[0:1], s[2:3]
	s_or_b64 exec, exec, s[68:69]
	s_mov_b64 s[0:1], 0
	s_and_saveexec_b64 s[2:3], s[66:67]
	s_cbranch_execz .LBB103_122
.LBB103_422:
	s_mov_b64 s[0:1], exec
	s_andn2_b64 s[72:73], s[72:73], exec
	s_trap 2
	s_or_b64 exec, exec, s[2:3]
	s_and_saveexec_b64 s[2:3], s[72:73]
	s_xor_b64 s[2:3], exec, s[2:3]
	s_cbranch_execnz .LBB103_123
.LBB103_423:
	s_or_b64 exec, exec, s[2:3]
	s_and_saveexec_b64 s[2:3], s[8:9]
	s_xor_b64 s[2:3], exec, s[2:3]
	s_cbranch_execz .LBB103_461
.LBB103_424:
	s_sext_i32_i16 s8, s20
	s_cmp_lt_i32 s8, 5
	s_mov_b64 s[6:7], -1
	s_cbranch_scc1 .LBB103_445
; %bb.425:
	s_cmp_lt_i32 s8, 8
	s_cbranch_scc1 .LBB103_435
; %bb.426:
	s_cmp_lt_i32 s8, 9
	s_cbranch_scc1 .LBB103_432
; %bb.427:
	s_cmp_gt_i32 s8, 9
	s_cbranch_scc0 .LBB103_429
; %bb.428:
	v_mov_b32_e32 v2, 0
	v_mov_b32_e32 v3, v2
	s_mov_b64 s[6:7], 0
	global_store_dwordx4 v[10:11], v[0:3], off
.LBB103_429:
	s_andn2_b64 vcc, exec, s[6:7]
	s_cbranch_vccnz .LBB103_431
; %bb.430:
	v_mov_b32_e32 v7, 0
	global_store_dwordx2 v[10:11], v[6:7], off
.LBB103_431:
	s_mov_b64 s[6:7], 0
.LBB103_432:
	s_andn2_b64 vcc, exec, s[6:7]
	s_cbranch_vccnz .LBB103_434
; %bb.433:
	v_mov_b32_e32 v2, s82
	global_store_dword v[10:11], v2, off
.LBB103_434:
	s_mov_b64 s[6:7], 0
.LBB103_435:
	s_andn2_b64 vcc, exec, s[6:7]
	s_cbranch_vccnz .LBB103_444
; %bb.436:
	s_sext_i32_i16 s8, s20
	s_cmp_lt_i32 s8, 6
	s_mov_b64 s[6:7], -1
	s_cbranch_scc1 .LBB103_442
; %bb.437:
	s_cmp_gt_i32 s8, 6
	s_cbranch_scc0 .LBB103_439
; %bb.438:
	s_mov_b64 s[6:7], 0
	global_store_dwordx2 v[10:11], v[0:1], off
.LBB103_439:
	s_andn2_b64 vcc, exec, s[6:7]
	s_cbranch_vccnz .LBB103_441
; %bb.440:
	global_store_dword v[10:11], v6, off
.LBB103_441:
	s_mov_b64 s[6:7], 0
.LBB103_442:
	s_andn2_b64 vcc, exec, s[6:7]
	s_cbranch_vccnz .LBB103_444
; %bb.443:
	v_mov_b32_e32 v0, s81
	global_store_short v[10:11], v0, off
.LBB103_444:
	s_mov_b64 s[6:7], 0
.LBB103_445:
	s_andn2_b64 vcc, exec, s[6:7]
	s_cbranch_vccnz .LBB103_461
; %bb.446:
	s_sext_i32_i16 s8, s20
	s_cmp_lt_i32 s8, 2
	s_mov_b64 s[6:7], -1
	s_cbranch_scc1 .LBB103_456
; %bb.447:
	s_cmp_lt_i32 s8, 3
	s_cbranch_scc1 .LBB103_453
; %bb.448:
	s_cmp_gt_i32 s8, 3
	s_cbranch_scc0 .LBB103_450
; %bb.449:
	s_mov_b64 s[6:7], 0
	global_store_dwordx2 v[10:11], v[4:5], off
.LBB103_450:
	s_andn2_b64 vcc, exec, s[6:7]
	s_cbranch_vccnz .LBB103_452
; %bb.451:
	global_store_dword v[10:11], v4, off
.LBB103_452:
	s_mov_b64 s[6:7], 0
.LBB103_453:
	s_andn2_b64 vcc, exec, s[6:7]
	s_cbranch_vccnz .LBB103_455
; %bb.454:
	global_store_short v[10:11], v12, off
.LBB103_455:
	s_mov_b64 s[6:7], 0
.LBB103_456:
	s_andn2_b64 vcc, exec, s[6:7]
	s_cbranch_vccnz .LBB103_461
; %bb.457:
	s_sext_i32_i16 s6, s20
	s_cmp_gt_i32 s6, 0
	s_mov_b64 s[6:7], -1
	s_cbranch_scc0 .LBB103_459
; %bb.458:
	s_mov_b64 s[6:7], 0
	global_store_byte v[10:11], v12, off
.LBB103_459:
	s_andn2_b64 vcc, exec, s[6:7]
	s_cbranch_vccnz .LBB103_461
; %bb.460:
	global_store_byte v[10:11], v4, off
.LBB103_461:
	s_or_b64 exec, exec, s[2:3]
	s_and_b64 s[6:7], s[0:1], exec
                                        ; implicit-def: $vgpr8
                                        ; implicit-def: $vgpr13
.LBB103_462:
	s_or_saveexec_b64 s[24:25], s[36:37]
	s_mov_b64 s[2:3], 0
                                        ; implicit-def: $sgpr15
                                        ; implicit-def: $vgpr0_vgpr1
                                        ; implicit-def: $sgpr14
	s_xor_b64 exec, exec, s[24:25]
	s_cbranch_execz .LBB103_945
; %bb.463:
	v_cndmask_b32_e64 v0, 0, 1, s[34:35]
	v_cmp_ne_u32_e64 s[0:1], 1, v0
	s_andn2_b64 vcc, exec, s[34:35]
	s_cbranch_vccnz .LBB103_469
; %bb.464:
	s_cmp_lg_u32 s33, 0
	s_mov_b32 s30, 0
	s_cbranch_scc0 .LBB103_470
; %bb.465:
	s_min_u32 s31, s80, 15
	s_add_i32 s31, s31, 1
	s_cmp_eq_u32 s80, 2
	s_cbranch_scc1 .LBB103_471
; %bb.466:
	s_and_b32 s30, s31, 28
	s_add_u32 s2, s28, 0xc4
	s_addc_u32 s3, s29, 0
	s_mov_b32 s34, 0
	v_mov_b32_e32 v6, 0
	s_mov_b64 s[26:27], s[28:29]
	v_mov_b32_e32 v0, v13
.LBB103_467:                            ; =>This Inner Loop Header: Depth=1
	s_load_dwordx8 s[8:15], s[26:27], 0x4
	s_waitcnt lgkmcnt(0)
	s_load_dwordx4 s[16:19], s[26:27], 0x24
	s_load_dwordx4 s[20:23], s[2:3], 0x0
	s_add_u32 s26, s26, 48
	s_addc_u32 s27, s27, 0
	v_mul_hi_u32 v1, s9, v0
	s_add_i32 s34, s34, 4
	s_add_u32 s2, s2, 16
	s_addc_u32 s3, s3, 0
	v_add_u32_e32 v1, v0, v1
	v_lshrrev_b32_e32 v1, s10, v1
	v_mul_lo_u32 v2, v1, s8
	v_mul_hi_u32 v3, s12, v1
	s_cmp_lg_u32 s30, s34
	v_sub_u32_e32 v0, v0, v2
	v_add_u32_e32 v2, v1, v3
	v_lshrrev_b32_e32 v2, s13, v2
	s_waitcnt lgkmcnt(0)
	v_mul_lo_u32 v3, v0, s20
	v_mul_hi_u32 v0, s15, v2
	v_mul_lo_u32 v5, v2, s11
	v_add_u32_e32 v0, v2, v0
	v_lshrrev_b32_e32 v4, s16, v0
	v_mul_hi_u32 v0, s18, v4
	v_sub_u32_e32 v1, v1, v5
	v_mul_lo_u32 v5, v4, s14
	v_mul_lo_u32 v1, v1, s21
	v_add_u32_e32 v0, v4, v0
	v_lshrrev_b32_e32 v0, s19, v0
	v_mul_lo_u32 v7, v0, s17
	v_sub_u32_e32 v2, v2, v5
	v_mul_lo_u32 v2, v2, s22
	v_add3_u32 v1, v3, v6, v1
	v_sub_u32_e32 v4, v4, v7
	v_mul_lo_u32 v4, v4, s23
	v_add3_u32 v6, v2, v1, v4
	s_cbranch_scc1 .LBB103_467
; %bb.468:
	s_and_b32 s10, s31, 3
	s_cmp_eq_u32 s10, 0
	s_cbranch_scc0 .LBB103_472
	s_branch .LBB103_474
.LBB103_469:
                                        ; implicit-def: $vgpr6
	s_branch .LBB103_475
.LBB103_470:
	v_mov_b32_e32 v6, 0
	s_branch .LBB103_474
.LBB103_471:
	v_mov_b32_e32 v6, 0
	v_mov_b32_e32 v0, v13
	s_and_b32 s10, s31, 3
	s_cmp_eq_u32 s10, 0
	s_cbranch_scc1 .LBB103_474
.LBB103_472:
	s_lshl_b32 s2, s30, 2
	s_add_u32 s2, s28, s2
	s_addc_u32 s3, s29, 0
	s_add_u32 s2, s2, 0xc4
	s_addc_u32 s3, s3, 0
	s_mul_i32 s8, s30, 12
	s_add_u32 s8, s28, s8
	s_addc_u32 s9, s29, 0
.LBB103_473:                            ; =>This Inner Loop Header: Depth=1
	s_load_dwordx2 s[12:13], s[8:9], 0x4
	s_load_dword s11, s[8:9], 0xc
	s_add_u32 s8, s8, 12
	s_addc_u32 s9, s9, 0
	s_waitcnt lgkmcnt(0)
	v_mul_hi_u32 v1, s13, v0
	s_load_dword s13, s[2:3], 0x0
	s_add_u32 s2, s2, 4
	s_addc_u32 s3, s3, 0
	v_add_u32_e32 v1, v0, v1
	v_lshrrev_b32_e32 v1, s11, v1
	v_mul_lo_u32 v2, v1, s12
	s_add_i32 s10, s10, -1
	s_cmp_lg_u32 s10, 0
	v_sub_u32_e32 v0, v0, v2
	s_waitcnt lgkmcnt(0)
	v_mad_u64_u32 v[6:7], s[12:13], v0, s13, v[6:7]
	v_mov_b32_e32 v0, v1
	s_cbranch_scc1 .LBB103_473
.LBB103_474:
	s_cbranch_execnz .LBB103_477
.LBB103_475:
	s_load_dwordx4 s[8:11], s[28:29], 0x4
	s_load_dword s2, s[28:29], 0xc4
	s_cmp_lt_u32 s33, 2
	s_waitcnt lgkmcnt(0)
	v_mul_hi_u32 v0, s9, v13
	v_add_u32_e32 v0, v13, v0
	v_lshrrev_b32_e32 v0, s10, v0
	v_mul_lo_u32 v1, v0, s8
	v_sub_u32_e32 v1, v13, v1
	v_mul_lo_u32 v6, v1, s2
	s_cbranch_scc1 .LBB103_477
; %bb.476:
	s_load_dwordx4 s[8:11], s[28:29], 0x10
	s_load_dword s2, s[28:29], 0xc8
	s_waitcnt lgkmcnt(0)
	v_mul_hi_u32 v1, s9, v0
	v_add_u32_e32 v1, v0, v1
	v_lshrrev_b32_e32 v1, s10, v1
	v_mul_lo_u32 v1, v1, s8
	v_sub_u32_e32 v0, v0, v1
	v_mad_u64_u32 v[6:7], s[2:3], v0, s2, v[6:7]
.LBB103_477:
	s_and_b64 vcc, exec, s[0:1]
	v_add_u32_e32 v0, 0x80, v13
	s_cbranch_vccnz .LBB103_483
; %bb.478:
	s_cmp_lg_u32 s33, 0
	s_mov_b32 s30, 0
	s_cbranch_scc0 .LBB103_484
; %bb.479:
	s_min_u32 s31, s80, 15
	s_add_i32 s31, s31, 1
	s_cmp_eq_u32 s80, 2
	s_cbranch_scc1 .LBB103_485
; %bb.480:
	s_and_b32 s30, s31, 28
	s_add_u32 s2, s28, 0xc4
	s_addc_u32 s3, s29, 0
	s_mov_b32 s34, 0
	v_mov_b32_e32 v4, 0
	s_mov_b64 s[26:27], s[28:29]
	v_mov_b32_e32 v1, v0
.LBB103_481:                            ; =>This Inner Loop Header: Depth=1
	s_load_dwordx8 s[8:15], s[26:27], 0x4
	s_waitcnt lgkmcnt(0)
	s_load_dwordx4 s[16:19], s[26:27], 0x24
	s_load_dwordx4 s[20:23], s[2:3], 0x0
	s_add_u32 s26, s26, 48
	s_addc_u32 s27, s27, 0
	v_mul_hi_u32 v2, s9, v1
	s_add_i32 s34, s34, 4
	s_add_u32 s2, s2, 16
	s_addc_u32 s3, s3, 0
	v_add_u32_e32 v2, v1, v2
	v_lshrrev_b32_e32 v2, s10, v2
	v_mul_lo_u32 v3, v2, s8
	v_mul_hi_u32 v5, s12, v2
	s_cmp_lg_u32 s30, s34
	v_sub_u32_e32 v1, v1, v3
	v_add_u32_e32 v3, v2, v5
	v_lshrrev_b32_e32 v3, s13, v3
	s_waitcnt lgkmcnt(0)
	v_mul_lo_u32 v5, v1, s20
	v_mul_hi_u32 v1, s15, v3
	v_mul_lo_u32 v9, v3, s11
	v_add_u32_e32 v1, v3, v1
	v_lshrrev_b32_e32 v7, s16, v1
	v_mul_hi_u32 v1, s18, v7
	v_sub_u32_e32 v2, v2, v9
	v_mul_lo_u32 v9, v7, s14
	v_mul_lo_u32 v2, v2, s21
	v_add_u32_e32 v1, v7, v1
	v_lshrrev_b32_e32 v1, s19, v1
	v_mul_lo_u32 v10, v1, s17
	v_sub_u32_e32 v3, v3, v9
	v_mul_lo_u32 v3, v3, s22
	v_add3_u32 v2, v5, v4, v2
	v_sub_u32_e32 v7, v7, v10
	v_mul_lo_u32 v7, v7, s23
	v_add3_u32 v4, v3, v2, v7
	s_cbranch_scc1 .LBB103_481
; %bb.482:
	s_and_b32 s10, s31, 3
	s_cmp_eq_u32 s10, 0
	s_cbranch_scc0 .LBB103_486
	s_branch .LBB103_488
.LBB103_483:
                                        ; implicit-def: $vgpr4
	s_branch .LBB103_489
.LBB103_484:
	v_mov_b32_e32 v4, 0
	s_branch .LBB103_488
.LBB103_485:
	v_mov_b32_e32 v4, 0
	v_mov_b32_e32 v1, v0
	s_and_b32 s10, s31, 3
	s_cmp_eq_u32 s10, 0
	s_cbranch_scc1 .LBB103_488
.LBB103_486:
	s_lshl_b32 s2, s30, 2
	s_add_u32 s2, s28, s2
	s_addc_u32 s3, s29, 0
	s_add_u32 s2, s2, 0xc4
	s_addc_u32 s3, s3, 0
	s_mul_i32 s8, s30, 12
	s_add_u32 s8, s28, s8
	s_addc_u32 s9, s29, 0
.LBB103_487:                            ; =>This Inner Loop Header: Depth=1
	s_load_dwordx2 s[12:13], s[8:9], 0x4
	s_load_dword s11, s[8:9], 0xc
	s_add_u32 s8, s8, 12
	s_addc_u32 s9, s9, 0
	s_waitcnt lgkmcnt(0)
	v_mul_hi_u32 v2, s13, v1
	s_load_dword s13, s[2:3], 0x0
	s_add_u32 s2, s2, 4
	s_addc_u32 s3, s3, 0
	v_add_u32_e32 v2, v1, v2
	v_lshrrev_b32_e32 v2, s11, v2
	v_mul_lo_u32 v3, v2, s12
	s_add_i32 s10, s10, -1
	s_cmp_lg_u32 s10, 0
	v_sub_u32_e32 v1, v1, v3
	s_waitcnt lgkmcnt(0)
	v_mad_u64_u32 v[4:5], s[12:13], v1, s13, v[4:5]
	v_mov_b32_e32 v1, v2
	s_cbranch_scc1 .LBB103_487
.LBB103_488:
	s_cbranch_execnz .LBB103_491
.LBB103_489:
	s_load_dwordx4 s[8:11], s[28:29], 0x4
	s_load_dword s2, s[28:29], 0xc4
	s_cmp_lt_u32 s33, 2
	s_waitcnt lgkmcnt(0)
	v_mul_hi_u32 v1, s9, v0
	v_add_u32_e32 v1, v0, v1
	v_lshrrev_b32_e32 v1, s10, v1
	v_mul_lo_u32 v2, v1, s8
	v_sub_u32_e32 v0, v0, v2
	v_mul_lo_u32 v4, v0, s2
	s_cbranch_scc1 .LBB103_491
; %bb.490:
	s_load_dwordx4 s[8:11], s[28:29], 0x10
	s_load_dword s2, s[28:29], 0xc8
	s_waitcnt lgkmcnt(0)
	v_mul_hi_u32 v0, s9, v1
	v_add_u32_e32 v0, v1, v0
	v_lshrrev_b32_e32 v0, s10, v0
	v_mul_lo_u32 v0, v0, s8
	v_sub_u32_e32 v0, v1, v0
	v_mad_u64_u32 v[4:5], s[2:3], v0, s2, v[4:5]
.LBB103_491:
	s_and_b64 vcc, exec, s[0:1]
	v_add_u32_e32 v0, 0x100, v13
	s_cbranch_vccnz .LBB103_497
; %bb.492:
	s_cmp_lg_u32 s33, 0
	s_mov_b32 s30, 0
	s_cbranch_scc0 .LBB103_498
; %bb.493:
	s_min_u32 s31, s80, 15
	s_add_i32 s31, s31, 1
	s_cmp_eq_u32 s80, 2
	s_cbranch_scc1 .LBB103_499
; %bb.494:
	s_and_b32 s30, s31, 28
	s_add_u32 s2, s28, 0xc4
	s_addc_u32 s3, s29, 0
	s_mov_b32 s34, 0
	v_mov_b32_e32 v2, 0
	s_mov_b64 s[26:27], s[28:29]
	v_mov_b32_e32 v1, v0
.LBB103_495:                            ; =>This Inner Loop Header: Depth=1
	s_load_dwordx8 s[8:15], s[26:27], 0x4
	s_waitcnt lgkmcnt(0)
	s_load_dwordx4 s[16:19], s[26:27], 0x24
	s_load_dwordx4 s[20:23], s[2:3], 0x0
	s_add_u32 s26, s26, 48
	s_addc_u32 s27, s27, 0
	v_mul_hi_u32 v3, s9, v1
	s_add_i32 s34, s34, 4
	s_add_u32 s2, s2, 16
	s_addc_u32 s3, s3, 0
	v_add_u32_e32 v3, v1, v3
	v_lshrrev_b32_e32 v3, s10, v3
	v_mul_lo_u32 v5, v3, s8
	v_mul_hi_u32 v7, s12, v3
	s_cmp_lg_u32 s30, s34
	v_sub_u32_e32 v1, v1, v5
	v_add_u32_e32 v5, v3, v7
	v_lshrrev_b32_e32 v5, s13, v5
	s_waitcnt lgkmcnt(0)
	v_mul_lo_u32 v7, v1, s20
	v_mul_hi_u32 v1, s15, v5
	v_mul_lo_u32 v10, v5, s11
	v_add_u32_e32 v1, v5, v1
	v_lshrrev_b32_e32 v9, s16, v1
	v_mul_hi_u32 v1, s18, v9
	v_sub_u32_e32 v3, v3, v10
	v_mul_lo_u32 v10, v9, s14
	v_mul_lo_u32 v3, v3, s21
	v_add_u32_e32 v1, v9, v1
	v_lshrrev_b32_e32 v1, s19, v1
	v_mul_lo_u32 v11, v1, s17
	v_sub_u32_e32 v5, v5, v10
	v_mul_lo_u32 v5, v5, s22
	v_add3_u32 v2, v7, v2, v3
	v_sub_u32_e32 v9, v9, v11
	v_mul_lo_u32 v9, v9, s23
	v_add3_u32 v2, v5, v2, v9
	s_cbranch_scc1 .LBB103_495
; %bb.496:
	s_and_b32 s10, s31, 3
	s_cmp_eq_u32 s10, 0
	s_cbranch_scc0 .LBB103_500
	s_branch .LBB103_502
.LBB103_497:
                                        ; implicit-def: $vgpr2
	s_branch .LBB103_503
.LBB103_498:
	v_mov_b32_e32 v2, 0
	s_branch .LBB103_502
.LBB103_499:
	v_mov_b32_e32 v2, 0
	v_mov_b32_e32 v1, v0
	s_and_b32 s10, s31, 3
	s_cmp_eq_u32 s10, 0
	s_cbranch_scc1 .LBB103_502
.LBB103_500:
	s_lshl_b32 s2, s30, 2
	s_add_u32 s2, s28, s2
	s_addc_u32 s3, s29, 0
	s_add_u32 s2, s2, 0xc4
	s_addc_u32 s3, s3, 0
	s_mul_i32 s8, s30, 12
	s_add_u32 s8, s28, s8
	s_addc_u32 s9, s29, 0
.LBB103_501:                            ; =>This Inner Loop Header: Depth=1
	s_load_dwordx2 s[12:13], s[8:9], 0x4
	s_load_dword s11, s[8:9], 0xc
	s_add_u32 s8, s8, 12
	s_addc_u32 s9, s9, 0
	s_waitcnt lgkmcnt(0)
	v_mul_hi_u32 v3, s13, v1
	s_load_dword s13, s[2:3], 0x0
	s_add_u32 s2, s2, 4
	s_addc_u32 s3, s3, 0
	v_add_u32_e32 v3, v1, v3
	v_lshrrev_b32_e32 v5, s11, v3
	v_mul_lo_u32 v3, v5, s12
	s_add_i32 s10, s10, -1
	s_cmp_lg_u32 s10, 0
	v_sub_u32_e32 v1, v1, v3
	s_waitcnt lgkmcnt(0)
	v_mad_u64_u32 v[2:3], s[12:13], v1, s13, v[2:3]
	v_mov_b32_e32 v1, v5
	s_cbranch_scc1 .LBB103_501
.LBB103_502:
	s_cbranch_execnz .LBB103_505
.LBB103_503:
	s_load_dwordx4 s[8:11], s[28:29], 0x4
	s_load_dword s2, s[28:29], 0xc4
	s_cmp_lt_u32 s33, 2
	s_waitcnt lgkmcnt(0)
	v_mul_hi_u32 v1, s9, v0
	v_add_u32_e32 v1, v0, v1
	v_lshrrev_b32_e32 v1, s10, v1
	v_mul_lo_u32 v2, v1, s8
	v_sub_u32_e32 v0, v0, v2
	v_mul_lo_u32 v2, v0, s2
	s_cbranch_scc1 .LBB103_505
; %bb.504:
	s_load_dwordx4 s[8:11], s[28:29], 0x10
	s_load_dword s2, s[28:29], 0xc8
	s_waitcnt lgkmcnt(0)
	v_mul_hi_u32 v0, s9, v1
	v_add_u32_e32 v0, v1, v0
	v_lshrrev_b32_e32 v0, s10, v0
	v_mul_lo_u32 v0, v0, s8
	v_sub_u32_e32 v0, v1, v0
	v_mad_u64_u32 v[2:3], s[2:3], v0, s2, v[2:3]
.LBB103_505:
	s_and_b64 vcc, exec, s[0:1]
	s_cbranch_vccnz .LBB103_511
; %bb.506:
	s_cmp_lg_u32 s33, 0
	s_mov_b32 s26, 0
	s_cbranch_scc0 .LBB103_512
; %bb.507:
	s_min_u32 s27, s80, 15
	s_add_i32 s27, s27, 1
	s_cmp_eq_u32 s80, 2
	s_cbranch_scc1 .LBB103_513
; %bb.508:
	s_and_b32 s26, s27, 28
	s_add_u32 s20, s28, 0xc4
	s_addc_u32 s21, s29, 0
	s_mov_b32 s30, 0
	v_mov_b32_e32 v0, 0
	s_mov_b64 s[22:23], s[28:29]
	v_mov_b32_e32 v1, v8
.LBB103_509:                            ; =>This Inner Loop Header: Depth=1
	s_load_dwordx8 s[8:15], s[22:23], 0x4
	s_load_dwordx4 s[0:3], s[22:23], 0x24
	s_waitcnt lgkmcnt(0)
	s_load_dwordx4 s[16:19], s[20:21], 0x0
	s_add_u32 s22, s22, 48
	s_addc_u32 s23, s23, 0
	v_mul_hi_u32 v3, s9, v1
	s_add_i32 s30, s30, 4
	s_add_u32 s20, s20, 16
	s_addc_u32 s21, s21, 0
	v_add_u32_e32 v3, v1, v3
	v_lshrrev_b32_e32 v3, s10, v3
	v_mul_lo_u32 v5, v3, s8
	v_mul_hi_u32 v7, s12, v3
	s_cmp_lg_u32 s26, s30
	v_sub_u32_e32 v1, v1, v5
	v_add_u32_e32 v5, v3, v7
	v_lshrrev_b32_e32 v5, s13, v5
	s_waitcnt lgkmcnt(0)
	v_mul_lo_u32 v7, v1, s16
	v_mul_hi_u32 v1, s15, v5
	v_mul_lo_u32 v10, v5, s11
	v_add_u32_e32 v1, v5, v1
	v_lshrrev_b32_e32 v9, s0, v1
	v_mul_hi_u32 v1, s2, v9
	v_sub_u32_e32 v3, v3, v10
	v_mul_lo_u32 v10, v9, s14
	v_mul_lo_u32 v3, v3, s17
	v_add_u32_e32 v1, v9, v1
	v_lshrrev_b32_e32 v1, s3, v1
	v_mul_lo_u32 v11, v1, s1
	v_sub_u32_e32 v5, v5, v10
	v_mul_lo_u32 v5, v5, s18
	v_add3_u32 v0, v7, v0, v3
	v_sub_u32_e32 v9, v9, v11
	v_mul_lo_u32 v9, v9, s19
	v_add3_u32 v0, v5, v0, v9
	s_cbranch_scc1 .LBB103_509
; %bb.510:
	s_and_b32 s8, s27, 3
	s_cmp_eq_u32 s8, 0
	s_cbranch_scc0 .LBB103_514
	s_branch .LBB103_516
.LBB103_511:
                                        ; implicit-def: $vgpr0
	s_branch .LBB103_517
.LBB103_512:
	v_mov_b32_e32 v0, 0
	s_branch .LBB103_516
.LBB103_513:
	v_mov_b32_e32 v0, 0
	v_mov_b32_e32 v1, v8
	s_and_b32 s8, s27, 3
	s_cmp_eq_u32 s8, 0
	s_cbranch_scc1 .LBB103_516
.LBB103_514:
	s_lshl_b32 s0, s26, 2
	s_add_u32 s0, s28, s0
	s_addc_u32 s1, s29, 0
	s_add_u32 s0, s0, 0xc4
	s_addc_u32 s1, s1, 0
	s_mul_i32 s2, s26, 12
	s_add_u32 s2, s28, s2
	s_addc_u32 s3, s29, 0
.LBB103_515:                            ; =>This Inner Loop Header: Depth=1
	s_load_dwordx2 s[10:11], s[2:3], 0x4
	s_load_dword s9, s[2:3], 0xc
	s_add_u32 s2, s2, 12
	s_addc_u32 s3, s3, 0
	s_waitcnt lgkmcnt(0)
	v_mul_hi_u32 v3, s11, v1
	s_load_dword s11, s[0:1], 0x0
	s_add_u32 s0, s0, 4
	s_addc_u32 s1, s1, 0
	v_add_u32_e32 v3, v1, v3
	v_lshrrev_b32_e32 v3, s9, v3
	v_mul_lo_u32 v5, v3, s10
	s_add_i32 s8, s8, -1
	s_cmp_lg_u32 s8, 0
	v_sub_u32_e32 v1, v1, v5
	s_waitcnt lgkmcnt(0)
	v_mad_u64_u32 v[0:1], s[10:11], v1, s11, v[0:1]
	v_mov_b32_e32 v1, v3
	s_cbranch_scc1 .LBB103_515
.LBB103_516:
	s_cbranch_execnz .LBB103_519
.LBB103_517:
	s_load_dwordx4 s[0:3], s[28:29], 0x4
	s_waitcnt lgkmcnt(0)
	s_load_dword s3, s[28:29], 0xc4
	s_cmp_lt_u32 s33, 2
	v_mul_hi_u32 v0, s1, v8
	v_add_u32_e32 v0, v8, v0
	v_lshrrev_b32_e32 v1, s2, v0
	v_mul_lo_u32 v0, v1, s0
	v_sub_u32_e32 v0, v8, v0
	s_waitcnt lgkmcnt(0)
	v_mul_lo_u32 v0, v0, s3
	s_cbranch_scc1 .LBB103_519
; %bb.518:
	s_load_dwordx4 s[0:3], s[28:29], 0x10
	s_waitcnt lgkmcnt(0)
	s_load_dword s3, s[28:29], 0xc8
	v_mul_hi_u32 v3, s1, v1
	v_add_u32_e32 v3, v1, v3
	v_lshrrev_b32_e32 v3, s2, v3
	v_mul_lo_u32 v3, v3, s0
	v_sub_u32_e32 v1, v1, v3
	s_waitcnt lgkmcnt(0)
	v_mad_u64_u32 v[0:1], s[0:1], v1, s3, v[0:1]
.LBB103_519:
	s_load_dwordx2 s[2:3], s[28:29], 0x108
	s_load_dword s12, s[4:5], 0x118
	s_load_dword s14, s[28:29], 0x110
	s_waitcnt lgkmcnt(0)
	v_mov_b32_e32 v1, s3
	s_bfe_u32 s13, s12, 0x80010
	v_add_co_u32_e32 v5, vcc, s2, v6
	s_cmp_lt_i32 s13, 11
	v_addc_co_u32_e32 v6, vcc, 0, v1, vcc
	s_cbranch_scc1 .LBB103_547
; %bb.520:
	s_and_b32 s15, 0xffff, s13
	s_mov_b64 s[10:11], -1
	s_mov_b64 s[4:5], 0
	s_cmp_gt_i32 s15, 25
	s_mov_b64 s[8:9], 0
	s_mov_b64 s[0:1], 0
	s_cbranch_scc0 .LBB103_557
; %bb.521:
	s_cmp_gt_i32 s15, 28
	s_cbranch_scc0 .LBB103_536
; %bb.522:
	s_cmp_gt_i32 s15, 43
	;; [unrolled: 3-line block ×3, first 2 shown]
	s_cbranch_scc0 .LBB103_526
; %bb.524:
	s_mov_b64 s[0:1], -1
	s_mov_b64 s[10:11], 0
	s_cmp_eq_u32 s15, 46
	s_cbranch_scc0 .LBB103_526
; %bb.525:
	v_cvt_f32_f16_e32 v1, s14
	v_cmp_o_f16_e64 vcc, s14, s14
	v_mov_b32_e32 v3, 0x7fc0
	s_mov_b64 s[0:1], 0
	v_bfe_u32 v7, v1, 16, 1
	v_add_u32_e32 v1, v1, v7
	v_add_u32_e32 v1, 0x7fff, v1
	v_cndmask_b32_sdwa v1, v3, v1, vcc dst_sel:DWORD dst_unused:UNUSED_PAD src0_sel:DWORD src1_sel:WORD_1
	global_store_dword v[5:6], v1, off
	s_mov_b64 s[8:9], -1
.LBB103_526:
	s_and_b64 vcc, exec, s[10:11]
	s_cbranch_vccz .LBB103_531
; %bb.527:
	s_cmp_eq_u32 s15, 44
	s_mov_b64 s[0:1], -1
	s_cbranch_scc0 .LBB103_531
; %bb.528:
	v_cvt_f32_f16_e32 v1, s14
	v_mov_b32_e32 v3, 0xff
	v_readfirstlane_b32 s0, v1
	s_bfe_u32 s1, s0, 0x80017
	s_cmpk_eq_i32 s1, 0xff
	s_cbranch_scc1 .LBB103_530
; %bb.529:
	s_bitcmp1_b32 s0, 22
	s_cselect_b64 s[8:9], -1, 0
	s_and_b32 s0, s0, 0x3fffff
	s_or_b32 s0, s1, s0
	s_cmp_lg_u32 s0, 0
	s_cselect_b64 s[0:1], -1, 0
	s_and_b64 s[0:1], s[8:9], s[0:1]
	v_lshrrev_b32_e32 v1, 23, v1
	v_cndmask_b32_e64 v3, 0, 1, s[0:1]
	v_add_u32_e32 v3, v1, v3
.LBB103_530:
	s_mov_b64 s[0:1], 0
	s_mov_b64 s[8:9], -1
	global_store_byte v[5:6], v3, off
.LBB103_531:
	s_mov_b64 s[10:11], 0
.LBB103_532:
	s_and_b64 vcc, exec, s[10:11]
	s_cbranch_vccz .LBB103_535
; %bb.533:
	s_cmp_eq_u32 s15, 29
	s_mov_b64 s[0:1], -1
	s_cbranch_scc0 .LBB103_535
; %bb.534:
	v_cvt_f32_f16_e32 v1, s14
	v_mov_b32_e32 v8, 0
	s_mov_b64 s[0:1], 0
	s_mov_b64 s[8:9], -1
	v_cvt_u32_f32_e32 v7, v1
	global_store_dwordx2 v[5:6], v[7:8], off
.LBB103_535:
	s_mov_b64 s[10:11], 0
.LBB103_536:
	s_and_b64 vcc, exec, s[10:11]
	s_cbranch_vccz .LBB103_556
; %bb.537:
	s_cmp_lt_i32 s15, 27
	s_mov_b64 s[8:9], -1
	s_cbranch_scc1 .LBB103_543
; %bb.538:
	s_cmp_gt_i32 s15, 27
	s_cbranch_scc0 .LBB103_540
; %bb.539:
	v_cvt_f32_f16_e32 v1, s14
	s_mov_b64 s[8:9], 0
	v_cvt_u32_f32_e32 v1, v1
	global_store_dword v[5:6], v1, off
.LBB103_540:
	s_andn2_b64 vcc, exec, s[8:9]
	s_cbranch_vccnz .LBB103_542
; %bb.541:
	v_cvt_u16_f16_e32 v1, s14
	global_store_short v[5:6], v1, off
.LBB103_542:
	s_mov_b64 s[8:9], 0
.LBB103_543:
	s_andn2_b64 vcc, exec, s[8:9]
	s_cbranch_vccnz .LBB103_555
; %bb.544:
	v_cvt_f32_f16_e32 v1, s14
	v_mov_b32_e32 v3, 0x80
	v_readfirstlane_b32 s16, v1
	s_and_b32 s8, s16, 0x7fffffff
	s_cmp_gt_u32 s8, 0x437fffff
	s_cbranch_scc1 .LBB103_554
; %bb.545:
	s_cmp_gt_u32 s8, 0x3bffffff
	s_cbranch_scc0 .LBB103_549
; %bb.546:
	s_bfe_u32 s8, s16, 0x10014
	s_add_i32 s8, s16, s8
	s_add_i32 s8, s8, 0x487ffff
	s_lshr_b32 s17, s8, 20
	s_mov_b64 s[10:11], 0
	s_mov_b64 s[8:9], -1
	s_branch .LBB103_550
.LBB103_547:
	s_mov_b64 s[8:9], 0
	s_mov_b64 s[0:1], s[6:7]
	s_cbranch_execnz .LBB103_607
.LBB103_548:
	s_andn2_b64 vcc, exec, s[8:9]
	s_cbranch_vccz .LBB103_645
	s_branch .LBB103_943
.LBB103_549:
	s_mov_b64 s[10:11], -1
	s_mov_b64 s[8:9], 0
                                        ; implicit-def: $sgpr17
.LBB103_550:
	s_andn2_b64 vcc, exec, s[10:11]
	v_mov_b32_e32 v1, s17
	s_cbranch_vccnz .LBB103_552
; %bb.551:
	v_mov_b32_e32 v1, 0x46000000
	v_add_f32_e64 v1, |s16|, v1
	v_and_b32_e32 v1, 0xff, v1
	v_cmp_ne_u32_e64 s[8:9], 0, v1
.LBB103_552:
	s_andn2_b64 vcc, exec, s[8:9]
	v_mov_b32_e32 v3, 0
	s_cbranch_vccnz .LBB103_554
; %bb.553:
	s_lshr_b32 s8, s16, 24
	s_and_b32 s8, s8, 0x80
	v_or_b32_e32 v3, s8, v1
.LBB103_554:
	global_store_byte v[5:6], v3, off
.LBB103_555:
	s_mov_b64 s[8:9], -1
.LBB103_556:
	s_mov_b64 s[10:11], 0
.LBB103_557:
	s_and_b64 vcc, exec, s[10:11]
	s_cbranch_vccz .LBB103_603
; %bb.558:
	s_cmp_gt_i32 s15, 22
	s_mov_b64 s[4:5], -1
	s_cbranch_scc0 .LBB103_596
; %bb.559:
	s_cmp_lt_i32 s15, 24
	s_cbranch_scc1 .LBB103_583
; %bb.560:
	s_cmp_gt_i32 s15, 24
	s_cbranch_scc0 .LBB103_570
; %bb.561:
	v_cvt_f32_f16_e32 v1, s14
	v_mov_b32_e32 v3, 0x80
	v_readfirstlane_b32 s10, v1
	s_and_b32 s4, s10, 0x7fffffff
	s_cmp_gt_u32 s4, 0x477fffff
	s_cbranch_scc1 .LBB103_569
; %bb.562:
	s_cmp_gt_u32 s4, 0x37ffffff
	s_cbranch_scc0 .LBB103_564
; %bb.563:
	s_bfe_u32 s4, s10, 0x10015
	s_add_i32 s4, s10, s4
	s_add_i32 s4, s4, 0x88fffff
	s_lshr_b32 s11, s4, 21
	s_mov_b64 s[8:9], 0
	s_mov_b64 s[4:5], -1
	s_branch .LBB103_565
.LBB103_564:
	s_mov_b64 s[8:9], -1
	s_mov_b64 s[4:5], 0
                                        ; implicit-def: $sgpr11
.LBB103_565:
	s_andn2_b64 vcc, exec, s[8:9]
	v_mov_b32_e32 v1, s11
	s_cbranch_vccnz .LBB103_567
; %bb.566:
	v_mov_b32_e32 v1, 0x42800000
	v_add_f32_e64 v1, |s10|, v1
	v_and_b32_e32 v1, 0xff, v1
	v_cmp_ne_u32_e64 s[4:5], 0, v1
.LBB103_567:
	s_andn2_b64 vcc, exec, s[4:5]
	v_mov_b32_e32 v3, 0
	s_cbranch_vccnz .LBB103_569
; %bb.568:
	s_lshr_b32 s4, s10, 24
	s_and_b32 s4, s4, 0x80
	v_or_b32_e32 v3, s4, v1
.LBB103_569:
	s_mov_b64 s[4:5], 0
	global_store_byte v[5:6], v3, off
.LBB103_570:
	s_and_b64 vcc, exec, s[4:5]
	s_cbranch_vccz .LBB103_582
; %bb.571:
	v_cvt_f32_f16_e32 v1, s14
	v_readfirstlane_b32 s8, v1
	s_and_b32 s9, s8, 0x7fffffff
	s_cmp_lt_u32 s9, 0x43f00000
	s_cbranch_scc0 .LBB103_574
; %bb.572:
	s_cmp_gt_u32 s9, 0x3c7fffff
	s_cbranch_scc0 .LBB103_575
; %bb.573:
	s_bfe_u32 s4, s8, 0x10014
	s_add_i32 s4, s8, s4
	s_add_i32 s4, s4, 0x407ffff
	s_lshr_b32 s5, s4, 20
	s_and_b32 s4, s4, 0xff00000
	s_cmp_lg_u32 s4, 0x7f00000
	s_cselect_b32 s10, s5, 0x7e
	s_mov_b64 s[4:5], 0
	s_branch .LBB103_576
.LBB103_574:
	s_mov_b64 s[4:5], -1
                                        ; implicit-def: $vgpr3
	s_branch .LBB103_579
.LBB103_575:
	s_mov_b64 s[4:5], -1
                                        ; implicit-def: $sgpr10
.LBB103_576:
	s_andn2_b64 vcc, exec, s[4:5]
	v_mov_b32_e32 v3, s10
	s_cbranch_vccnz .LBB103_578
; %bb.577:
	s_mov_b32 s4, 0x46800000
	v_add_f32_e64 v3, |v1|, s4
.LBB103_578:
	s_mov_b64 s[4:5], 0
.LBB103_579:
	s_andn2_b64 vcc, exec, s[4:5]
	s_cbranch_vccnz .LBB103_581
; %bb.580:
	s_cmp_gt_u32 s9, 0x7f800000
	s_movk_i32 s4, 0x7f
	s_cselect_b32 s4, s4, 0x7e
	v_mov_b32_e32 v3, s4
.LBB103_581:
	s_lshr_b32 s4, s8, 24
	s_and_b32 s4, s4, 0x80
	v_or_b32_e32 v1, s4, v3
	global_store_byte v[5:6], v1, off
.LBB103_582:
	s_mov_b64 s[4:5], 0
.LBB103_583:
	s_andn2_b64 vcc, exec, s[4:5]
	s_cbranch_vccnz .LBB103_595
; %bb.584:
	v_cvt_f32_f16_e32 v1, s14
	v_readfirstlane_b32 s8, v1
	s_and_b32 s9, s8, 0x7fffffff
	s_cmp_lt_u32 s9, 0x47800000
	s_cbranch_scc0 .LBB103_587
; %bb.585:
	s_cmp_gt_u32 s9, 0x387fffff
	s_cbranch_scc0 .LBB103_588
; %bb.586:
	s_bfe_u32 s4, s8, 0x10015
	s_add_i32 s4, s8, s4
	s_add_i32 s4, s4, 0x80fffff
	s_lshr_b32 s10, s4, 21
	s_mov_b64 s[4:5], 0
	s_branch .LBB103_589
.LBB103_587:
	s_mov_b64 s[4:5], -1
                                        ; implicit-def: $vgpr3
	s_branch .LBB103_592
.LBB103_588:
	s_mov_b64 s[4:5], -1
                                        ; implicit-def: $sgpr10
.LBB103_589:
	s_andn2_b64 vcc, exec, s[4:5]
	v_mov_b32_e32 v3, s10
	s_cbranch_vccnz .LBB103_591
; %bb.590:
	s_mov_b32 s4, 0x43000000
	v_add_f32_e64 v3, |v1|, s4
.LBB103_591:
	s_mov_b64 s[4:5], 0
.LBB103_592:
	s_andn2_b64 vcc, exec, s[4:5]
	s_cbranch_vccnz .LBB103_594
; %bb.593:
	s_cmp_gt_u32 s9, 0x7f800000
	s_movk_i32 s4, 0x7f
	s_cselect_b32 s4, s4, 0x7c
	v_mov_b32_e32 v3, s4
.LBB103_594:
	s_lshr_b32 s4, s8, 24
	s_and_b32 s4, s4, 0x80
	v_or_b32_e32 v1, s4, v3
	global_store_byte v[5:6], v1, off
.LBB103_595:
	s_mov_b64 s[4:5], 0
	s_mov_b64 s[8:9], -1
.LBB103_596:
	s_andn2_b64 vcc, exec, s[4:5]
	s_mov_b64 s[4:5], 0
	s_cbranch_vccnz .LBB103_603
; %bb.597:
	s_cmp_gt_i32 s15, 14
	s_mov_b64 s[10:11], -1
	s_cbranch_scc0 .LBB103_601
; %bb.598:
	s_cmp_eq_u32 s15, 15
	s_mov_b64 s[0:1], -1
	s_cbranch_scc0 .LBB103_600
; %bb.599:
	v_cvt_f32_f16_e32 v1, s14
	v_cmp_o_f16_e64 vcc, s14, s14
	v_mov_b32_e32 v3, 0x7fc0
	s_mov_b64 s[0:1], 0
	v_bfe_u32 v7, v1, 16, 1
	v_add_u32_e32 v1, v1, v7
	v_add_u32_e32 v1, 0x7fff, v1
	v_cndmask_b32_sdwa v1, v3, v1, vcc dst_sel:DWORD dst_unused:UNUSED_PAD src0_sel:DWORD src1_sel:WORD_1
	global_store_short v[5:6], v1, off
	s_mov_b64 s[8:9], -1
.LBB103_600:
	s_mov_b64 s[10:11], 0
.LBB103_601:
	s_and_b64 vcc, exec, s[10:11]
	s_cbranch_vccz .LBB103_603
; %bb.602:
	s_cmp_lg_u32 s15, 11
	s_mov_b64 s[4:5], -1
	s_cselect_b64 s[0:1], -1, 0
.LBB103_603:
	s_and_b64 vcc, exec, s[0:1]
	s_mov_b64 s[0:1], s[6:7]
	s_cbranch_vccnz .LBB103_675
; %bb.604:
	s_andn2_b64 vcc, exec, s[4:5]
	s_cbranch_vccnz .LBB103_606
.LBB103_605:
	s_and_b32 s4, s14, 0x7fff
	s_cmp_lg_u32 s4, 0
	s_cselect_b64 s[4:5], -1, 0
	v_cndmask_b32_e64 v1, 0, 1, s[4:5]
	global_store_byte v[5:6], v1, off
	s_mov_b64 s[8:9], -1
.LBB103_606:
	s_branch .LBB103_548
.LBB103_607:
	s_and_b32 s8, 0xffff, s13
	s_cmp_lt_i32 s8, 5
	s_mov_b64 s[4:5], -1
	s_cbranch_scc1 .LBB103_628
; %bb.608:
	s_cmp_lt_i32 s8, 8
	s_cbranch_scc1 .LBB103_618
; %bb.609:
	s_cmp_lt_i32 s8, 9
	s_cbranch_scc1 .LBB103_615
; %bb.610:
	s_cmp_gt_i32 s8, 9
	s_cbranch_scc0 .LBB103_612
; %bb.611:
	v_cvt_f32_f16_e32 v1, s14
	v_mov_b32_e32 v9, 0
	v_mov_b32_e32 v10, v9
	s_mov_b64 s[4:5], 0
	v_cvt_f64_f32_e32 v[7:8], v1
	global_store_dwordx4 v[5:6], v[7:10], off
.LBB103_612:
	s_andn2_b64 vcc, exec, s[4:5]
	s_cbranch_vccnz .LBB103_614
; %bb.613:
	v_cvt_f32_f16_e32 v7, s14
	v_mov_b32_e32 v8, 0
	global_store_dwordx2 v[5:6], v[7:8], off
.LBB103_614:
	s_mov_b64 s[4:5], 0
.LBB103_615:
	s_andn2_b64 vcc, exec, s[4:5]
	s_cbranch_vccnz .LBB103_617
; %bb.616:
	s_and_b32 s4, 0xffff, s14
	v_mov_b32_e32 v1, s4
	global_store_dword v[5:6], v1, off
.LBB103_617:
	s_mov_b64 s[4:5], 0
.LBB103_618:
	s_andn2_b64 vcc, exec, s[4:5]
	s_cbranch_vccnz .LBB103_627
; %bb.619:
	s_cmp_lt_i32 s8, 6
	s_mov_b64 s[4:5], -1
	s_cbranch_scc1 .LBB103_625
; %bb.620:
	s_cmp_gt_i32 s8, 6
	s_cbranch_scc0 .LBB103_622
; %bb.621:
	v_cvt_f32_f16_e32 v1, s14
	s_mov_b64 s[4:5], 0
	v_cvt_f64_f32_e32 v[7:8], v1
	global_store_dwordx2 v[5:6], v[7:8], off
.LBB103_622:
	s_andn2_b64 vcc, exec, s[4:5]
	s_cbranch_vccnz .LBB103_624
; %bb.623:
	v_cvt_f32_f16_e32 v1, s14
	global_store_dword v[5:6], v1, off
.LBB103_624:
	s_mov_b64 s[4:5], 0
.LBB103_625:
	s_andn2_b64 vcc, exec, s[4:5]
	s_cbranch_vccnz .LBB103_627
; %bb.626:
	v_mov_b32_e32 v1, s14
	global_store_short v[5:6], v1, off
.LBB103_627:
	s_mov_b64 s[4:5], 0
.LBB103_628:
	s_andn2_b64 vcc, exec, s[4:5]
	s_cbranch_vccnz .LBB103_644
; %bb.629:
	s_cmp_lt_i32 s8, 2
	s_mov_b64 s[4:5], -1
	s_cbranch_scc1 .LBB103_639
; %bb.630:
	s_cmp_lt_i32 s8, 3
	s_cbranch_scc1 .LBB103_636
; %bb.631:
	s_cmp_gt_i32 s8, 3
	s_cbranch_scc0 .LBB103_633
; %bb.632:
	v_cvt_f32_f16_e32 v1, s14
	s_mov_b64 s[4:5], 0
	v_cvt_i32_f32_e32 v7, v1
	v_ashrrev_i32_e32 v8, 31, v7
	global_store_dwordx2 v[5:6], v[7:8], off
.LBB103_633:
	s_andn2_b64 vcc, exec, s[4:5]
	s_cbranch_vccnz .LBB103_635
; %bb.634:
	v_cvt_f32_f16_e32 v1, s14
	v_cvt_i32_f32_e32 v1, v1
	global_store_dword v[5:6], v1, off
.LBB103_635:
	s_mov_b64 s[4:5], 0
.LBB103_636:
	s_andn2_b64 vcc, exec, s[4:5]
	s_cbranch_vccnz .LBB103_638
; %bb.637:
	v_cvt_i16_f16_e32 v1, s14
	global_store_short v[5:6], v1, off
.LBB103_638:
	s_mov_b64 s[4:5], 0
.LBB103_639:
	s_andn2_b64 vcc, exec, s[4:5]
	s_cbranch_vccnz .LBB103_644
; %bb.640:
	s_cmp_gt_i32 s8, 0
	s_mov_b64 s[4:5], -1
	s_cbranch_scc0 .LBB103_642
; %bb.641:
	v_cvt_i16_f16_e32 v1, s14
	global_store_byte v[5:6], v1, off
	s_mov_b64 s[4:5], 0
.LBB103_642:
	s_andn2_b64 vcc, exec, s[4:5]
	s_cbranch_vccnz .LBB103_644
; %bb.643:
	v_cvt_f32_f16_e32 v1, s14
	v_cvt_i32_f32_e32 v1, v1
	global_store_byte v[5:6], v1, off
.LBB103_644:
.LBB103_645:
	s_lshr_b32 s4, s12, 16
	v_mov_b32_e32 v1, s3
	s_and_b32 s15, s4, 0xff
	v_add_co_u32_e32 v3, vcc, s2, v4
	s_cmp_lt_i32 s15, 11
	v_addc_co_u32_e32 v4, vcc, 0, v1, vcc
	s_cbranch_scc1 .LBB103_673
; %bb.646:
	s_and_b32 s16, 0xffff, s15
	s_mov_b64 s[12:13], -1
	s_mov_b64 s[8:9], 0
	s_cmp_gt_i32 s16, 25
	s_mov_b64 s[10:11], 0
	s_mov_b64 s[4:5], 0
	s_cbranch_scc0 .LBB103_684
; %bb.647:
	s_cmp_gt_i32 s16, 28
	s_cbranch_scc0 .LBB103_662
; %bb.648:
	s_cmp_gt_i32 s16, 43
	;; [unrolled: 3-line block ×3, first 2 shown]
	s_cbranch_scc0 .LBB103_652
; %bb.650:
	s_mov_b64 s[4:5], -1
	s_mov_b64 s[12:13], 0
	s_cmp_eq_u32 s16, 46
	s_cbranch_scc0 .LBB103_652
; %bb.651:
	v_cvt_f32_f16_e32 v1, s14
	v_cmp_o_f16_e64 vcc, s14, s14
	v_mov_b32_e32 v5, 0x7fc0
	s_mov_b64 s[4:5], 0
	v_bfe_u32 v6, v1, 16, 1
	v_add_u32_e32 v1, v1, v6
	v_add_u32_e32 v1, 0x7fff, v1
	v_cndmask_b32_sdwa v1, v5, v1, vcc dst_sel:DWORD dst_unused:UNUSED_PAD src0_sel:DWORD src1_sel:WORD_1
	global_store_dword v[3:4], v1, off
	s_mov_b64 s[10:11], -1
.LBB103_652:
	s_and_b64 vcc, exec, s[12:13]
	s_cbranch_vccz .LBB103_657
; %bb.653:
	s_cmp_eq_u32 s16, 44
	s_mov_b64 s[4:5], -1
	s_cbranch_scc0 .LBB103_657
; %bb.654:
	v_cvt_f32_f16_e32 v1, s14
	v_mov_b32_e32 v5, 0xff
	v_readfirstlane_b32 s4, v1
	s_bfe_u32 s5, s4, 0x80017
	s_cmpk_eq_i32 s5, 0xff
	s_cbranch_scc1 .LBB103_656
; %bb.655:
	s_bitcmp1_b32 s4, 22
	s_cselect_b64 s[10:11], -1, 0
	s_and_b32 s4, s4, 0x3fffff
	s_or_b32 s4, s5, s4
	s_cmp_lg_u32 s4, 0
	s_cselect_b64 s[4:5], -1, 0
	s_and_b64 s[4:5], s[10:11], s[4:5]
	v_lshrrev_b32_e32 v1, 23, v1
	v_cndmask_b32_e64 v5, 0, 1, s[4:5]
	v_add_u32_e32 v5, v1, v5
.LBB103_656:
	s_mov_b64 s[4:5], 0
	s_mov_b64 s[10:11], -1
	global_store_byte v[3:4], v5, off
.LBB103_657:
	s_mov_b64 s[12:13], 0
.LBB103_658:
	s_and_b64 vcc, exec, s[12:13]
	s_cbranch_vccz .LBB103_661
; %bb.659:
	s_cmp_eq_u32 s16, 29
	s_mov_b64 s[4:5], -1
	s_cbranch_scc0 .LBB103_661
; %bb.660:
	v_cvt_f32_f16_e32 v1, s14
	v_mov_b32_e32 v6, 0
	s_mov_b64 s[4:5], 0
	s_mov_b64 s[10:11], -1
	v_cvt_u32_f32_e32 v5, v1
	global_store_dwordx2 v[3:4], v[5:6], off
.LBB103_661:
	s_mov_b64 s[12:13], 0
.LBB103_662:
	s_and_b64 vcc, exec, s[12:13]
	s_cbranch_vccz .LBB103_683
; %bb.663:
	s_cmp_lt_i32 s16, 27
	s_mov_b64 s[10:11], -1
	s_cbranch_scc1 .LBB103_669
; %bb.664:
	s_cmp_gt_i32 s16, 27
	s_cbranch_scc0 .LBB103_666
; %bb.665:
	v_cvt_f32_f16_e32 v1, s14
	s_mov_b64 s[10:11], 0
	v_cvt_u32_f32_e32 v1, v1
	global_store_dword v[3:4], v1, off
.LBB103_666:
	s_andn2_b64 vcc, exec, s[10:11]
	s_cbranch_vccnz .LBB103_668
; %bb.667:
	v_cvt_u16_f16_e32 v1, s14
	global_store_short v[3:4], v1, off
.LBB103_668:
	s_mov_b64 s[10:11], 0
.LBB103_669:
	s_andn2_b64 vcc, exec, s[10:11]
	s_cbranch_vccnz .LBB103_682
; %bb.670:
	v_cvt_f32_f16_e32 v1, s14
	v_mov_b32_e32 v5, 0x80
	v_readfirstlane_b32 s17, v1
	s_and_b32 s10, s17, 0x7fffffff
	s_cmp_gt_u32 s10, 0x437fffff
	s_cbranch_scc1 .LBB103_681
; %bb.671:
	s_cmp_gt_u32 s10, 0x3bffffff
	s_cbranch_scc0 .LBB103_676
; %bb.672:
	s_bfe_u32 s10, s17, 0x10014
	s_add_i32 s10, s17, s10
	s_add_i32 s10, s10, 0x487ffff
	s_lshr_b32 s18, s10, 20
	s_mov_b64 s[12:13], 0
	s_mov_b64 s[10:11], -1
	s_branch .LBB103_677
.LBB103_673:
	s_mov_b64 s[10:11], 0
	s_cbranch_execnz .LBB103_734
.LBB103_674:
	s_andn2_b64 vcc, exec, s[10:11]
	s_cbranch_vccz .LBB103_772
	s_branch .LBB103_943
.LBB103_675:
	s_or_b64 s[0:1], s[6:7], exec
	s_trap 2
	s_cbranch_execz .LBB103_605
	s_branch .LBB103_606
.LBB103_676:
	s_mov_b64 s[12:13], -1
	s_mov_b64 s[10:11], 0
                                        ; implicit-def: $sgpr18
.LBB103_677:
	s_andn2_b64 vcc, exec, s[12:13]
	v_mov_b32_e32 v1, s18
	s_cbranch_vccnz .LBB103_679
; %bb.678:
	v_mov_b32_e32 v1, 0x46000000
	v_add_f32_e64 v1, |s17|, v1
	v_and_b32_e32 v1, 0xff, v1
	v_cmp_ne_u32_e64 s[10:11], 0, v1
.LBB103_679:
	s_andn2_b64 vcc, exec, s[10:11]
	v_mov_b32_e32 v5, 0
	s_cbranch_vccnz .LBB103_681
; %bb.680:
	s_lshr_b32 s10, s17, 24
	s_and_b32 s10, s10, 0x80
	v_or_b32_e32 v5, s10, v1
.LBB103_681:
	global_store_byte v[3:4], v5, off
.LBB103_682:
	s_mov_b64 s[10:11], -1
.LBB103_683:
	s_mov_b64 s[12:13], 0
.LBB103_684:
	s_and_b64 vcc, exec, s[12:13]
	s_cbranch_vccz .LBB103_730
; %bb.685:
	s_cmp_gt_i32 s16, 22
	s_mov_b64 s[8:9], -1
	s_cbranch_scc0 .LBB103_723
; %bb.686:
	s_cmp_lt_i32 s16, 24
	s_cbranch_scc1 .LBB103_710
; %bb.687:
	s_cmp_gt_i32 s16, 24
	s_cbranch_scc0 .LBB103_697
; %bb.688:
	v_cvt_f32_f16_e32 v1, s14
	v_mov_b32_e32 v5, 0x80
	v_readfirstlane_b32 s12, v1
	s_and_b32 s8, s12, 0x7fffffff
	s_cmp_gt_u32 s8, 0x477fffff
	s_cbranch_scc1 .LBB103_696
; %bb.689:
	s_cmp_gt_u32 s8, 0x37ffffff
	s_cbranch_scc0 .LBB103_691
; %bb.690:
	s_bfe_u32 s8, s12, 0x10015
	s_add_i32 s8, s12, s8
	s_add_i32 s8, s8, 0x88fffff
	s_lshr_b32 s13, s8, 21
	s_mov_b64 s[10:11], 0
	s_mov_b64 s[8:9], -1
	s_branch .LBB103_692
.LBB103_691:
	s_mov_b64 s[10:11], -1
	s_mov_b64 s[8:9], 0
                                        ; implicit-def: $sgpr13
.LBB103_692:
	s_andn2_b64 vcc, exec, s[10:11]
	v_mov_b32_e32 v1, s13
	s_cbranch_vccnz .LBB103_694
; %bb.693:
	v_mov_b32_e32 v1, 0x42800000
	v_add_f32_e64 v1, |s12|, v1
	v_and_b32_e32 v1, 0xff, v1
	v_cmp_ne_u32_e64 s[8:9], 0, v1
.LBB103_694:
	s_andn2_b64 vcc, exec, s[8:9]
	v_mov_b32_e32 v5, 0
	s_cbranch_vccnz .LBB103_696
; %bb.695:
	s_lshr_b32 s8, s12, 24
	s_and_b32 s8, s8, 0x80
	v_or_b32_e32 v5, s8, v1
.LBB103_696:
	s_mov_b64 s[8:9], 0
	global_store_byte v[3:4], v5, off
.LBB103_697:
	s_and_b64 vcc, exec, s[8:9]
	s_cbranch_vccz .LBB103_709
; %bb.698:
	v_cvt_f32_f16_e32 v1, s14
	v_readfirstlane_b32 s10, v1
	s_and_b32 s11, s10, 0x7fffffff
	s_cmp_lt_u32 s11, 0x43f00000
	s_cbranch_scc0 .LBB103_701
; %bb.699:
	s_cmp_gt_u32 s11, 0x3c7fffff
	s_cbranch_scc0 .LBB103_702
; %bb.700:
	s_bfe_u32 s8, s10, 0x10014
	s_add_i32 s8, s10, s8
	s_add_i32 s8, s8, 0x407ffff
	s_lshr_b32 s9, s8, 20
	s_and_b32 s8, s8, 0xff00000
	s_cmp_lg_u32 s8, 0x7f00000
	s_cselect_b32 s12, s9, 0x7e
	s_mov_b64 s[8:9], 0
	s_branch .LBB103_703
.LBB103_701:
	s_mov_b64 s[8:9], -1
                                        ; implicit-def: $vgpr5
	s_branch .LBB103_706
.LBB103_702:
	s_mov_b64 s[8:9], -1
                                        ; implicit-def: $sgpr12
.LBB103_703:
	s_andn2_b64 vcc, exec, s[8:9]
	v_mov_b32_e32 v5, s12
	s_cbranch_vccnz .LBB103_705
; %bb.704:
	s_mov_b32 s8, 0x46800000
	v_add_f32_e64 v5, |v1|, s8
.LBB103_705:
	s_mov_b64 s[8:9], 0
.LBB103_706:
	s_andn2_b64 vcc, exec, s[8:9]
	s_cbranch_vccnz .LBB103_708
; %bb.707:
	s_cmp_gt_u32 s11, 0x7f800000
	s_movk_i32 s8, 0x7f
	s_cselect_b32 s8, s8, 0x7e
	v_mov_b32_e32 v5, s8
.LBB103_708:
	s_lshr_b32 s8, s10, 24
	s_and_b32 s8, s8, 0x80
	v_or_b32_e32 v1, s8, v5
	global_store_byte v[3:4], v1, off
.LBB103_709:
	s_mov_b64 s[8:9], 0
.LBB103_710:
	s_andn2_b64 vcc, exec, s[8:9]
	s_cbranch_vccnz .LBB103_722
; %bb.711:
	v_cvt_f32_f16_e32 v1, s14
	v_readfirstlane_b32 s10, v1
	s_and_b32 s11, s10, 0x7fffffff
	s_cmp_lt_u32 s11, 0x47800000
	s_cbranch_scc0 .LBB103_714
; %bb.712:
	s_cmp_gt_u32 s11, 0x387fffff
	s_cbranch_scc0 .LBB103_715
; %bb.713:
	s_bfe_u32 s8, s10, 0x10015
	s_add_i32 s8, s10, s8
	s_add_i32 s8, s8, 0x80fffff
	s_lshr_b32 s12, s8, 21
	s_mov_b64 s[8:9], 0
	s_branch .LBB103_716
.LBB103_714:
	s_mov_b64 s[8:9], -1
                                        ; implicit-def: $vgpr5
	s_branch .LBB103_719
.LBB103_715:
	s_mov_b64 s[8:9], -1
                                        ; implicit-def: $sgpr12
.LBB103_716:
	s_andn2_b64 vcc, exec, s[8:9]
	v_mov_b32_e32 v5, s12
	s_cbranch_vccnz .LBB103_718
; %bb.717:
	s_mov_b32 s8, 0x43000000
	v_add_f32_e64 v5, |v1|, s8
.LBB103_718:
	s_mov_b64 s[8:9], 0
.LBB103_719:
	s_andn2_b64 vcc, exec, s[8:9]
	s_cbranch_vccnz .LBB103_721
; %bb.720:
	s_cmp_gt_u32 s11, 0x7f800000
	s_movk_i32 s8, 0x7f
	s_cselect_b32 s8, s8, 0x7c
	v_mov_b32_e32 v5, s8
.LBB103_721:
	s_lshr_b32 s8, s10, 24
	s_and_b32 s8, s8, 0x80
	v_or_b32_e32 v1, s8, v5
	global_store_byte v[3:4], v1, off
.LBB103_722:
	s_mov_b64 s[8:9], 0
	s_mov_b64 s[10:11], -1
.LBB103_723:
	s_andn2_b64 vcc, exec, s[8:9]
	s_mov_b64 s[8:9], 0
	s_cbranch_vccnz .LBB103_730
; %bb.724:
	s_cmp_gt_i32 s16, 14
	s_mov_b64 s[12:13], -1
	s_cbranch_scc0 .LBB103_728
; %bb.725:
	s_cmp_eq_u32 s16, 15
	s_mov_b64 s[4:5], -1
	s_cbranch_scc0 .LBB103_727
; %bb.726:
	v_cvt_f32_f16_e32 v1, s14
	v_cmp_o_f16_e64 vcc, s14, s14
	v_mov_b32_e32 v5, 0x7fc0
	s_mov_b64 s[4:5], 0
	v_bfe_u32 v6, v1, 16, 1
	v_add_u32_e32 v1, v1, v6
	v_add_u32_e32 v1, 0x7fff, v1
	v_cndmask_b32_sdwa v1, v5, v1, vcc dst_sel:DWORD dst_unused:UNUSED_PAD src0_sel:DWORD src1_sel:WORD_1
	global_store_short v[3:4], v1, off
	s_mov_b64 s[10:11], -1
.LBB103_727:
	s_mov_b64 s[12:13], 0
.LBB103_728:
	s_and_b64 vcc, exec, s[12:13]
	s_cbranch_vccz .LBB103_730
; %bb.729:
	s_cmp_lg_u32 s16, 11
	s_mov_b64 s[8:9], -1
	s_cselect_b64 s[4:5], -1, 0
.LBB103_730:
	s_and_b64 vcc, exec, s[4:5]
	s_cbranch_vccnz .LBB103_832
; %bb.731:
	s_andn2_b64 vcc, exec, s[8:9]
	s_cbranch_vccnz .LBB103_733
.LBB103_732:
	s_and_b32 s4, s14, 0x7fff
	s_cmp_lg_u32 s4, 0
	s_cselect_b64 s[4:5], -1, 0
	v_cndmask_b32_e64 v1, 0, 1, s[4:5]
	s_mov_b64 s[10:11], -1
	global_store_byte v[3:4], v1, off
.LBB103_733:
	s_branch .LBB103_674
.LBB103_734:
	s_and_b32 s8, 0xffff, s15
	s_cmp_lt_i32 s8, 5
	s_mov_b64 s[4:5], -1
	s_cbranch_scc1 .LBB103_755
; %bb.735:
	s_cmp_lt_i32 s8, 8
	s_cbranch_scc1 .LBB103_745
; %bb.736:
	s_cmp_lt_i32 s8, 9
	s_cbranch_scc1 .LBB103_742
; %bb.737:
	s_cmp_gt_i32 s8, 9
	s_cbranch_scc0 .LBB103_739
; %bb.738:
	v_cvt_f32_f16_e32 v1, s14
	v_mov_b32_e32 v7, 0
	v_mov_b32_e32 v8, v7
	s_mov_b64 s[4:5], 0
	v_cvt_f64_f32_e32 v[5:6], v1
	global_store_dwordx4 v[3:4], v[5:8], off
.LBB103_739:
	s_andn2_b64 vcc, exec, s[4:5]
	s_cbranch_vccnz .LBB103_741
; %bb.740:
	v_cvt_f32_f16_e32 v5, s14
	v_mov_b32_e32 v6, 0
	global_store_dwordx2 v[3:4], v[5:6], off
.LBB103_741:
	s_mov_b64 s[4:5], 0
.LBB103_742:
	s_andn2_b64 vcc, exec, s[4:5]
	s_cbranch_vccnz .LBB103_744
; %bb.743:
	s_and_b32 s4, 0xffff, s14
	v_mov_b32_e32 v1, s4
	global_store_dword v[3:4], v1, off
.LBB103_744:
	s_mov_b64 s[4:5], 0
.LBB103_745:
	s_andn2_b64 vcc, exec, s[4:5]
	s_cbranch_vccnz .LBB103_754
; %bb.746:
	s_cmp_lt_i32 s8, 6
	s_mov_b64 s[4:5], -1
	s_cbranch_scc1 .LBB103_752
; %bb.747:
	s_cmp_gt_i32 s8, 6
	s_cbranch_scc0 .LBB103_749
; %bb.748:
	v_cvt_f32_f16_e32 v1, s14
	s_mov_b64 s[4:5], 0
	v_cvt_f64_f32_e32 v[5:6], v1
	global_store_dwordx2 v[3:4], v[5:6], off
.LBB103_749:
	s_andn2_b64 vcc, exec, s[4:5]
	s_cbranch_vccnz .LBB103_751
; %bb.750:
	v_cvt_f32_f16_e32 v1, s14
	global_store_dword v[3:4], v1, off
.LBB103_751:
	s_mov_b64 s[4:5], 0
.LBB103_752:
	s_andn2_b64 vcc, exec, s[4:5]
	s_cbranch_vccnz .LBB103_754
; %bb.753:
	v_mov_b32_e32 v1, s14
	global_store_short v[3:4], v1, off
.LBB103_754:
	s_mov_b64 s[4:5], 0
.LBB103_755:
	s_andn2_b64 vcc, exec, s[4:5]
	s_cbranch_vccnz .LBB103_771
; %bb.756:
	s_cmp_lt_i32 s8, 2
	s_mov_b64 s[4:5], -1
	s_cbranch_scc1 .LBB103_766
; %bb.757:
	s_cmp_lt_i32 s8, 3
	s_cbranch_scc1 .LBB103_763
; %bb.758:
	s_cmp_gt_i32 s8, 3
	s_cbranch_scc0 .LBB103_760
; %bb.759:
	v_cvt_f32_f16_e32 v1, s14
	s_mov_b64 s[4:5], 0
	v_cvt_i32_f32_e32 v5, v1
	v_ashrrev_i32_e32 v6, 31, v5
	global_store_dwordx2 v[3:4], v[5:6], off
.LBB103_760:
	s_andn2_b64 vcc, exec, s[4:5]
	s_cbranch_vccnz .LBB103_762
; %bb.761:
	v_cvt_f32_f16_e32 v1, s14
	v_cvt_i32_f32_e32 v1, v1
	global_store_dword v[3:4], v1, off
.LBB103_762:
	s_mov_b64 s[4:5], 0
.LBB103_763:
	s_andn2_b64 vcc, exec, s[4:5]
	s_cbranch_vccnz .LBB103_765
; %bb.764:
	v_cvt_i16_f16_e32 v1, s14
	global_store_short v[3:4], v1, off
.LBB103_765:
	s_mov_b64 s[4:5], 0
.LBB103_766:
	s_andn2_b64 vcc, exec, s[4:5]
	s_cbranch_vccnz .LBB103_771
; %bb.767:
	s_cmp_gt_i32 s8, 0
	s_mov_b64 s[4:5], -1
	s_cbranch_scc0 .LBB103_769
; %bb.768:
	v_cvt_i16_f16_e32 v1, s14
	global_store_byte v[3:4], v1, off
	s_mov_b64 s[4:5], 0
.LBB103_769:
	s_andn2_b64 vcc, exec, s[4:5]
	s_cbranch_vccnz .LBB103_771
; %bb.770:
	v_cvt_f32_f16_e32 v1, s14
	v_cvt_i32_f32_e32 v1, v1
	global_store_byte v[3:4], v1, off
.LBB103_771:
.LBB103_772:
	v_mov_b32_e32 v3, s3
	v_add_co_u32_e32 v1, vcc, s2, v2
	s_cmp_lt_i32 s15, 11
	v_addc_co_u32_e32 v2, vcc, 0, v3, vcc
	s_cbranch_scc1 .LBB103_800
; %bb.773:
	s_and_b32 s16, 0xffff, s15
	s_mov_b64 s[12:13], -1
	s_mov_b64 s[8:9], 0
	s_cmp_gt_i32 s16, 25
	s_mov_b64 s[10:11], 0
	s_mov_b64 s[4:5], 0
	s_cbranch_scc0 .LBB103_841
; %bb.774:
	s_cmp_gt_i32 s16, 28
	s_cbranch_scc0 .LBB103_789
; %bb.775:
	s_cmp_gt_i32 s16, 43
	;; [unrolled: 3-line block ×3, first 2 shown]
	s_cbranch_scc0 .LBB103_779
; %bb.777:
	s_mov_b64 s[4:5], -1
	s_mov_b64 s[12:13], 0
	s_cmp_eq_u32 s16, 46
	s_cbranch_scc0 .LBB103_779
; %bb.778:
	v_cvt_f32_f16_e32 v3, s14
	v_cmp_o_f16_e64 vcc, s14, s14
	v_mov_b32_e32 v4, 0x7fc0
	s_mov_b64 s[4:5], 0
	v_bfe_u32 v5, v3, 16, 1
	v_add_u32_e32 v3, v3, v5
	v_add_u32_e32 v3, 0x7fff, v3
	v_cndmask_b32_sdwa v3, v4, v3, vcc dst_sel:DWORD dst_unused:UNUSED_PAD src0_sel:DWORD src1_sel:WORD_1
	global_store_dword v[1:2], v3, off
	s_mov_b64 s[10:11], -1
.LBB103_779:
	s_and_b64 vcc, exec, s[12:13]
	s_cbranch_vccz .LBB103_784
; %bb.780:
	s_cmp_eq_u32 s16, 44
	s_mov_b64 s[4:5], -1
	s_cbranch_scc0 .LBB103_784
; %bb.781:
	v_cvt_f32_f16_e32 v3, s14
	v_mov_b32_e32 v4, 0xff
	v_readfirstlane_b32 s4, v3
	s_bfe_u32 s5, s4, 0x80017
	s_cmpk_eq_i32 s5, 0xff
	s_cbranch_scc1 .LBB103_783
; %bb.782:
	s_bitcmp1_b32 s4, 22
	s_cselect_b64 s[10:11], -1, 0
	s_and_b32 s4, s4, 0x3fffff
	s_or_b32 s4, s5, s4
	s_cmp_lg_u32 s4, 0
	s_cselect_b64 s[4:5], -1, 0
	s_and_b64 s[4:5], s[10:11], s[4:5]
	v_lshrrev_b32_e32 v3, 23, v3
	v_cndmask_b32_e64 v4, 0, 1, s[4:5]
	v_add_u32_e32 v4, v3, v4
.LBB103_783:
	s_mov_b64 s[4:5], 0
	s_mov_b64 s[10:11], -1
	global_store_byte v[1:2], v4, off
.LBB103_784:
	s_mov_b64 s[12:13], 0
.LBB103_785:
	s_and_b64 vcc, exec, s[12:13]
	s_cbranch_vccz .LBB103_788
; %bb.786:
	s_cmp_eq_u32 s16, 29
	s_mov_b64 s[4:5], -1
	s_cbranch_scc0 .LBB103_788
; %bb.787:
	v_cvt_f32_f16_e32 v3, s14
	v_mov_b32_e32 v4, 0
	s_mov_b64 s[4:5], 0
	s_mov_b64 s[10:11], -1
	v_cvt_u32_f32_e32 v3, v3
	global_store_dwordx2 v[1:2], v[3:4], off
.LBB103_788:
	s_mov_b64 s[12:13], 0
.LBB103_789:
	s_and_b64 vcc, exec, s[12:13]
	s_cbranch_vccz .LBB103_840
; %bb.790:
	s_cmp_lt_i32 s16, 27
	s_mov_b64 s[10:11], -1
	s_cbranch_scc1 .LBB103_796
; %bb.791:
	s_cmp_gt_i32 s16, 27
	s_cbranch_scc0 .LBB103_793
; %bb.792:
	v_cvt_f32_f16_e32 v3, s14
	s_mov_b64 s[10:11], 0
	v_cvt_u32_f32_e32 v3, v3
	global_store_dword v[1:2], v3, off
.LBB103_793:
	s_andn2_b64 vcc, exec, s[10:11]
	s_cbranch_vccnz .LBB103_795
; %bb.794:
	v_cvt_u16_f16_e32 v3, s14
	global_store_short v[1:2], v3, off
.LBB103_795:
	s_mov_b64 s[10:11], 0
.LBB103_796:
	s_andn2_b64 vcc, exec, s[10:11]
	s_cbranch_vccnz .LBB103_839
; %bb.797:
	v_cvt_f32_f16_e32 v3, s14
	v_mov_b32_e32 v4, 0x80
	v_readfirstlane_b32 s17, v3
	s_and_b32 s10, s17, 0x7fffffff
	s_cmp_gt_u32 s10, 0x437fffff
	s_cbranch_scc1 .LBB103_838
; %bb.798:
	s_cmp_gt_u32 s10, 0x3bffffff
	s_cbranch_scc0 .LBB103_833
; %bb.799:
	s_bfe_u32 s10, s17, 0x10014
	s_add_i32 s10, s17, s10
	s_add_i32 s10, s10, 0x487ffff
	s_lshr_b32 s18, s10, 20
	s_mov_b64 s[12:13], 0
	s_mov_b64 s[10:11], -1
	s_branch .LBB103_834
.LBB103_800:
	s_mov_b64 s[10:11], 0
	s_cbranch_execnz .LBB103_905
.LBB103_801:
	s_andn2_b64 vcc, exec, s[10:11]
	s_cbranch_vccnz .LBB103_943
.LBB103_802:
	v_mov_b32_e32 v1, s3
	v_add_co_u32_e32 v0, vcc, s2, v0
	s_cmp_lt_i32 s15, 11
	v_addc_co_u32_e32 v1, vcc, 0, v1, vcc
	s_cbranch_scc1 .LBB103_831
; %bb.803:
	s_and_b32 s12, 0xffff, s15
	s_mov_b64 s[8:9], -1
	s_mov_b64 s[4:5], 0
	s_cmp_gt_i32 s12, 25
	s_mov_b64 s[2:3], 0
	s_cbranch_scc0 .LBB103_855
; %bb.804:
	s_cmp_gt_i32 s12, 28
	s_cbranch_scc0 .LBB103_820
; %bb.805:
	s_cmp_gt_i32 s12, 43
	;; [unrolled: 3-line block ×3, first 2 shown]
	s_cbranch_scc0 .LBB103_810
; %bb.807:
	s_cmp_eq_u32 s12, 46
	s_mov_b64 s[2:3], -1
	s_cbranch_scc0 .LBB103_809
; %bb.808:
	v_cvt_f32_f16_e32 v2, s14
	v_cmp_o_f16_e64 vcc, s14, s14
	v_mov_b32_e32 v3, 0x7fc0
	s_mov_b64 s[2:3], 0
	v_bfe_u32 v4, v2, 16, 1
	v_add_u32_e32 v2, v2, v4
	v_add_u32_e32 v2, 0x7fff, v2
	v_cndmask_b32_sdwa v2, v3, v2, vcc dst_sel:DWORD dst_unused:UNUSED_PAD src0_sel:DWORD src1_sel:WORD_1
	global_store_dword v[0:1], v2, off
.LBB103_809:
	s_mov_b64 s[8:9], 0
.LBB103_810:
	s_and_b64 vcc, exec, s[8:9]
	s_cbranch_vccz .LBB103_815
; %bb.811:
	s_cmp_eq_u32 s12, 44
	s_mov_b64 s[2:3], -1
	s_cbranch_scc0 .LBB103_815
; %bb.812:
	v_cvt_f32_f16_e32 v2, s14
	v_mov_b32_e32 v3, 0xff
	v_readfirstlane_b32 s2, v2
	s_bfe_u32 s3, s2, 0x80017
	s_cmpk_eq_i32 s3, 0xff
	s_cbranch_scc1 .LBB103_814
; %bb.813:
	s_bitcmp1_b32 s2, 22
	s_cselect_b64 s[8:9], -1, 0
	s_and_b32 s2, s2, 0x3fffff
	s_or_b32 s2, s3, s2
	s_cmp_lg_u32 s2, 0
	s_cselect_b64 s[2:3], -1, 0
	s_and_b64 s[2:3], s[8:9], s[2:3]
	v_lshrrev_b32_e32 v2, 23, v2
	v_cndmask_b32_e64 v3, 0, 1, s[2:3]
	v_add_u32_e32 v3, v2, v3
.LBB103_814:
	s_mov_b64 s[2:3], 0
	global_store_byte v[0:1], v3, off
.LBB103_815:
	s_mov_b64 s[8:9], 0
.LBB103_816:
	s_and_b64 vcc, exec, s[8:9]
	s_cbranch_vccz .LBB103_819
; %bb.817:
	s_cmp_eq_u32 s12, 29
	s_mov_b64 s[2:3], -1
	s_cbranch_scc0 .LBB103_819
; %bb.818:
	v_cvt_f32_f16_e32 v2, s14
	v_mov_b32_e32 v3, 0
	s_mov_b64 s[2:3], 0
	v_cvt_u32_f32_e32 v2, v2
	global_store_dwordx2 v[0:1], v[2:3], off
.LBB103_819:
	s_mov_b64 s[8:9], 0
.LBB103_820:
	s_and_b64 vcc, exec, s[8:9]
	s_cbranch_vccz .LBB103_854
; %bb.821:
	s_cmp_lt_i32 s12, 27
	s_mov_b64 s[8:9], -1
	s_cbranch_scc1 .LBB103_827
; %bb.822:
	s_cmp_gt_i32 s12, 27
	s_cbranch_scc0 .LBB103_824
; %bb.823:
	v_cvt_f32_f16_e32 v2, s14
	s_mov_b64 s[8:9], 0
	v_cvt_u32_f32_e32 v2, v2
	global_store_dword v[0:1], v2, off
.LBB103_824:
	s_andn2_b64 vcc, exec, s[8:9]
	s_cbranch_vccnz .LBB103_826
; %bb.825:
	v_cvt_u16_f16_e32 v2, s14
	global_store_short v[0:1], v2, off
.LBB103_826:
	s_mov_b64 s[8:9], 0
.LBB103_827:
	s_andn2_b64 vcc, exec, s[8:9]
	s_cbranch_vccnz .LBB103_854
; %bb.828:
	v_cvt_f32_f16_e32 v2, s14
	v_mov_b32_e32 v3, 0x80
	v_readfirstlane_b32 s13, v2
	s_and_b32 s8, s13, 0x7fffffff
	s_cmp_gt_u32 s8, 0x437fffff
	s_cbranch_scc1 .LBB103_853
; %bb.829:
	s_cmp_gt_u32 s8, 0x3bffffff
	s_cbranch_scc0 .LBB103_848
; %bb.830:
	s_bfe_u32 s8, s13, 0x10014
	s_add_i32 s8, s13, s8
	s_add_i32 s8, s8, 0x487ffff
	s_lshr_b32 s16, s8, 20
	s_mov_b64 s[10:11], 0
	s_mov_b64 s[8:9], -1
	s_branch .LBB103_849
.LBB103_831:
	s_mov_b64 s[4:5], 0
	s_mov_b64 s[2:3], -1
	s_branch .LBB103_944
.LBB103_832:
	s_trap 2
	s_or_b64 s[0:1], s[0:1], exec
	s_cbranch_execz .LBB103_732
	s_branch .LBB103_733
.LBB103_833:
	s_mov_b64 s[12:13], -1
	s_mov_b64 s[10:11], 0
                                        ; implicit-def: $sgpr18
.LBB103_834:
	s_andn2_b64 vcc, exec, s[12:13]
	v_mov_b32_e32 v3, s18
	s_cbranch_vccnz .LBB103_836
; %bb.835:
	v_mov_b32_e32 v3, 0x46000000
	v_add_f32_e64 v3, |s17|, v3
	v_and_b32_e32 v3, 0xff, v3
	v_cmp_ne_u32_e64 s[10:11], 0, v3
.LBB103_836:
	s_andn2_b64 vcc, exec, s[10:11]
	v_mov_b32_e32 v4, 0
	s_cbranch_vccnz .LBB103_838
; %bb.837:
	s_lshr_b32 s10, s17, 24
	s_and_b32 s10, s10, 0x80
	v_or_b32_e32 v4, s10, v3
.LBB103_838:
	global_store_byte v[1:2], v4, off
.LBB103_839:
	s_mov_b64 s[10:11], -1
.LBB103_840:
	s_mov_b64 s[12:13], 0
.LBB103_841:
	s_and_b64 vcc, exec, s[12:13]
	s_cbranch_vccz .LBB103_901
; %bb.842:
	s_cmp_gt_i32 s16, 22
	s_mov_b64 s[8:9], -1
	s_cbranch_scc0 .LBB103_894
; %bb.843:
	s_cmp_lt_i32 s16, 24
	s_cbranch_scc1 .LBB103_881
; %bb.844:
	s_cmp_gt_i32 s16, 24
	s_cbranch_scc0 .LBB103_868
; %bb.845:
	v_cvt_f32_f16_e32 v3, s14
	v_mov_b32_e32 v4, 0x80
	v_readfirstlane_b32 s12, v3
	s_and_b32 s8, s12, 0x7fffffff
	s_cmp_gt_u32 s8, 0x477fffff
	s_cbranch_scc1 .LBB103_867
; %bb.846:
	s_cmp_gt_u32 s8, 0x37ffffff
	s_cbranch_scc0 .LBB103_862
; %bb.847:
	s_bfe_u32 s8, s12, 0x10015
	s_add_i32 s8, s12, s8
	s_add_i32 s8, s8, 0x88fffff
	s_lshr_b32 s13, s8, 21
	s_mov_b64 s[10:11], 0
	s_mov_b64 s[8:9], -1
	s_branch .LBB103_863
.LBB103_848:
	s_mov_b64 s[10:11], -1
	s_mov_b64 s[8:9], 0
                                        ; implicit-def: $sgpr16
.LBB103_849:
	s_andn2_b64 vcc, exec, s[10:11]
	v_mov_b32_e32 v2, s16
	s_cbranch_vccnz .LBB103_851
; %bb.850:
	v_mov_b32_e32 v2, 0x46000000
	v_add_f32_e64 v2, |s13|, v2
	v_and_b32_e32 v2, 0xff, v2
	v_cmp_ne_u32_e64 s[8:9], 0, v2
.LBB103_851:
	s_andn2_b64 vcc, exec, s[8:9]
	v_mov_b32_e32 v3, 0
	s_cbranch_vccnz .LBB103_853
; %bb.852:
	s_lshr_b32 s8, s13, 24
	s_and_b32 s8, s8, 0x80
	v_or_b32_e32 v3, s8, v2
.LBB103_853:
	global_store_byte v[0:1], v3, off
.LBB103_854:
	s_mov_b64 s[8:9], 0
.LBB103_855:
	s_and_b64 vcc, exec, s[8:9]
	s_cbranch_vccz .LBB103_1028
; %bb.856:
	s_cmp_gt_i32 s12, 22
	s_mov_b64 s[4:5], -1
	s_cbranch_scc0 .LBB103_1021
; %bb.857:
	s_cmp_lt_i32 s12, 24
	s_cbranch_scc1 .LBB103_1008
; %bb.858:
	s_cmp_gt_i32 s12, 24
	s_cbranch_scc0 .LBB103_995
; %bb.859:
	v_cvt_f32_f16_e32 v2, s14
	v_mov_b32_e32 v3, 0x80
	v_readfirstlane_b32 s10, v2
	s_and_b32 s4, s10, 0x7fffffff
	s_cmp_gt_u32 s4, 0x477fffff
	s_cbranch_scc1 .LBB103_994
; %bb.860:
	s_cmp_gt_u32 s4, 0x37ffffff
	s_cbranch_scc0 .LBB103_989
; %bb.861:
	s_bfe_u32 s4, s10, 0x10015
	s_add_i32 s4, s10, s4
	s_add_i32 s4, s4, 0x88fffff
	s_lshr_b32 s11, s4, 21
	s_mov_b64 s[8:9], 0
	s_mov_b64 s[4:5], -1
	s_branch .LBB103_990
.LBB103_862:
	s_mov_b64 s[10:11], -1
	s_mov_b64 s[8:9], 0
                                        ; implicit-def: $sgpr13
.LBB103_863:
	s_andn2_b64 vcc, exec, s[10:11]
	v_mov_b32_e32 v3, s13
	s_cbranch_vccnz .LBB103_865
; %bb.864:
	v_mov_b32_e32 v3, 0x42800000
	v_add_f32_e64 v3, |s12|, v3
	v_and_b32_e32 v3, 0xff, v3
	v_cmp_ne_u32_e64 s[8:9], 0, v3
.LBB103_865:
	s_andn2_b64 vcc, exec, s[8:9]
	v_mov_b32_e32 v4, 0
	s_cbranch_vccnz .LBB103_867
; %bb.866:
	s_lshr_b32 s8, s12, 24
	s_and_b32 s8, s8, 0x80
	v_or_b32_e32 v4, s8, v3
.LBB103_867:
	s_mov_b64 s[8:9], 0
	global_store_byte v[1:2], v4, off
.LBB103_868:
	s_and_b64 vcc, exec, s[8:9]
	s_cbranch_vccz .LBB103_880
; %bb.869:
	v_cvt_f32_f16_e32 v3, s14
	v_readfirstlane_b32 s10, v3
	s_and_b32 s11, s10, 0x7fffffff
	s_cmp_lt_u32 s11, 0x43f00000
	s_cbranch_scc0 .LBB103_872
; %bb.870:
	s_cmp_gt_u32 s11, 0x3c7fffff
	s_cbranch_scc0 .LBB103_873
; %bb.871:
	s_bfe_u32 s8, s10, 0x10014
	s_add_i32 s8, s10, s8
	s_add_i32 s8, s8, 0x407ffff
	s_lshr_b32 s9, s8, 20
	s_and_b32 s8, s8, 0xff00000
	s_cmp_lg_u32 s8, 0x7f00000
	s_cselect_b32 s12, s9, 0x7e
	s_mov_b64 s[8:9], 0
	s_branch .LBB103_874
.LBB103_872:
	s_mov_b64 s[8:9], -1
                                        ; implicit-def: $vgpr4
	s_branch .LBB103_877
.LBB103_873:
	s_mov_b64 s[8:9], -1
                                        ; implicit-def: $sgpr12
.LBB103_874:
	s_andn2_b64 vcc, exec, s[8:9]
	v_mov_b32_e32 v4, s12
	s_cbranch_vccnz .LBB103_876
; %bb.875:
	s_mov_b32 s8, 0x46800000
	v_add_f32_e64 v4, |v3|, s8
.LBB103_876:
	s_mov_b64 s[8:9], 0
.LBB103_877:
	s_andn2_b64 vcc, exec, s[8:9]
	s_cbranch_vccnz .LBB103_879
; %bb.878:
	s_cmp_gt_u32 s11, 0x7f800000
	s_movk_i32 s8, 0x7f
	s_cselect_b32 s8, s8, 0x7e
	v_mov_b32_e32 v4, s8
.LBB103_879:
	s_lshr_b32 s8, s10, 24
	s_and_b32 s8, s8, 0x80
	v_or_b32_e32 v3, s8, v4
	global_store_byte v[1:2], v3, off
.LBB103_880:
	s_mov_b64 s[8:9], 0
.LBB103_881:
	s_andn2_b64 vcc, exec, s[8:9]
	s_cbranch_vccnz .LBB103_893
; %bb.882:
	v_cvt_f32_f16_e32 v3, s14
	v_readfirstlane_b32 s10, v3
	s_and_b32 s11, s10, 0x7fffffff
	s_cmp_lt_u32 s11, 0x47800000
	s_cbranch_scc0 .LBB103_885
; %bb.883:
	s_cmp_gt_u32 s11, 0x387fffff
	s_cbranch_scc0 .LBB103_886
; %bb.884:
	s_bfe_u32 s8, s10, 0x10015
	s_add_i32 s8, s10, s8
	s_add_i32 s8, s8, 0x80fffff
	s_lshr_b32 s12, s8, 21
	s_mov_b64 s[8:9], 0
	s_branch .LBB103_887
.LBB103_885:
	s_mov_b64 s[8:9], -1
                                        ; implicit-def: $vgpr4
	s_branch .LBB103_890
.LBB103_886:
	s_mov_b64 s[8:9], -1
                                        ; implicit-def: $sgpr12
.LBB103_887:
	s_andn2_b64 vcc, exec, s[8:9]
	v_mov_b32_e32 v4, s12
	s_cbranch_vccnz .LBB103_889
; %bb.888:
	s_mov_b32 s8, 0x43000000
	v_add_f32_e64 v4, |v3|, s8
.LBB103_889:
	s_mov_b64 s[8:9], 0
.LBB103_890:
	s_andn2_b64 vcc, exec, s[8:9]
	s_cbranch_vccnz .LBB103_892
; %bb.891:
	s_cmp_gt_u32 s11, 0x7f800000
	s_movk_i32 s8, 0x7f
	s_cselect_b32 s8, s8, 0x7c
	v_mov_b32_e32 v4, s8
.LBB103_892:
	s_lshr_b32 s8, s10, 24
	s_and_b32 s8, s8, 0x80
	v_or_b32_e32 v3, s8, v4
	global_store_byte v[1:2], v3, off
.LBB103_893:
	s_mov_b64 s[8:9], 0
	s_mov_b64 s[10:11], -1
.LBB103_894:
	s_andn2_b64 vcc, exec, s[8:9]
	s_mov_b64 s[8:9], 0
	s_cbranch_vccnz .LBB103_901
; %bb.895:
	s_cmp_gt_i32 s16, 14
	s_mov_b64 s[12:13], -1
	s_cbranch_scc0 .LBB103_899
; %bb.896:
	s_cmp_eq_u32 s16, 15
	s_mov_b64 s[4:5], -1
	s_cbranch_scc0 .LBB103_898
; %bb.897:
	v_cvt_f32_f16_e32 v3, s14
	v_cmp_o_f16_e64 vcc, s14, s14
	v_mov_b32_e32 v4, 0x7fc0
	s_mov_b64 s[4:5], 0
	v_bfe_u32 v5, v3, 16, 1
	v_add_u32_e32 v3, v3, v5
	v_add_u32_e32 v3, 0x7fff, v3
	v_cndmask_b32_sdwa v3, v4, v3, vcc dst_sel:DWORD dst_unused:UNUSED_PAD src0_sel:DWORD src1_sel:WORD_1
	global_store_short v[1:2], v3, off
	s_mov_b64 s[10:11], -1
.LBB103_898:
	s_mov_b64 s[12:13], 0
.LBB103_899:
	s_and_b64 vcc, exec, s[12:13]
	s_cbranch_vccz .LBB103_901
; %bb.900:
	s_cmp_lg_u32 s16, 11
	s_mov_b64 s[8:9], -1
	s_cselect_b64 s[4:5], -1, 0
.LBB103_901:
	s_and_b64 vcc, exec, s[4:5]
	s_cbranch_vccnz .LBB103_988
; %bb.902:
	s_andn2_b64 vcc, exec, s[8:9]
	s_cbranch_vccnz .LBB103_904
.LBB103_903:
	s_and_b32 s4, s14, 0x7fff
	s_cmp_lg_u32 s4, 0
	s_cselect_b64 s[4:5], -1, 0
	v_cndmask_b32_e64 v3, 0, 1, s[4:5]
	s_mov_b64 s[10:11], -1
	global_store_byte v[1:2], v3, off
.LBB103_904:
	s_branch .LBB103_801
.LBB103_905:
	s_and_b32 s8, 0xffff, s15
	s_cmp_lt_i32 s8, 5
	s_mov_b64 s[4:5], -1
	s_cbranch_scc1 .LBB103_926
; %bb.906:
	s_cmp_lt_i32 s8, 8
	s_cbranch_scc1 .LBB103_916
; %bb.907:
	s_cmp_lt_i32 s8, 9
	s_cbranch_scc1 .LBB103_913
; %bb.908:
	s_cmp_gt_i32 s8, 9
	s_cbranch_scc0 .LBB103_910
; %bb.909:
	v_cvt_f32_f16_e32 v3, s14
	v_mov_b32_e32 v5, 0
	v_mov_b32_e32 v6, v5
	s_mov_b64 s[4:5], 0
	v_cvt_f64_f32_e32 v[3:4], v3
	global_store_dwordx4 v[1:2], v[3:6], off
.LBB103_910:
	s_andn2_b64 vcc, exec, s[4:5]
	s_cbranch_vccnz .LBB103_912
; %bb.911:
	v_cvt_f32_f16_e32 v3, s14
	v_mov_b32_e32 v4, 0
	global_store_dwordx2 v[1:2], v[3:4], off
.LBB103_912:
	s_mov_b64 s[4:5], 0
.LBB103_913:
	s_andn2_b64 vcc, exec, s[4:5]
	s_cbranch_vccnz .LBB103_915
; %bb.914:
	s_and_b32 s4, 0xffff, s14
	v_mov_b32_e32 v3, s4
	global_store_dword v[1:2], v3, off
.LBB103_915:
	s_mov_b64 s[4:5], 0
.LBB103_916:
	s_andn2_b64 vcc, exec, s[4:5]
	s_cbranch_vccnz .LBB103_925
; %bb.917:
	s_cmp_lt_i32 s8, 6
	s_mov_b64 s[4:5], -1
	s_cbranch_scc1 .LBB103_923
; %bb.918:
	s_cmp_gt_i32 s8, 6
	s_cbranch_scc0 .LBB103_920
; %bb.919:
	v_cvt_f32_f16_e32 v3, s14
	s_mov_b64 s[4:5], 0
	v_cvt_f64_f32_e32 v[3:4], v3
	global_store_dwordx2 v[1:2], v[3:4], off
.LBB103_920:
	s_andn2_b64 vcc, exec, s[4:5]
	s_cbranch_vccnz .LBB103_922
; %bb.921:
	v_cvt_f32_f16_e32 v3, s14
	global_store_dword v[1:2], v3, off
.LBB103_922:
	s_mov_b64 s[4:5], 0
.LBB103_923:
	s_andn2_b64 vcc, exec, s[4:5]
	s_cbranch_vccnz .LBB103_925
; %bb.924:
	v_mov_b32_e32 v3, s14
	global_store_short v[1:2], v3, off
.LBB103_925:
	s_mov_b64 s[4:5], 0
.LBB103_926:
	s_andn2_b64 vcc, exec, s[4:5]
	s_cbranch_vccnz .LBB103_942
; %bb.927:
	s_cmp_lt_i32 s8, 2
	s_mov_b64 s[4:5], -1
	s_cbranch_scc1 .LBB103_937
; %bb.928:
	s_cmp_lt_i32 s8, 3
	s_cbranch_scc1 .LBB103_934
; %bb.929:
	s_cmp_gt_i32 s8, 3
	s_cbranch_scc0 .LBB103_931
; %bb.930:
	v_cvt_f32_f16_e32 v3, s14
	s_mov_b64 s[4:5], 0
	v_cvt_i32_f32_e32 v3, v3
	v_ashrrev_i32_e32 v4, 31, v3
	global_store_dwordx2 v[1:2], v[3:4], off
.LBB103_931:
	s_andn2_b64 vcc, exec, s[4:5]
	s_cbranch_vccnz .LBB103_933
; %bb.932:
	v_cvt_f32_f16_e32 v3, s14
	v_cvt_i32_f32_e32 v3, v3
	global_store_dword v[1:2], v3, off
.LBB103_933:
	s_mov_b64 s[4:5], 0
.LBB103_934:
	s_andn2_b64 vcc, exec, s[4:5]
	s_cbranch_vccnz .LBB103_936
; %bb.935:
	v_cvt_i16_f16_e32 v3, s14
	global_store_short v[1:2], v3, off
.LBB103_936:
	s_mov_b64 s[4:5], 0
.LBB103_937:
	s_andn2_b64 vcc, exec, s[4:5]
	s_cbranch_vccnz .LBB103_942
; %bb.938:
	s_cmp_gt_i32 s8, 0
	s_mov_b64 s[4:5], -1
	s_cbranch_scc0 .LBB103_940
; %bb.939:
	v_cvt_i16_f16_e32 v3, s14
	global_store_byte v[1:2], v3, off
	s_mov_b64 s[4:5], 0
.LBB103_940:
	s_andn2_b64 vcc, exec, s[4:5]
	s_cbranch_vccnz .LBB103_942
; %bb.941:
	v_cvt_f32_f16_e32 v3, s14
	v_cvt_i32_f32_e32 v3, v3
	global_store_byte v[1:2], v3, off
.LBB103_942:
	s_branch .LBB103_802
.LBB103_943:
	s_mov_b64 s[2:3], 0
	s_mov_b64 s[4:5], 0
                                        ; implicit-def: $sgpr15
                                        ; implicit-def: $vgpr0_vgpr1
.LBB103_944:
	s_and_b64 s[30:31], s[4:5], exec
	s_andn2_b64 s[4:5], s[6:7], exec
	s_and_b64 s[0:1], s[0:1], exec
	s_and_b64 s[2:3], s[2:3], exec
	s_or_b64 s[6:7], s[4:5], s[0:1]
.LBB103_945:
	s_or_b64 exec, exec, s[24:25]
	s_and_saveexec_b64 s[0:1], s[6:7]
	s_cbranch_execz .LBB103_948
; %bb.946:
	; divergent unreachable
	s_or_b64 exec, exec, s[0:1]
	s_and_saveexec_b64 s[0:1], s[30:31]
	s_xor_b64 s[0:1], exec, s[0:1]
	s_cbranch_execnz .LBB103_949
.LBB103_947:
	s_or_b64 exec, exec, s[0:1]
	s_and_saveexec_b64 s[0:1], s[2:3]
	s_cbranch_execnz .LBB103_950
	s_branch .LBB103_987
.LBB103_948:
	s_or_b64 exec, exec, s[0:1]
	s_and_saveexec_b64 s[0:1], s[30:31]
	s_xor_b64 s[0:1], exec, s[0:1]
	s_cbranch_execz .LBB103_947
.LBB103_949:
	s_and_b32 s4, s14, 0x7fff
	s_cmp_lg_u32 s4, 0
	s_cselect_b64 s[4:5], -1, 0
	v_cndmask_b32_e64 v2, 0, 1, s[4:5]
	global_store_byte v[0:1], v2, off
	s_or_b64 exec, exec, s[0:1]
	s_and_saveexec_b64 s[0:1], s[2:3]
	s_cbranch_execz .LBB103_987
.LBB103_950:
	s_sext_i32_i16 s2, s15
	s_cmp_lt_i32 s2, 5
	s_mov_b64 s[0:1], -1
	s_cbranch_scc1 .LBB103_971
; %bb.951:
	s_cmp_lt_i32 s2, 8
	s_cbranch_scc1 .LBB103_961
; %bb.952:
	s_cmp_lt_i32 s2, 9
	s_cbranch_scc1 .LBB103_958
; %bb.953:
	s_cmp_gt_i32 s2, 9
	s_cbranch_scc0 .LBB103_955
; %bb.954:
	v_cvt_f32_f16_e32 v2, s14
	v_mov_b32_e32 v4, 0
	v_mov_b32_e32 v5, v4
	s_mov_b64 s[0:1], 0
	v_cvt_f64_f32_e32 v[2:3], v2
	global_store_dwordx4 v[0:1], v[2:5], off
.LBB103_955:
	s_andn2_b64 vcc, exec, s[0:1]
	s_cbranch_vccnz .LBB103_957
; %bb.956:
	v_cvt_f32_f16_e32 v2, s14
	v_mov_b32_e32 v3, 0
	global_store_dwordx2 v[0:1], v[2:3], off
.LBB103_957:
	s_mov_b64 s[0:1], 0
.LBB103_958:
	s_andn2_b64 vcc, exec, s[0:1]
	s_cbranch_vccnz .LBB103_960
; %bb.959:
	s_and_b32 s0, 0xffff, s14
	v_mov_b32_e32 v2, s0
	global_store_dword v[0:1], v2, off
.LBB103_960:
	s_mov_b64 s[0:1], 0
.LBB103_961:
	s_andn2_b64 vcc, exec, s[0:1]
	s_cbranch_vccnz .LBB103_970
; %bb.962:
	s_sext_i32_i16 s2, s15
	s_cmp_lt_i32 s2, 6
	s_mov_b64 s[0:1], -1
	s_cbranch_scc1 .LBB103_968
; %bb.963:
	s_cmp_gt_i32 s2, 6
	s_cbranch_scc0 .LBB103_965
; %bb.964:
	v_cvt_f32_f16_e32 v2, s14
	s_mov_b64 s[0:1], 0
	v_cvt_f64_f32_e32 v[2:3], v2
	global_store_dwordx2 v[0:1], v[2:3], off
.LBB103_965:
	s_andn2_b64 vcc, exec, s[0:1]
	s_cbranch_vccnz .LBB103_967
; %bb.966:
	v_cvt_f32_f16_e32 v2, s14
	global_store_dword v[0:1], v2, off
.LBB103_967:
	s_mov_b64 s[0:1], 0
.LBB103_968:
	s_andn2_b64 vcc, exec, s[0:1]
	s_cbranch_vccnz .LBB103_970
; %bb.969:
	v_mov_b32_e32 v2, s14
	global_store_short v[0:1], v2, off
.LBB103_970:
	s_mov_b64 s[0:1], 0
.LBB103_971:
	s_andn2_b64 vcc, exec, s[0:1]
	s_cbranch_vccnz .LBB103_987
; %bb.972:
	s_sext_i32_i16 s2, s15
	s_cmp_lt_i32 s2, 2
	s_mov_b64 s[0:1], -1
	s_cbranch_scc1 .LBB103_982
; %bb.973:
	s_cmp_lt_i32 s2, 3
	s_cbranch_scc1 .LBB103_979
; %bb.974:
	s_cmp_gt_i32 s2, 3
	s_cbranch_scc0 .LBB103_976
; %bb.975:
	v_cvt_f32_f16_e32 v2, s14
	s_mov_b64 s[0:1], 0
	v_cvt_i32_f32_e32 v2, v2
	v_ashrrev_i32_e32 v3, 31, v2
	global_store_dwordx2 v[0:1], v[2:3], off
.LBB103_976:
	s_andn2_b64 vcc, exec, s[0:1]
	s_cbranch_vccnz .LBB103_978
; %bb.977:
	v_cvt_f32_f16_e32 v2, s14
	v_cvt_i32_f32_e32 v2, v2
	global_store_dword v[0:1], v2, off
.LBB103_978:
	s_mov_b64 s[0:1], 0
.LBB103_979:
	s_andn2_b64 vcc, exec, s[0:1]
	s_cbranch_vccnz .LBB103_981
; %bb.980:
	v_cvt_i16_f16_e32 v2, s14
	global_store_short v[0:1], v2, off
.LBB103_981:
	s_mov_b64 s[0:1], 0
.LBB103_982:
	s_andn2_b64 vcc, exec, s[0:1]
	s_cbranch_vccnz .LBB103_987
; %bb.983:
	s_sext_i32_i16 s0, s15
	s_cmp_gt_i32 s0, 0
	s_mov_b64 s[0:1], -1
	s_cbranch_scc0 .LBB103_985
; %bb.984:
	v_cvt_i16_f16_e32 v2, s14
	global_store_byte v[0:1], v2, off
	s_mov_b64 s[0:1], 0
.LBB103_985:
	s_andn2_b64 vcc, exec, s[0:1]
	s_cbranch_vccnz .LBB103_987
; %bb.986:
	v_cvt_f32_f16_e32 v2, s14
	v_cvt_i32_f32_e32 v2, v2
	global_store_byte v[0:1], v2, off
	s_endpgm
.LBB103_987:
	s_endpgm
.LBB103_988:
	s_trap 2
	s_or_b64 s[0:1], s[0:1], exec
	s_cbranch_execz .LBB103_903
	s_branch .LBB103_904
.LBB103_989:
	s_mov_b64 s[8:9], -1
	s_mov_b64 s[4:5], 0
                                        ; implicit-def: $sgpr11
.LBB103_990:
	s_andn2_b64 vcc, exec, s[8:9]
	v_mov_b32_e32 v2, s11
	s_cbranch_vccnz .LBB103_992
; %bb.991:
	v_mov_b32_e32 v2, 0x42800000
	v_add_f32_e64 v2, |s10|, v2
	v_and_b32_e32 v2, 0xff, v2
	v_cmp_ne_u32_e64 s[4:5], 0, v2
.LBB103_992:
	s_andn2_b64 vcc, exec, s[4:5]
	v_mov_b32_e32 v3, 0
	s_cbranch_vccnz .LBB103_994
; %bb.993:
	s_lshr_b32 s4, s10, 24
	s_and_b32 s4, s4, 0x80
	v_or_b32_e32 v3, s4, v2
.LBB103_994:
	s_mov_b64 s[4:5], 0
	global_store_byte v[0:1], v3, off
.LBB103_995:
	s_and_b64 vcc, exec, s[4:5]
	s_cbranch_vccz .LBB103_1007
; %bb.996:
	v_cvt_f32_f16_e32 v2, s14
	v_readfirstlane_b32 s8, v2
	s_and_b32 s9, s8, 0x7fffffff
	s_cmp_lt_u32 s9, 0x43f00000
	s_cbranch_scc0 .LBB103_999
; %bb.997:
	s_cmp_gt_u32 s9, 0x3c7fffff
	s_cbranch_scc0 .LBB103_1000
; %bb.998:
	s_bfe_u32 s4, s8, 0x10014
	s_add_i32 s4, s8, s4
	s_add_i32 s4, s4, 0x407ffff
	s_lshr_b32 s5, s4, 20
	s_and_b32 s4, s4, 0xff00000
	s_cmp_lg_u32 s4, 0x7f00000
	s_cselect_b32 s10, s5, 0x7e
	s_mov_b64 s[4:5], 0
	s_branch .LBB103_1001
.LBB103_999:
	s_mov_b64 s[4:5], -1
                                        ; implicit-def: $vgpr3
	s_branch .LBB103_1004
.LBB103_1000:
	s_mov_b64 s[4:5], -1
                                        ; implicit-def: $sgpr10
.LBB103_1001:
	s_andn2_b64 vcc, exec, s[4:5]
	v_mov_b32_e32 v3, s10
	s_cbranch_vccnz .LBB103_1003
; %bb.1002:
	s_mov_b32 s4, 0x46800000
	v_add_f32_e64 v3, |v2|, s4
.LBB103_1003:
	s_mov_b64 s[4:5], 0
.LBB103_1004:
	s_andn2_b64 vcc, exec, s[4:5]
	s_cbranch_vccnz .LBB103_1006
; %bb.1005:
	s_cmp_gt_u32 s9, 0x7f800000
	s_movk_i32 s4, 0x7f
	s_cselect_b32 s4, s4, 0x7e
	v_mov_b32_e32 v3, s4
.LBB103_1006:
	s_lshr_b32 s4, s8, 24
	s_and_b32 s4, s4, 0x80
	v_or_b32_e32 v2, s4, v3
	global_store_byte v[0:1], v2, off
.LBB103_1007:
	s_mov_b64 s[4:5], 0
.LBB103_1008:
	s_andn2_b64 vcc, exec, s[4:5]
	s_cbranch_vccnz .LBB103_1020
; %bb.1009:
	v_cvt_f32_f16_e32 v2, s14
	v_readfirstlane_b32 s8, v2
	s_and_b32 s9, s8, 0x7fffffff
	s_cmp_lt_u32 s9, 0x47800000
	s_cbranch_scc0 .LBB103_1012
; %bb.1010:
	s_cmp_gt_u32 s9, 0x387fffff
	s_cbranch_scc0 .LBB103_1013
; %bb.1011:
	s_bfe_u32 s4, s8, 0x10015
	s_add_i32 s4, s8, s4
	s_add_i32 s4, s4, 0x80fffff
	s_lshr_b32 s10, s4, 21
	s_mov_b64 s[4:5], 0
	s_branch .LBB103_1014
.LBB103_1012:
	s_mov_b64 s[4:5], -1
                                        ; implicit-def: $vgpr3
	s_branch .LBB103_1017
.LBB103_1013:
	s_mov_b64 s[4:5], -1
                                        ; implicit-def: $sgpr10
.LBB103_1014:
	s_andn2_b64 vcc, exec, s[4:5]
	v_mov_b32_e32 v3, s10
	s_cbranch_vccnz .LBB103_1016
; %bb.1015:
	s_mov_b32 s4, 0x43000000
	v_add_f32_e64 v3, |v2|, s4
.LBB103_1016:
	s_mov_b64 s[4:5], 0
.LBB103_1017:
	s_andn2_b64 vcc, exec, s[4:5]
	s_cbranch_vccnz .LBB103_1019
; %bb.1018:
	s_cmp_gt_u32 s9, 0x7f800000
	s_movk_i32 s4, 0x7f
	s_cselect_b32 s4, s4, 0x7c
	v_mov_b32_e32 v3, s4
.LBB103_1019:
	s_lshr_b32 s4, s8, 24
	s_and_b32 s4, s4, 0x80
	v_or_b32_e32 v2, s4, v3
	global_store_byte v[0:1], v2, off
.LBB103_1020:
	s_mov_b64 s[4:5], 0
.LBB103_1021:
	s_andn2_b64 vcc, exec, s[4:5]
	s_mov_b64 s[4:5], 0
	s_cbranch_vccnz .LBB103_1028
; %bb.1022:
	s_cmp_gt_i32 s12, 14
	s_mov_b64 s[8:9], -1
	s_cbranch_scc0 .LBB103_1026
; %bb.1023:
	s_cmp_eq_u32 s12, 15
	s_mov_b64 s[2:3], -1
	s_cbranch_scc0 .LBB103_1025
; %bb.1024:
	v_cvt_f32_f16_e32 v2, s14
	v_cmp_o_f16_e64 vcc, s14, s14
	v_mov_b32_e32 v3, 0x7fc0
	s_mov_b64 s[2:3], 0
	v_bfe_u32 v4, v2, 16, 1
	v_add_u32_e32 v2, v2, v4
	v_add_u32_e32 v2, 0x7fff, v2
	v_cndmask_b32_sdwa v2, v3, v2, vcc dst_sel:DWORD dst_unused:UNUSED_PAD src0_sel:DWORD src1_sel:WORD_1
	global_store_short v[0:1], v2, off
.LBB103_1025:
	s_mov_b64 s[8:9], 0
.LBB103_1026:
	s_and_b64 vcc, exec, s[8:9]
	s_cbranch_vccz .LBB103_1028
; %bb.1027:
	s_cmp_lg_u32 s12, 11
	s_mov_b64 s[4:5], -1
	s_cselect_b64 s[2:3], -1, 0
.LBB103_1028:
	s_and_b64 vcc, exec, s[2:3]
	s_cbranch_vccnz .LBB103_1030
.LBB103_1029:
	s_mov_b64 s[2:3], 0
	s_branch .LBB103_944
.LBB103_1030:
	s_mov_b64 s[4:5], 0
	s_or_b64 s[0:1], s[0:1], exec
	s_trap 2
	s_branch .LBB103_1029
	.section	.rodata,"a",@progbits
	.p2align	6, 0x0
	.amdhsa_kernel _ZN2at6native32elementwise_kernel_manual_unrollILi128ELi4EZNS0_15gpu_kernel_implINS0_11FillFunctorIN3c104HalfEEEEEvRNS_18TensorIteratorBaseERKT_EUlibE0_EEviT1_
		.amdhsa_group_segment_fixed_size 0
		.amdhsa_private_segment_fixed_size 0
		.amdhsa_kernarg_size 288
		.amdhsa_user_sgpr_count 6
		.amdhsa_user_sgpr_private_segment_buffer 1
		.amdhsa_user_sgpr_dispatch_ptr 0
		.amdhsa_user_sgpr_queue_ptr 0
		.amdhsa_user_sgpr_kernarg_segment_ptr 1
		.amdhsa_user_sgpr_dispatch_id 0
		.amdhsa_user_sgpr_flat_scratch_init 0
		.amdhsa_user_sgpr_private_segment_size 0
		.amdhsa_uses_dynamic_stack 0
		.amdhsa_system_sgpr_private_segment_wavefront_offset 0
		.amdhsa_system_sgpr_workgroup_id_x 1
		.amdhsa_system_sgpr_workgroup_id_y 0
		.amdhsa_system_sgpr_workgroup_id_z 0
		.amdhsa_system_sgpr_workgroup_info 0
		.amdhsa_system_vgpr_workitem_id 0
		.amdhsa_next_free_vgpr 24
		.amdhsa_next_free_sgpr 96
		.amdhsa_reserve_vcc 1
		.amdhsa_reserve_flat_scratch 0
		.amdhsa_float_round_mode_32 0
		.amdhsa_float_round_mode_16_64 0
		.amdhsa_float_denorm_mode_32 3
		.amdhsa_float_denorm_mode_16_64 3
		.amdhsa_dx10_clamp 1
		.amdhsa_ieee_mode 1
		.amdhsa_fp16_overflow 0
		.amdhsa_exception_fp_ieee_invalid_op 0
		.amdhsa_exception_fp_denorm_src 0
		.amdhsa_exception_fp_ieee_div_zero 0
		.amdhsa_exception_fp_ieee_overflow 0
		.amdhsa_exception_fp_ieee_underflow 0
		.amdhsa_exception_fp_ieee_inexact 0
		.amdhsa_exception_int_div_zero 0
	.end_amdhsa_kernel
	.section	.text._ZN2at6native32elementwise_kernel_manual_unrollILi128ELi4EZNS0_15gpu_kernel_implINS0_11FillFunctorIN3c104HalfEEEEEvRNS_18TensorIteratorBaseERKT_EUlibE0_EEviT1_,"axG",@progbits,_ZN2at6native32elementwise_kernel_manual_unrollILi128ELi4EZNS0_15gpu_kernel_implINS0_11FillFunctorIN3c104HalfEEEEEvRNS_18TensorIteratorBaseERKT_EUlibE0_EEviT1_,comdat
.Lfunc_end103:
	.size	_ZN2at6native32elementwise_kernel_manual_unrollILi128ELi4EZNS0_15gpu_kernel_implINS0_11FillFunctorIN3c104HalfEEEEEvRNS_18TensorIteratorBaseERKT_EUlibE0_EEviT1_, .Lfunc_end103-_ZN2at6native32elementwise_kernel_manual_unrollILi128ELi4EZNS0_15gpu_kernel_implINS0_11FillFunctorIN3c104HalfEEEEEvRNS_18TensorIteratorBaseERKT_EUlibE0_EEviT1_
                                        ; -- End function
	.set _ZN2at6native32elementwise_kernel_manual_unrollILi128ELi4EZNS0_15gpu_kernel_implINS0_11FillFunctorIN3c104HalfEEEEEvRNS_18TensorIteratorBaseERKT_EUlibE0_EEviT1_.num_vgpr, 24
	.set _ZN2at6native32elementwise_kernel_manual_unrollILi128ELi4EZNS0_15gpu_kernel_implINS0_11FillFunctorIN3c104HalfEEEEEvRNS_18TensorIteratorBaseERKT_EUlibE0_EEviT1_.num_agpr, 0
	.set _ZN2at6native32elementwise_kernel_manual_unrollILi128ELi4EZNS0_15gpu_kernel_implINS0_11FillFunctorIN3c104HalfEEEEEvRNS_18TensorIteratorBaseERKT_EUlibE0_EEviT1_.numbered_sgpr, 96
	.set _ZN2at6native32elementwise_kernel_manual_unrollILi128ELi4EZNS0_15gpu_kernel_implINS0_11FillFunctorIN3c104HalfEEEEEvRNS_18TensorIteratorBaseERKT_EUlibE0_EEviT1_.num_named_barrier, 0
	.set _ZN2at6native32elementwise_kernel_manual_unrollILi128ELi4EZNS0_15gpu_kernel_implINS0_11FillFunctorIN3c104HalfEEEEEvRNS_18TensorIteratorBaseERKT_EUlibE0_EEviT1_.private_seg_size, 0
	.set _ZN2at6native32elementwise_kernel_manual_unrollILi128ELi4EZNS0_15gpu_kernel_implINS0_11FillFunctorIN3c104HalfEEEEEvRNS_18TensorIteratorBaseERKT_EUlibE0_EEviT1_.uses_vcc, 1
	.set _ZN2at6native32elementwise_kernel_manual_unrollILi128ELi4EZNS0_15gpu_kernel_implINS0_11FillFunctorIN3c104HalfEEEEEvRNS_18TensorIteratorBaseERKT_EUlibE0_EEviT1_.uses_flat_scratch, 0
	.set _ZN2at6native32elementwise_kernel_manual_unrollILi128ELi4EZNS0_15gpu_kernel_implINS0_11FillFunctorIN3c104HalfEEEEEvRNS_18TensorIteratorBaseERKT_EUlibE0_EEviT1_.has_dyn_sized_stack, 0
	.set _ZN2at6native32elementwise_kernel_manual_unrollILi128ELi4EZNS0_15gpu_kernel_implINS0_11FillFunctorIN3c104HalfEEEEEvRNS_18TensorIteratorBaseERKT_EUlibE0_EEviT1_.has_recursion, 0
	.set _ZN2at6native32elementwise_kernel_manual_unrollILi128ELi4EZNS0_15gpu_kernel_implINS0_11FillFunctorIN3c104HalfEEEEEvRNS_18TensorIteratorBaseERKT_EUlibE0_EEviT1_.has_indirect_call, 0
	.section	.AMDGPU.csdata,"",@progbits
; Kernel info:
; codeLenInByte = 17188
; TotalNumSgprs: 100
; NumVgprs: 24
; ScratchSize: 0
; MemoryBound: 0
; FloatMode: 240
; IeeeMode: 1
; LDSByteSize: 0 bytes/workgroup (compile time only)
; SGPRBlocks: 12
; VGPRBlocks: 5
; NumSGPRsForWavesPerEU: 100
; NumVGPRsForWavesPerEU: 24
; Occupancy: 8
; WaveLimiterHint : 1
; COMPUTE_PGM_RSRC2:SCRATCH_EN: 0
; COMPUTE_PGM_RSRC2:USER_SGPR: 6
; COMPUTE_PGM_RSRC2:TRAP_HANDLER: 0
; COMPUTE_PGM_RSRC2:TGID_X_EN: 1
; COMPUTE_PGM_RSRC2:TGID_Y_EN: 0
; COMPUTE_PGM_RSRC2:TGID_Z_EN: 0
; COMPUTE_PGM_RSRC2:TIDIG_COMP_CNT: 0
	.section	.text._ZN2at6native29vectorized_elementwise_kernelILi16ENS0_11FillFunctorIN3c108BFloat16EEESt5arrayIPcLm1EEEEviT0_T1_,"axG",@progbits,_ZN2at6native29vectorized_elementwise_kernelILi16ENS0_11FillFunctorIN3c108BFloat16EEESt5arrayIPcLm1EEEEviT0_T1_,comdat
	.protected	_ZN2at6native29vectorized_elementwise_kernelILi16ENS0_11FillFunctorIN3c108BFloat16EEESt5arrayIPcLm1EEEEviT0_T1_ ; -- Begin function _ZN2at6native29vectorized_elementwise_kernelILi16ENS0_11FillFunctorIN3c108BFloat16EEESt5arrayIPcLm1EEEEviT0_T1_
	.globl	_ZN2at6native29vectorized_elementwise_kernelILi16ENS0_11FillFunctorIN3c108BFloat16EEESt5arrayIPcLm1EEEEviT0_T1_
	.p2align	8
	.type	_ZN2at6native29vectorized_elementwise_kernelILi16ENS0_11FillFunctorIN3c108BFloat16EEESt5arrayIPcLm1EEEEviT0_T1_,@function
_ZN2at6native29vectorized_elementwise_kernelILi16ENS0_11FillFunctorIN3c108BFloat16EEESt5arrayIPcLm1EEEEviT0_T1_: ; @_ZN2at6native29vectorized_elementwise_kernelILi16ENS0_11FillFunctorIN3c108BFloat16EEESt5arrayIPcLm1EEEEviT0_T1_
; %bb.0:
	s_load_dwordx4 s[0:3], s[4:5], 0x0
	s_lshl_b32 s4, s6, 11
	s_mov_b64 s[6:7], -1
	s_waitcnt lgkmcnt(0)
	s_sub_i32 s0, s0, s4
	s_cmpk_gt_i32 s0, 0x7ff
	s_cbranch_scc0 .LBB104_2
; %bb.1:
	s_ashr_i32 s5, s4, 31
	s_lshl_b64 s[6:7], s[4:5], 1
	s_add_u32 s6, s2, s6
	s_pack_ll_b32_b16 s5, s1, s1
	s_addc_u32 s7, s3, s7
	v_lshlrev_b32_e32 v5, 4, v0
	v_mov_b32_e32 v1, s5
	v_mov_b32_e32 v2, s5
	;; [unrolled: 1-line block ×4, first 2 shown]
	global_store_dwordx4 v5, v[1:4], s[6:7]
	s_mov_b64 s[6:7], 0
.LBB104_2:
	s_andn2_b64 vcc, exec, s[6:7]
	s_cbranch_vccnz .LBB104_12
; %bb.3:
	v_cmp_gt_i32_e32 vcc, s0, v0
	s_and_saveexec_b64 s[6:7], vcc
	s_cbranch_execnz .LBB104_13
; %bb.4:
	s_or_b64 exec, exec, s[6:7]
	v_cmp_gt_i32_e32 vcc, s0, v0
	s_and_saveexec_b64 s[6:7], vcc
	s_cbranch_execnz .LBB104_14
.LBB104_5:
	s_or_b64 exec, exec, s[6:7]
	v_cmp_gt_i32_e32 vcc, s0, v0
	s_and_saveexec_b64 s[6:7], vcc
	s_cbranch_execnz .LBB104_15
.LBB104_6:
	s_or_b64 exec, exec, s[6:7]
	v_cmp_gt_i32_e32 vcc, s0, v0
	s_and_saveexec_b64 s[6:7], vcc
	s_cbranch_execnz .LBB104_16
.LBB104_7:
	s_or_b64 exec, exec, s[6:7]
	v_cmp_gt_i32_e32 vcc, s0, v0
	s_and_saveexec_b64 s[6:7], vcc
	s_cbranch_execnz .LBB104_17
.LBB104_8:
	s_or_b64 exec, exec, s[6:7]
	v_cmp_gt_i32_e32 vcc, s0, v0
	s_and_saveexec_b64 s[6:7], vcc
	s_cbranch_execnz .LBB104_18
.LBB104_9:
	s_or_b64 exec, exec, s[6:7]
	v_cmp_gt_i32_e32 vcc, s0, v0
	s_and_saveexec_b64 s[6:7], vcc
	s_cbranch_execnz .LBB104_19
.LBB104_10:
	s_or_b64 exec, exec, s[6:7]
	v_cmp_gt_i32_e32 vcc, s0, v0
	s_and_saveexec_b64 s[6:7], vcc
	s_cbranch_execz .LBB104_12
.LBB104_11:
	v_add_u32_e32 v0, s4, v0
	v_mov_b32_e32 v1, 0
	v_lshlrev_b64 v[0:1], 1, v[0:1]
	v_mov_b32_e32 v2, s3
	v_add_co_u32_e32 v0, vcc, s2, v0
	v_addc_co_u32_e32 v1, vcc, v2, v1, vcc
	v_mov_b32_e32 v2, s1
	global_store_short v[0:1], v2, off
.LBB104_12:
	s_endpgm
.LBB104_13:
	v_or_b32_e32 v2, 0x100, v0
	v_or_b32_e32 v0, s4, v0
	v_mov_b32_e32 v1, 0
	v_lshlrev_b64 v[0:1], 1, v[0:1]
	v_mov_b32_e32 v3, s3
	v_add_co_u32_e32 v0, vcc, s2, v0
	v_addc_co_u32_e32 v1, vcc, v3, v1, vcc
	v_mov_b32_e32 v3, s1
	global_store_short v[0:1], v3, off
	v_mov_b32_e32 v0, v2
	s_or_b64 exec, exec, s[6:7]
	v_cmp_gt_i32_e32 vcc, s0, v0
	s_and_saveexec_b64 s[6:7], vcc
	s_cbranch_execz .LBB104_5
.LBB104_14:
	v_add_u32_e32 v1, s4, v0
	v_mov_b32_e32 v2, 0
	v_lshlrev_b64 v[1:2], 1, v[1:2]
	v_mov_b32_e32 v3, s3
	v_add_co_u32_e32 v1, vcc, s2, v1
	v_addc_co_u32_e32 v2, vcc, v3, v2, vcc
	v_add_u32_e32 v0, 0x100, v0
	v_mov_b32_e32 v3, s1
	global_store_short v[1:2], v3, off
	s_or_b64 exec, exec, s[6:7]
	v_cmp_gt_i32_e32 vcc, s0, v0
	s_and_saveexec_b64 s[6:7], vcc
	s_cbranch_execz .LBB104_6
.LBB104_15:
	v_add_u32_e32 v1, s4, v0
	v_mov_b32_e32 v2, 0
	v_lshlrev_b64 v[1:2], 1, v[1:2]
	v_mov_b32_e32 v3, s3
	v_add_co_u32_e32 v1, vcc, s2, v1
	v_addc_co_u32_e32 v2, vcc, v3, v2, vcc
	v_add_u32_e32 v0, 0x100, v0
	v_mov_b32_e32 v3, s1
	global_store_short v[1:2], v3, off
	s_or_b64 exec, exec, s[6:7]
	v_cmp_gt_i32_e32 vcc, s0, v0
	s_and_saveexec_b64 s[6:7], vcc
	s_cbranch_execz .LBB104_7
.LBB104_16:
	v_add_u32_e32 v1, s4, v0
	v_mov_b32_e32 v2, 0
	v_lshlrev_b64 v[1:2], 1, v[1:2]
	v_mov_b32_e32 v3, s3
	v_add_co_u32_e32 v1, vcc, s2, v1
	v_addc_co_u32_e32 v2, vcc, v3, v2, vcc
	v_add_u32_e32 v0, 0x100, v0
	v_mov_b32_e32 v3, s1
	global_store_short v[1:2], v3, off
	s_or_b64 exec, exec, s[6:7]
	v_cmp_gt_i32_e32 vcc, s0, v0
	s_and_saveexec_b64 s[6:7], vcc
	s_cbranch_execz .LBB104_8
.LBB104_17:
	v_add_u32_e32 v1, s4, v0
	v_mov_b32_e32 v2, 0
	v_lshlrev_b64 v[1:2], 1, v[1:2]
	v_mov_b32_e32 v3, s3
	v_add_co_u32_e32 v1, vcc, s2, v1
	v_addc_co_u32_e32 v2, vcc, v3, v2, vcc
	v_add_u32_e32 v0, 0x100, v0
	v_mov_b32_e32 v3, s1
	global_store_short v[1:2], v3, off
	s_or_b64 exec, exec, s[6:7]
	v_cmp_gt_i32_e32 vcc, s0, v0
	s_and_saveexec_b64 s[6:7], vcc
	s_cbranch_execz .LBB104_9
.LBB104_18:
	v_add_u32_e32 v1, s4, v0
	v_mov_b32_e32 v2, 0
	v_lshlrev_b64 v[1:2], 1, v[1:2]
	v_mov_b32_e32 v3, s3
	v_add_co_u32_e32 v1, vcc, s2, v1
	v_addc_co_u32_e32 v2, vcc, v3, v2, vcc
	v_add_u32_e32 v0, 0x100, v0
	v_mov_b32_e32 v3, s1
	global_store_short v[1:2], v3, off
	s_or_b64 exec, exec, s[6:7]
	v_cmp_gt_i32_e32 vcc, s0, v0
	s_and_saveexec_b64 s[6:7], vcc
	s_cbranch_execz .LBB104_10
.LBB104_19:
	v_add_u32_e32 v1, s4, v0
	v_mov_b32_e32 v2, 0
	v_lshlrev_b64 v[1:2], 1, v[1:2]
	v_mov_b32_e32 v3, s3
	v_add_co_u32_e32 v1, vcc, s2, v1
	v_addc_co_u32_e32 v2, vcc, v3, v2, vcc
	v_add_u32_e32 v0, 0x100, v0
	v_mov_b32_e32 v3, s1
	global_store_short v[1:2], v3, off
	s_or_b64 exec, exec, s[6:7]
	v_cmp_gt_i32_e32 vcc, s0, v0
	s_and_saveexec_b64 s[6:7], vcc
	s_cbranch_execnz .LBB104_11
	s_branch .LBB104_12
	.section	.rodata,"a",@progbits
	.p2align	6, 0x0
	.amdhsa_kernel _ZN2at6native29vectorized_elementwise_kernelILi16ENS0_11FillFunctorIN3c108BFloat16EEESt5arrayIPcLm1EEEEviT0_T1_
		.amdhsa_group_segment_fixed_size 0
		.amdhsa_private_segment_fixed_size 0
		.amdhsa_kernarg_size 16
		.amdhsa_user_sgpr_count 6
		.amdhsa_user_sgpr_private_segment_buffer 1
		.amdhsa_user_sgpr_dispatch_ptr 0
		.amdhsa_user_sgpr_queue_ptr 0
		.amdhsa_user_sgpr_kernarg_segment_ptr 1
		.amdhsa_user_sgpr_dispatch_id 0
		.amdhsa_user_sgpr_flat_scratch_init 0
		.amdhsa_user_sgpr_private_segment_size 0
		.amdhsa_uses_dynamic_stack 0
		.amdhsa_system_sgpr_private_segment_wavefront_offset 0
		.amdhsa_system_sgpr_workgroup_id_x 1
		.amdhsa_system_sgpr_workgroup_id_y 0
		.amdhsa_system_sgpr_workgroup_id_z 0
		.amdhsa_system_sgpr_workgroup_info 0
		.amdhsa_system_vgpr_workitem_id 0
		.amdhsa_next_free_vgpr 6
		.amdhsa_next_free_sgpr 8
		.amdhsa_reserve_vcc 1
		.amdhsa_reserve_flat_scratch 0
		.amdhsa_float_round_mode_32 0
		.amdhsa_float_round_mode_16_64 0
		.amdhsa_float_denorm_mode_32 3
		.amdhsa_float_denorm_mode_16_64 3
		.amdhsa_dx10_clamp 1
		.amdhsa_ieee_mode 1
		.amdhsa_fp16_overflow 0
		.amdhsa_exception_fp_ieee_invalid_op 0
		.amdhsa_exception_fp_denorm_src 0
		.amdhsa_exception_fp_ieee_div_zero 0
		.amdhsa_exception_fp_ieee_overflow 0
		.amdhsa_exception_fp_ieee_underflow 0
		.amdhsa_exception_fp_ieee_inexact 0
		.amdhsa_exception_int_div_zero 0
	.end_amdhsa_kernel
	.section	.text._ZN2at6native29vectorized_elementwise_kernelILi16ENS0_11FillFunctorIN3c108BFloat16EEESt5arrayIPcLm1EEEEviT0_T1_,"axG",@progbits,_ZN2at6native29vectorized_elementwise_kernelILi16ENS0_11FillFunctorIN3c108BFloat16EEESt5arrayIPcLm1EEEEviT0_T1_,comdat
.Lfunc_end104:
	.size	_ZN2at6native29vectorized_elementwise_kernelILi16ENS0_11FillFunctorIN3c108BFloat16EEESt5arrayIPcLm1EEEEviT0_T1_, .Lfunc_end104-_ZN2at6native29vectorized_elementwise_kernelILi16ENS0_11FillFunctorIN3c108BFloat16EEESt5arrayIPcLm1EEEEviT0_T1_
                                        ; -- End function
	.set _ZN2at6native29vectorized_elementwise_kernelILi16ENS0_11FillFunctorIN3c108BFloat16EEESt5arrayIPcLm1EEEEviT0_T1_.num_vgpr, 6
	.set _ZN2at6native29vectorized_elementwise_kernelILi16ENS0_11FillFunctorIN3c108BFloat16EEESt5arrayIPcLm1EEEEviT0_T1_.num_agpr, 0
	.set _ZN2at6native29vectorized_elementwise_kernelILi16ENS0_11FillFunctorIN3c108BFloat16EEESt5arrayIPcLm1EEEEviT0_T1_.numbered_sgpr, 8
	.set _ZN2at6native29vectorized_elementwise_kernelILi16ENS0_11FillFunctorIN3c108BFloat16EEESt5arrayIPcLm1EEEEviT0_T1_.num_named_barrier, 0
	.set _ZN2at6native29vectorized_elementwise_kernelILi16ENS0_11FillFunctorIN3c108BFloat16EEESt5arrayIPcLm1EEEEviT0_T1_.private_seg_size, 0
	.set _ZN2at6native29vectorized_elementwise_kernelILi16ENS0_11FillFunctorIN3c108BFloat16EEESt5arrayIPcLm1EEEEviT0_T1_.uses_vcc, 1
	.set _ZN2at6native29vectorized_elementwise_kernelILi16ENS0_11FillFunctorIN3c108BFloat16EEESt5arrayIPcLm1EEEEviT0_T1_.uses_flat_scratch, 0
	.set _ZN2at6native29vectorized_elementwise_kernelILi16ENS0_11FillFunctorIN3c108BFloat16EEESt5arrayIPcLm1EEEEviT0_T1_.has_dyn_sized_stack, 0
	.set _ZN2at6native29vectorized_elementwise_kernelILi16ENS0_11FillFunctorIN3c108BFloat16EEESt5arrayIPcLm1EEEEviT0_T1_.has_recursion, 0
	.set _ZN2at6native29vectorized_elementwise_kernelILi16ENS0_11FillFunctorIN3c108BFloat16EEESt5arrayIPcLm1EEEEviT0_T1_.has_indirect_call, 0
	.section	.AMDGPU.csdata,"",@progbits
; Kernel info:
; codeLenInByte = 716
; TotalNumSgprs: 12
; NumVgprs: 6
; ScratchSize: 0
; MemoryBound: 0
; FloatMode: 240
; IeeeMode: 1
; LDSByteSize: 0 bytes/workgroup (compile time only)
; SGPRBlocks: 1
; VGPRBlocks: 1
; NumSGPRsForWavesPerEU: 12
; NumVGPRsForWavesPerEU: 6
; Occupancy: 10
; WaveLimiterHint : 0
; COMPUTE_PGM_RSRC2:SCRATCH_EN: 0
; COMPUTE_PGM_RSRC2:USER_SGPR: 6
; COMPUTE_PGM_RSRC2:TRAP_HANDLER: 0
; COMPUTE_PGM_RSRC2:TGID_X_EN: 1
; COMPUTE_PGM_RSRC2:TGID_Y_EN: 0
; COMPUTE_PGM_RSRC2:TGID_Z_EN: 0
; COMPUTE_PGM_RSRC2:TIDIG_COMP_CNT: 0
	.section	.text._ZN2at6native29vectorized_elementwise_kernelILi8ENS0_11FillFunctorIN3c108BFloat16EEESt5arrayIPcLm1EEEEviT0_T1_,"axG",@progbits,_ZN2at6native29vectorized_elementwise_kernelILi8ENS0_11FillFunctorIN3c108BFloat16EEESt5arrayIPcLm1EEEEviT0_T1_,comdat
	.protected	_ZN2at6native29vectorized_elementwise_kernelILi8ENS0_11FillFunctorIN3c108BFloat16EEESt5arrayIPcLm1EEEEviT0_T1_ ; -- Begin function _ZN2at6native29vectorized_elementwise_kernelILi8ENS0_11FillFunctorIN3c108BFloat16EEESt5arrayIPcLm1EEEEviT0_T1_
	.globl	_ZN2at6native29vectorized_elementwise_kernelILi8ENS0_11FillFunctorIN3c108BFloat16EEESt5arrayIPcLm1EEEEviT0_T1_
	.p2align	8
	.type	_ZN2at6native29vectorized_elementwise_kernelILi8ENS0_11FillFunctorIN3c108BFloat16EEESt5arrayIPcLm1EEEEviT0_T1_,@function
_ZN2at6native29vectorized_elementwise_kernelILi8ENS0_11FillFunctorIN3c108BFloat16EEESt5arrayIPcLm1EEEEviT0_T1_: ; @_ZN2at6native29vectorized_elementwise_kernelILi8ENS0_11FillFunctorIN3c108BFloat16EEESt5arrayIPcLm1EEEEviT0_T1_
; %bb.0:
	s_load_dwordx4 s[0:3], s[4:5], 0x0
	s_lshl_b32 s4, s6, 11
	s_mov_b64 s[6:7], -1
	s_waitcnt lgkmcnt(0)
	s_sub_i32 s0, s0, s4
	s_cmpk_gt_i32 s0, 0x7ff
	s_cbranch_scc0 .LBB105_2
; %bb.1:
	s_ashr_i32 s5, s4, 31
	s_lshl_b64 s[6:7], s[4:5], 1
	s_add_u32 s6, s2, s6
	s_pack_ll_b32_b16 s5, s1, s1
	s_addc_u32 s7, s3, s7
	v_lshlrev_b32_e32 v5, 4, v0
	v_mov_b32_e32 v1, s5
	v_mov_b32_e32 v2, s5
	;; [unrolled: 1-line block ×4, first 2 shown]
	global_store_dwordx4 v5, v[1:4], s[6:7]
	s_mov_b64 s[6:7], 0
.LBB105_2:
	s_andn2_b64 vcc, exec, s[6:7]
	s_cbranch_vccnz .LBB105_12
; %bb.3:
	v_cmp_gt_i32_e32 vcc, s0, v0
	s_and_saveexec_b64 s[6:7], vcc
	s_cbranch_execnz .LBB105_13
; %bb.4:
	s_or_b64 exec, exec, s[6:7]
	v_cmp_gt_i32_e32 vcc, s0, v0
	s_and_saveexec_b64 s[6:7], vcc
	s_cbranch_execnz .LBB105_14
.LBB105_5:
	s_or_b64 exec, exec, s[6:7]
	v_cmp_gt_i32_e32 vcc, s0, v0
	s_and_saveexec_b64 s[6:7], vcc
	s_cbranch_execnz .LBB105_15
.LBB105_6:
	s_or_b64 exec, exec, s[6:7]
	v_cmp_gt_i32_e32 vcc, s0, v0
	s_and_saveexec_b64 s[6:7], vcc
	s_cbranch_execnz .LBB105_16
.LBB105_7:
	s_or_b64 exec, exec, s[6:7]
	v_cmp_gt_i32_e32 vcc, s0, v0
	s_and_saveexec_b64 s[6:7], vcc
	s_cbranch_execnz .LBB105_17
.LBB105_8:
	s_or_b64 exec, exec, s[6:7]
	v_cmp_gt_i32_e32 vcc, s0, v0
	s_and_saveexec_b64 s[6:7], vcc
	s_cbranch_execnz .LBB105_18
.LBB105_9:
	s_or_b64 exec, exec, s[6:7]
	v_cmp_gt_i32_e32 vcc, s0, v0
	s_and_saveexec_b64 s[6:7], vcc
	s_cbranch_execnz .LBB105_19
.LBB105_10:
	s_or_b64 exec, exec, s[6:7]
	v_cmp_gt_i32_e32 vcc, s0, v0
	s_and_saveexec_b64 s[6:7], vcc
	s_cbranch_execz .LBB105_12
.LBB105_11:
	v_add_u32_e32 v0, s4, v0
	v_mov_b32_e32 v1, 0
	v_lshlrev_b64 v[0:1], 1, v[0:1]
	v_mov_b32_e32 v2, s3
	v_add_co_u32_e32 v0, vcc, s2, v0
	v_addc_co_u32_e32 v1, vcc, v2, v1, vcc
	v_mov_b32_e32 v2, s1
	global_store_short v[0:1], v2, off
.LBB105_12:
	s_endpgm
.LBB105_13:
	v_or_b32_e32 v2, 0x100, v0
	v_or_b32_e32 v0, s4, v0
	v_mov_b32_e32 v1, 0
	v_lshlrev_b64 v[0:1], 1, v[0:1]
	v_mov_b32_e32 v3, s3
	v_add_co_u32_e32 v0, vcc, s2, v0
	v_addc_co_u32_e32 v1, vcc, v3, v1, vcc
	v_mov_b32_e32 v3, s1
	global_store_short v[0:1], v3, off
	v_mov_b32_e32 v0, v2
	s_or_b64 exec, exec, s[6:7]
	v_cmp_gt_i32_e32 vcc, s0, v0
	s_and_saveexec_b64 s[6:7], vcc
	s_cbranch_execz .LBB105_5
.LBB105_14:
	v_add_u32_e32 v1, s4, v0
	v_mov_b32_e32 v2, 0
	v_lshlrev_b64 v[1:2], 1, v[1:2]
	v_mov_b32_e32 v3, s3
	v_add_co_u32_e32 v1, vcc, s2, v1
	v_addc_co_u32_e32 v2, vcc, v3, v2, vcc
	v_add_u32_e32 v0, 0x100, v0
	v_mov_b32_e32 v3, s1
	global_store_short v[1:2], v3, off
	s_or_b64 exec, exec, s[6:7]
	v_cmp_gt_i32_e32 vcc, s0, v0
	s_and_saveexec_b64 s[6:7], vcc
	s_cbranch_execz .LBB105_6
.LBB105_15:
	v_add_u32_e32 v1, s4, v0
	v_mov_b32_e32 v2, 0
	v_lshlrev_b64 v[1:2], 1, v[1:2]
	v_mov_b32_e32 v3, s3
	v_add_co_u32_e32 v1, vcc, s2, v1
	v_addc_co_u32_e32 v2, vcc, v3, v2, vcc
	v_add_u32_e32 v0, 0x100, v0
	v_mov_b32_e32 v3, s1
	global_store_short v[1:2], v3, off
	s_or_b64 exec, exec, s[6:7]
	v_cmp_gt_i32_e32 vcc, s0, v0
	s_and_saveexec_b64 s[6:7], vcc
	s_cbranch_execz .LBB105_7
.LBB105_16:
	v_add_u32_e32 v1, s4, v0
	v_mov_b32_e32 v2, 0
	v_lshlrev_b64 v[1:2], 1, v[1:2]
	v_mov_b32_e32 v3, s3
	v_add_co_u32_e32 v1, vcc, s2, v1
	v_addc_co_u32_e32 v2, vcc, v3, v2, vcc
	v_add_u32_e32 v0, 0x100, v0
	v_mov_b32_e32 v3, s1
	global_store_short v[1:2], v3, off
	s_or_b64 exec, exec, s[6:7]
	v_cmp_gt_i32_e32 vcc, s0, v0
	s_and_saveexec_b64 s[6:7], vcc
	s_cbranch_execz .LBB105_8
.LBB105_17:
	v_add_u32_e32 v1, s4, v0
	v_mov_b32_e32 v2, 0
	v_lshlrev_b64 v[1:2], 1, v[1:2]
	v_mov_b32_e32 v3, s3
	v_add_co_u32_e32 v1, vcc, s2, v1
	v_addc_co_u32_e32 v2, vcc, v3, v2, vcc
	v_add_u32_e32 v0, 0x100, v0
	v_mov_b32_e32 v3, s1
	global_store_short v[1:2], v3, off
	s_or_b64 exec, exec, s[6:7]
	v_cmp_gt_i32_e32 vcc, s0, v0
	s_and_saveexec_b64 s[6:7], vcc
	s_cbranch_execz .LBB105_9
.LBB105_18:
	v_add_u32_e32 v1, s4, v0
	v_mov_b32_e32 v2, 0
	v_lshlrev_b64 v[1:2], 1, v[1:2]
	v_mov_b32_e32 v3, s3
	v_add_co_u32_e32 v1, vcc, s2, v1
	v_addc_co_u32_e32 v2, vcc, v3, v2, vcc
	v_add_u32_e32 v0, 0x100, v0
	v_mov_b32_e32 v3, s1
	global_store_short v[1:2], v3, off
	s_or_b64 exec, exec, s[6:7]
	v_cmp_gt_i32_e32 vcc, s0, v0
	s_and_saveexec_b64 s[6:7], vcc
	s_cbranch_execz .LBB105_10
.LBB105_19:
	v_add_u32_e32 v1, s4, v0
	v_mov_b32_e32 v2, 0
	v_lshlrev_b64 v[1:2], 1, v[1:2]
	v_mov_b32_e32 v3, s3
	v_add_co_u32_e32 v1, vcc, s2, v1
	v_addc_co_u32_e32 v2, vcc, v3, v2, vcc
	v_add_u32_e32 v0, 0x100, v0
	v_mov_b32_e32 v3, s1
	global_store_short v[1:2], v3, off
	s_or_b64 exec, exec, s[6:7]
	v_cmp_gt_i32_e32 vcc, s0, v0
	s_and_saveexec_b64 s[6:7], vcc
	s_cbranch_execnz .LBB105_11
	s_branch .LBB105_12
	.section	.rodata,"a",@progbits
	.p2align	6, 0x0
	.amdhsa_kernel _ZN2at6native29vectorized_elementwise_kernelILi8ENS0_11FillFunctorIN3c108BFloat16EEESt5arrayIPcLm1EEEEviT0_T1_
		.amdhsa_group_segment_fixed_size 0
		.amdhsa_private_segment_fixed_size 0
		.amdhsa_kernarg_size 16
		.amdhsa_user_sgpr_count 6
		.amdhsa_user_sgpr_private_segment_buffer 1
		.amdhsa_user_sgpr_dispatch_ptr 0
		.amdhsa_user_sgpr_queue_ptr 0
		.amdhsa_user_sgpr_kernarg_segment_ptr 1
		.amdhsa_user_sgpr_dispatch_id 0
		.amdhsa_user_sgpr_flat_scratch_init 0
		.amdhsa_user_sgpr_private_segment_size 0
		.amdhsa_uses_dynamic_stack 0
		.amdhsa_system_sgpr_private_segment_wavefront_offset 0
		.amdhsa_system_sgpr_workgroup_id_x 1
		.amdhsa_system_sgpr_workgroup_id_y 0
		.amdhsa_system_sgpr_workgroup_id_z 0
		.amdhsa_system_sgpr_workgroup_info 0
		.amdhsa_system_vgpr_workitem_id 0
		.amdhsa_next_free_vgpr 6
		.amdhsa_next_free_sgpr 8
		.amdhsa_reserve_vcc 1
		.amdhsa_reserve_flat_scratch 0
		.amdhsa_float_round_mode_32 0
		.amdhsa_float_round_mode_16_64 0
		.amdhsa_float_denorm_mode_32 3
		.amdhsa_float_denorm_mode_16_64 3
		.amdhsa_dx10_clamp 1
		.amdhsa_ieee_mode 1
		.amdhsa_fp16_overflow 0
		.amdhsa_exception_fp_ieee_invalid_op 0
		.amdhsa_exception_fp_denorm_src 0
		.amdhsa_exception_fp_ieee_div_zero 0
		.amdhsa_exception_fp_ieee_overflow 0
		.amdhsa_exception_fp_ieee_underflow 0
		.amdhsa_exception_fp_ieee_inexact 0
		.amdhsa_exception_int_div_zero 0
	.end_amdhsa_kernel
	.section	.text._ZN2at6native29vectorized_elementwise_kernelILi8ENS0_11FillFunctorIN3c108BFloat16EEESt5arrayIPcLm1EEEEviT0_T1_,"axG",@progbits,_ZN2at6native29vectorized_elementwise_kernelILi8ENS0_11FillFunctorIN3c108BFloat16EEESt5arrayIPcLm1EEEEviT0_T1_,comdat
.Lfunc_end105:
	.size	_ZN2at6native29vectorized_elementwise_kernelILi8ENS0_11FillFunctorIN3c108BFloat16EEESt5arrayIPcLm1EEEEviT0_T1_, .Lfunc_end105-_ZN2at6native29vectorized_elementwise_kernelILi8ENS0_11FillFunctorIN3c108BFloat16EEESt5arrayIPcLm1EEEEviT0_T1_
                                        ; -- End function
	.set _ZN2at6native29vectorized_elementwise_kernelILi8ENS0_11FillFunctorIN3c108BFloat16EEESt5arrayIPcLm1EEEEviT0_T1_.num_vgpr, 6
	.set _ZN2at6native29vectorized_elementwise_kernelILi8ENS0_11FillFunctorIN3c108BFloat16EEESt5arrayIPcLm1EEEEviT0_T1_.num_agpr, 0
	.set _ZN2at6native29vectorized_elementwise_kernelILi8ENS0_11FillFunctorIN3c108BFloat16EEESt5arrayIPcLm1EEEEviT0_T1_.numbered_sgpr, 8
	.set _ZN2at6native29vectorized_elementwise_kernelILi8ENS0_11FillFunctorIN3c108BFloat16EEESt5arrayIPcLm1EEEEviT0_T1_.num_named_barrier, 0
	.set _ZN2at6native29vectorized_elementwise_kernelILi8ENS0_11FillFunctorIN3c108BFloat16EEESt5arrayIPcLm1EEEEviT0_T1_.private_seg_size, 0
	.set _ZN2at6native29vectorized_elementwise_kernelILi8ENS0_11FillFunctorIN3c108BFloat16EEESt5arrayIPcLm1EEEEviT0_T1_.uses_vcc, 1
	.set _ZN2at6native29vectorized_elementwise_kernelILi8ENS0_11FillFunctorIN3c108BFloat16EEESt5arrayIPcLm1EEEEviT0_T1_.uses_flat_scratch, 0
	.set _ZN2at6native29vectorized_elementwise_kernelILi8ENS0_11FillFunctorIN3c108BFloat16EEESt5arrayIPcLm1EEEEviT0_T1_.has_dyn_sized_stack, 0
	.set _ZN2at6native29vectorized_elementwise_kernelILi8ENS0_11FillFunctorIN3c108BFloat16EEESt5arrayIPcLm1EEEEviT0_T1_.has_recursion, 0
	.set _ZN2at6native29vectorized_elementwise_kernelILi8ENS0_11FillFunctorIN3c108BFloat16EEESt5arrayIPcLm1EEEEviT0_T1_.has_indirect_call, 0
	.section	.AMDGPU.csdata,"",@progbits
; Kernel info:
; codeLenInByte = 716
; TotalNumSgprs: 12
; NumVgprs: 6
; ScratchSize: 0
; MemoryBound: 0
; FloatMode: 240
; IeeeMode: 1
; LDSByteSize: 0 bytes/workgroup (compile time only)
; SGPRBlocks: 1
; VGPRBlocks: 1
; NumSGPRsForWavesPerEU: 12
; NumVGPRsForWavesPerEU: 6
; Occupancy: 10
; WaveLimiterHint : 0
; COMPUTE_PGM_RSRC2:SCRATCH_EN: 0
; COMPUTE_PGM_RSRC2:USER_SGPR: 6
; COMPUTE_PGM_RSRC2:TRAP_HANDLER: 0
; COMPUTE_PGM_RSRC2:TGID_X_EN: 1
; COMPUTE_PGM_RSRC2:TGID_Y_EN: 0
; COMPUTE_PGM_RSRC2:TGID_Z_EN: 0
; COMPUTE_PGM_RSRC2:TIDIG_COMP_CNT: 0
	.section	.text._ZN2at6native29vectorized_elementwise_kernelILi4ENS0_11FillFunctorIN3c108BFloat16EEESt5arrayIPcLm1EEEEviT0_T1_,"axG",@progbits,_ZN2at6native29vectorized_elementwise_kernelILi4ENS0_11FillFunctorIN3c108BFloat16EEESt5arrayIPcLm1EEEEviT0_T1_,comdat
	.protected	_ZN2at6native29vectorized_elementwise_kernelILi4ENS0_11FillFunctorIN3c108BFloat16EEESt5arrayIPcLm1EEEEviT0_T1_ ; -- Begin function _ZN2at6native29vectorized_elementwise_kernelILi4ENS0_11FillFunctorIN3c108BFloat16EEESt5arrayIPcLm1EEEEviT0_T1_
	.globl	_ZN2at6native29vectorized_elementwise_kernelILi4ENS0_11FillFunctorIN3c108BFloat16EEESt5arrayIPcLm1EEEEviT0_T1_
	.p2align	8
	.type	_ZN2at6native29vectorized_elementwise_kernelILi4ENS0_11FillFunctorIN3c108BFloat16EEESt5arrayIPcLm1EEEEviT0_T1_,@function
_ZN2at6native29vectorized_elementwise_kernelILi4ENS0_11FillFunctorIN3c108BFloat16EEESt5arrayIPcLm1EEEEviT0_T1_: ; @_ZN2at6native29vectorized_elementwise_kernelILi4ENS0_11FillFunctorIN3c108BFloat16EEESt5arrayIPcLm1EEEEviT0_T1_
; %bb.0:
	s_load_dwordx4 s[0:3], s[4:5], 0x0
	s_lshl_b32 s4, s6, 11
	s_mov_b64 s[6:7], -1
	s_waitcnt lgkmcnt(0)
	s_sub_i32 s0, s0, s4
	s_cmpk_gt_i32 s0, 0x7ff
	s_cbranch_scc0 .LBB106_2
; %bb.1:
	s_and_b32 s5, 0xffff, s1
	s_mul_i32 s6, s5, 0x10001
	s_ashr_i32 s5, s4, 31
	s_lshl_b64 s[8:9], s[4:5], 1
	s_mov_b32 s7, s6
	s_add_u32 s8, s2, s8
	v_mov_b32_e32 v1, s6
	s_addc_u32 s9, s3, s9
	v_lshlrev_b32_e32 v3, 3, v0
	v_mov_b32_e32 v2, s7
	global_store_dwordx2 v3, v[1:2], s[8:9]
	global_store_dwordx2 v3, v[1:2], s[8:9] offset:2048
	s_mov_b64 s[6:7], 0
.LBB106_2:
	s_andn2_b64 vcc, exec, s[6:7]
	s_cbranch_vccnz .LBB106_12
; %bb.3:
	v_cmp_gt_i32_e32 vcc, s0, v0
	s_and_saveexec_b64 s[6:7], vcc
	s_cbranch_execnz .LBB106_13
; %bb.4:
	s_or_b64 exec, exec, s[6:7]
	v_cmp_gt_i32_e32 vcc, s0, v0
	s_and_saveexec_b64 s[6:7], vcc
	s_cbranch_execnz .LBB106_14
.LBB106_5:
	s_or_b64 exec, exec, s[6:7]
	v_cmp_gt_i32_e32 vcc, s0, v0
	s_and_saveexec_b64 s[6:7], vcc
	s_cbranch_execnz .LBB106_15
.LBB106_6:
	s_or_b64 exec, exec, s[6:7]
	v_cmp_gt_i32_e32 vcc, s0, v0
	s_and_saveexec_b64 s[6:7], vcc
	s_cbranch_execnz .LBB106_16
.LBB106_7:
	s_or_b64 exec, exec, s[6:7]
	v_cmp_gt_i32_e32 vcc, s0, v0
	s_and_saveexec_b64 s[6:7], vcc
	s_cbranch_execnz .LBB106_17
.LBB106_8:
	s_or_b64 exec, exec, s[6:7]
	v_cmp_gt_i32_e32 vcc, s0, v0
	s_and_saveexec_b64 s[6:7], vcc
	s_cbranch_execnz .LBB106_18
.LBB106_9:
	s_or_b64 exec, exec, s[6:7]
	v_cmp_gt_i32_e32 vcc, s0, v0
	s_and_saveexec_b64 s[6:7], vcc
	s_cbranch_execnz .LBB106_19
.LBB106_10:
	s_or_b64 exec, exec, s[6:7]
	v_cmp_gt_i32_e32 vcc, s0, v0
	s_and_saveexec_b64 s[6:7], vcc
	s_cbranch_execz .LBB106_12
.LBB106_11:
	v_add_u32_e32 v0, s4, v0
	v_mov_b32_e32 v1, 0
	v_lshlrev_b64 v[0:1], 1, v[0:1]
	v_mov_b32_e32 v2, s3
	v_add_co_u32_e32 v0, vcc, s2, v0
	v_addc_co_u32_e32 v1, vcc, v2, v1, vcc
	v_mov_b32_e32 v2, s1
	global_store_short v[0:1], v2, off
.LBB106_12:
	s_endpgm
.LBB106_13:
	v_or_b32_e32 v2, 0x100, v0
	v_or_b32_e32 v0, s4, v0
	v_mov_b32_e32 v1, 0
	v_lshlrev_b64 v[0:1], 1, v[0:1]
	v_mov_b32_e32 v3, s3
	v_add_co_u32_e32 v0, vcc, s2, v0
	v_addc_co_u32_e32 v1, vcc, v3, v1, vcc
	v_mov_b32_e32 v3, s1
	global_store_short v[0:1], v3, off
	v_mov_b32_e32 v0, v2
	s_or_b64 exec, exec, s[6:7]
	v_cmp_gt_i32_e32 vcc, s0, v0
	s_and_saveexec_b64 s[6:7], vcc
	s_cbranch_execz .LBB106_5
.LBB106_14:
	v_add_u32_e32 v1, s4, v0
	v_mov_b32_e32 v2, 0
	v_lshlrev_b64 v[1:2], 1, v[1:2]
	v_mov_b32_e32 v3, s3
	v_add_co_u32_e32 v1, vcc, s2, v1
	v_addc_co_u32_e32 v2, vcc, v3, v2, vcc
	v_add_u32_e32 v0, 0x100, v0
	v_mov_b32_e32 v3, s1
	global_store_short v[1:2], v3, off
	s_or_b64 exec, exec, s[6:7]
	v_cmp_gt_i32_e32 vcc, s0, v0
	s_and_saveexec_b64 s[6:7], vcc
	s_cbranch_execz .LBB106_6
.LBB106_15:
	v_add_u32_e32 v1, s4, v0
	v_mov_b32_e32 v2, 0
	v_lshlrev_b64 v[1:2], 1, v[1:2]
	v_mov_b32_e32 v3, s3
	v_add_co_u32_e32 v1, vcc, s2, v1
	v_addc_co_u32_e32 v2, vcc, v3, v2, vcc
	v_add_u32_e32 v0, 0x100, v0
	v_mov_b32_e32 v3, s1
	global_store_short v[1:2], v3, off
	s_or_b64 exec, exec, s[6:7]
	v_cmp_gt_i32_e32 vcc, s0, v0
	s_and_saveexec_b64 s[6:7], vcc
	s_cbranch_execz .LBB106_7
.LBB106_16:
	v_add_u32_e32 v1, s4, v0
	v_mov_b32_e32 v2, 0
	v_lshlrev_b64 v[1:2], 1, v[1:2]
	v_mov_b32_e32 v3, s3
	v_add_co_u32_e32 v1, vcc, s2, v1
	v_addc_co_u32_e32 v2, vcc, v3, v2, vcc
	v_add_u32_e32 v0, 0x100, v0
	v_mov_b32_e32 v3, s1
	global_store_short v[1:2], v3, off
	s_or_b64 exec, exec, s[6:7]
	v_cmp_gt_i32_e32 vcc, s0, v0
	s_and_saveexec_b64 s[6:7], vcc
	s_cbranch_execz .LBB106_8
.LBB106_17:
	v_add_u32_e32 v1, s4, v0
	v_mov_b32_e32 v2, 0
	v_lshlrev_b64 v[1:2], 1, v[1:2]
	v_mov_b32_e32 v3, s3
	v_add_co_u32_e32 v1, vcc, s2, v1
	v_addc_co_u32_e32 v2, vcc, v3, v2, vcc
	v_add_u32_e32 v0, 0x100, v0
	v_mov_b32_e32 v3, s1
	global_store_short v[1:2], v3, off
	s_or_b64 exec, exec, s[6:7]
	v_cmp_gt_i32_e32 vcc, s0, v0
	s_and_saveexec_b64 s[6:7], vcc
	s_cbranch_execz .LBB106_9
.LBB106_18:
	v_add_u32_e32 v1, s4, v0
	v_mov_b32_e32 v2, 0
	v_lshlrev_b64 v[1:2], 1, v[1:2]
	v_mov_b32_e32 v3, s3
	v_add_co_u32_e32 v1, vcc, s2, v1
	v_addc_co_u32_e32 v2, vcc, v3, v2, vcc
	v_add_u32_e32 v0, 0x100, v0
	v_mov_b32_e32 v3, s1
	global_store_short v[1:2], v3, off
	s_or_b64 exec, exec, s[6:7]
	v_cmp_gt_i32_e32 vcc, s0, v0
	s_and_saveexec_b64 s[6:7], vcc
	s_cbranch_execz .LBB106_10
.LBB106_19:
	v_add_u32_e32 v1, s4, v0
	v_mov_b32_e32 v2, 0
	v_lshlrev_b64 v[1:2], 1, v[1:2]
	v_mov_b32_e32 v3, s3
	v_add_co_u32_e32 v1, vcc, s2, v1
	v_addc_co_u32_e32 v2, vcc, v3, v2, vcc
	v_add_u32_e32 v0, 0x100, v0
	v_mov_b32_e32 v3, s1
	global_store_short v[1:2], v3, off
	s_or_b64 exec, exec, s[6:7]
	v_cmp_gt_i32_e32 vcc, s0, v0
	s_and_saveexec_b64 s[6:7], vcc
	s_cbranch_execnz .LBB106_11
	s_branch .LBB106_12
	.section	.rodata,"a",@progbits
	.p2align	6, 0x0
	.amdhsa_kernel _ZN2at6native29vectorized_elementwise_kernelILi4ENS0_11FillFunctorIN3c108BFloat16EEESt5arrayIPcLm1EEEEviT0_T1_
		.amdhsa_group_segment_fixed_size 0
		.amdhsa_private_segment_fixed_size 0
		.amdhsa_kernarg_size 16
		.amdhsa_user_sgpr_count 6
		.amdhsa_user_sgpr_private_segment_buffer 1
		.amdhsa_user_sgpr_dispatch_ptr 0
		.amdhsa_user_sgpr_queue_ptr 0
		.amdhsa_user_sgpr_kernarg_segment_ptr 1
		.amdhsa_user_sgpr_dispatch_id 0
		.amdhsa_user_sgpr_flat_scratch_init 0
		.amdhsa_user_sgpr_private_segment_size 0
		.amdhsa_uses_dynamic_stack 0
		.amdhsa_system_sgpr_private_segment_wavefront_offset 0
		.amdhsa_system_sgpr_workgroup_id_x 1
		.amdhsa_system_sgpr_workgroup_id_y 0
		.amdhsa_system_sgpr_workgroup_id_z 0
		.amdhsa_system_sgpr_workgroup_info 0
		.amdhsa_system_vgpr_workitem_id 0
		.amdhsa_next_free_vgpr 4
		.amdhsa_next_free_sgpr 10
		.amdhsa_reserve_vcc 1
		.amdhsa_reserve_flat_scratch 0
		.amdhsa_float_round_mode_32 0
		.amdhsa_float_round_mode_16_64 0
		.amdhsa_float_denorm_mode_32 3
		.amdhsa_float_denorm_mode_16_64 3
		.amdhsa_dx10_clamp 1
		.amdhsa_ieee_mode 1
		.amdhsa_fp16_overflow 0
		.amdhsa_exception_fp_ieee_invalid_op 0
		.amdhsa_exception_fp_denorm_src 0
		.amdhsa_exception_fp_ieee_div_zero 0
		.amdhsa_exception_fp_ieee_overflow 0
		.amdhsa_exception_fp_ieee_underflow 0
		.amdhsa_exception_fp_ieee_inexact 0
		.amdhsa_exception_int_div_zero 0
	.end_amdhsa_kernel
	.section	.text._ZN2at6native29vectorized_elementwise_kernelILi4ENS0_11FillFunctorIN3c108BFloat16EEESt5arrayIPcLm1EEEEviT0_T1_,"axG",@progbits,_ZN2at6native29vectorized_elementwise_kernelILi4ENS0_11FillFunctorIN3c108BFloat16EEESt5arrayIPcLm1EEEEviT0_T1_,comdat
.Lfunc_end106:
	.size	_ZN2at6native29vectorized_elementwise_kernelILi4ENS0_11FillFunctorIN3c108BFloat16EEESt5arrayIPcLm1EEEEviT0_T1_, .Lfunc_end106-_ZN2at6native29vectorized_elementwise_kernelILi4ENS0_11FillFunctorIN3c108BFloat16EEESt5arrayIPcLm1EEEEviT0_T1_
                                        ; -- End function
	.set _ZN2at6native29vectorized_elementwise_kernelILi4ENS0_11FillFunctorIN3c108BFloat16EEESt5arrayIPcLm1EEEEviT0_T1_.num_vgpr, 4
	.set _ZN2at6native29vectorized_elementwise_kernelILi4ENS0_11FillFunctorIN3c108BFloat16EEESt5arrayIPcLm1EEEEviT0_T1_.num_agpr, 0
	.set _ZN2at6native29vectorized_elementwise_kernelILi4ENS0_11FillFunctorIN3c108BFloat16EEESt5arrayIPcLm1EEEEviT0_T1_.numbered_sgpr, 10
	.set _ZN2at6native29vectorized_elementwise_kernelILi4ENS0_11FillFunctorIN3c108BFloat16EEESt5arrayIPcLm1EEEEviT0_T1_.num_named_barrier, 0
	.set _ZN2at6native29vectorized_elementwise_kernelILi4ENS0_11FillFunctorIN3c108BFloat16EEESt5arrayIPcLm1EEEEviT0_T1_.private_seg_size, 0
	.set _ZN2at6native29vectorized_elementwise_kernelILi4ENS0_11FillFunctorIN3c108BFloat16EEESt5arrayIPcLm1EEEEviT0_T1_.uses_vcc, 1
	.set _ZN2at6native29vectorized_elementwise_kernelILi4ENS0_11FillFunctorIN3c108BFloat16EEESt5arrayIPcLm1EEEEviT0_T1_.uses_flat_scratch, 0
	.set _ZN2at6native29vectorized_elementwise_kernelILi4ENS0_11FillFunctorIN3c108BFloat16EEESt5arrayIPcLm1EEEEviT0_T1_.has_dyn_sized_stack, 0
	.set _ZN2at6native29vectorized_elementwise_kernelILi4ENS0_11FillFunctorIN3c108BFloat16EEESt5arrayIPcLm1EEEEviT0_T1_.has_recursion, 0
	.set _ZN2at6native29vectorized_elementwise_kernelILi4ENS0_11FillFunctorIN3c108BFloat16EEESt5arrayIPcLm1EEEEviT0_T1_.has_indirect_call, 0
	.section	.AMDGPU.csdata,"",@progbits
; Kernel info:
; codeLenInByte = 732
; TotalNumSgprs: 14
; NumVgprs: 4
; ScratchSize: 0
; MemoryBound: 0
; FloatMode: 240
; IeeeMode: 1
; LDSByteSize: 0 bytes/workgroup (compile time only)
; SGPRBlocks: 1
; VGPRBlocks: 0
; NumSGPRsForWavesPerEU: 14
; NumVGPRsForWavesPerEU: 4
; Occupancy: 10
; WaveLimiterHint : 1
; COMPUTE_PGM_RSRC2:SCRATCH_EN: 0
; COMPUTE_PGM_RSRC2:USER_SGPR: 6
; COMPUTE_PGM_RSRC2:TRAP_HANDLER: 0
; COMPUTE_PGM_RSRC2:TGID_X_EN: 1
; COMPUTE_PGM_RSRC2:TGID_Y_EN: 0
; COMPUTE_PGM_RSRC2:TGID_Z_EN: 0
; COMPUTE_PGM_RSRC2:TIDIG_COMP_CNT: 0
	.section	.text._ZN2at6native29vectorized_elementwise_kernelILi2ENS0_11FillFunctorIN3c108BFloat16EEESt5arrayIPcLm1EEEEviT0_T1_,"axG",@progbits,_ZN2at6native29vectorized_elementwise_kernelILi2ENS0_11FillFunctorIN3c108BFloat16EEESt5arrayIPcLm1EEEEviT0_T1_,comdat
	.protected	_ZN2at6native29vectorized_elementwise_kernelILi2ENS0_11FillFunctorIN3c108BFloat16EEESt5arrayIPcLm1EEEEviT0_T1_ ; -- Begin function _ZN2at6native29vectorized_elementwise_kernelILi2ENS0_11FillFunctorIN3c108BFloat16EEESt5arrayIPcLm1EEEEviT0_T1_
	.globl	_ZN2at6native29vectorized_elementwise_kernelILi2ENS0_11FillFunctorIN3c108BFloat16EEESt5arrayIPcLm1EEEEviT0_T1_
	.p2align	8
	.type	_ZN2at6native29vectorized_elementwise_kernelILi2ENS0_11FillFunctorIN3c108BFloat16EEESt5arrayIPcLm1EEEEviT0_T1_,@function
_ZN2at6native29vectorized_elementwise_kernelILi2ENS0_11FillFunctorIN3c108BFloat16EEESt5arrayIPcLm1EEEEviT0_T1_: ; @_ZN2at6native29vectorized_elementwise_kernelILi2ENS0_11FillFunctorIN3c108BFloat16EEESt5arrayIPcLm1EEEEviT0_T1_
; %bb.0:
	s_load_dwordx4 s[0:3], s[4:5], 0x0
	s_lshl_b32 s4, s6, 11
	s_mov_b64 s[6:7], -1
	s_waitcnt lgkmcnt(0)
	s_sub_i32 s0, s0, s4
	s_cmpk_gt_i32 s0, 0x7ff
	s_cbranch_scc0 .LBB107_2
; %bb.1:
	s_and_b32 s5, 0xffff, s1
	s_mul_i32 s8, s5, 0x10001
	s_ashr_i32 s5, s4, 31
	s_lshl_b64 s[6:7], s[4:5], 1
	s_add_u32 s6, s2, s6
	s_addc_u32 s7, s3, s7
	v_lshlrev_b32_e32 v1, 2, v0
	v_mov_b32_e32 v2, s8
	global_store_dword v1, v2, s[6:7]
	global_store_dword v1, v2, s[6:7] offset:1024
	global_store_dword v1, v2, s[6:7] offset:2048
	;; [unrolled: 1-line block ×3, first 2 shown]
	s_mov_b64 s[6:7], 0
.LBB107_2:
	s_andn2_b64 vcc, exec, s[6:7]
	s_cbranch_vccnz .LBB107_12
; %bb.3:
	v_cmp_gt_i32_e32 vcc, s0, v0
	s_and_saveexec_b64 s[6:7], vcc
	s_cbranch_execnz .LBB107_13
; %bb.4:
	s_or_b64 exec, exec, s[6:7]
	v_cmp_gt_i32_e32 vcc, s0, v0
	s_and_saveexec_b64 s[6:7], vcc
	s_cbranch_execnz .LBB107_14
.LBB107_5:
	s_or_b64 exec, exec, s[6:7]
	v_cmp_gt_i32_e32 vcc, s0, v0
	s_and_saveexec_b64 s[6:7], vcc
	s_cbranch_execnz .LBB107_15
.LBB107_6:
	s_or_b64 exec, exec, s[6:7]
	v_cmp_gt_i32_e32 vcc, s0, v0
	s_and_saveexec_b64 s[6:7], vcc
	s_cbranch_execnz .LBB107_16
.LBB107_7:
	s_or_b64 exec, exec, s[6:7]
	v_cmp_gt_i32_e32 vcc, s0, v0
	s_and_saveexec_b64 s[6:7], vcc
	s_cbranch_execnz .LBB107_17
.LBB107_8:
	s_or_b64 exec, exec, s[6:7]
	v_cmp_gt_i32_e32 vcc, s0, v0
	s_and_saveexec_b64 s[6:7], vcc
	s_cbranch_execnz .LBB107_18
.LBB107_9:
	s_or_b64 exec, exec, s[6:7]
	v_cmp_gt_i32_e32 vcc, s0, v0
	s_and_saveexec_b64 s[6:7], vcc
	s_cbranch_execnz .LBB107_19
.LBB107_10:
	s_or_b64 exec, exec, s[6:7]
	v_cmp_gt_i32_e32 vcc, s0, v0
	s_and_saveexec_b64 s[6:7], vcc
	s_cbranch_execz .LBB107_12
.LBB107_11:
	v_add_u32_e32 v0, s4, v0
	v_mov_b32_e32 v1, 0
	v_lshlrev_b64 v[0:1], 1, v[0:1]
	v_mov_b32_e32 v2, s3
	v_add_co_u32_e32 v0, vcc, s2, v0
	v_addc_co_u32_e32 v1, vcc, v2, v1, vcc
	v_mov_b32_e32 v2, s1
	global_store_short v[0:1], v2, off
.LBB107_12:
	s_endpgm
.LBB107_13:
	v_or_b32_e32 v2, 0x100, v0
	v_or_b32_e32 v0, s4, v0
	v_mov_b32_e32 v1, 0
	v_lshlrev_b64 v[0:1], 1, v[0:1]
	v_mov_b32_e32 v3, s3
	v_add_co_u32_e32 v0, vcc, s2, v0
	v_addc_co_u32_e32 v1, vcc, v3, v1, vcc
	v_mov_b32_e32 v3, s1
	global_store_short v[0:1], v3, off
	v_mov_b32_e32 v0, v2
	s_or_b64 exec, exec, s[6:7]
	v_cmp_gt_i32_e32 vcc, s0, v0
	s_and_saveexec_b64 s[6:7], vcc
	s_cbranch_execz .LBB107_5
.LBB107_14:
	v_add_u32_e32 v1, s4, v0
	v_mov_b32_e32 v2, 0
	v_lshlrev_b64 v[1:2], 1, v[1:2]
	v_mov_b32_e32 v3, s3
	v_add_co_u32_e32 v1, vcc, s2, v1
	v_addc_co_u32_e32 v2, vcc, v3, v2, vcc
	v_add_u32_e32 v0, 0x100, v0
	v_mov_b32_e32 v3, s1
	global_store_short v[1:2], v3, off
	s_or_b64 exec, exec, s[6:7]
	v_cmp_gt_i32_e32 vcc, s0, v0
	s_and_saveexec_b64 s[6:7], vcc
	s_cbranch_execz .LBB107_6
.LBB107_15:
	v_add_u32_e32 v1, s4, v0
	v_mov_b32_e32 v2, 0
	v_lshlrev_b64 v[1:2], 1, v[1:2]
	v_mov_b32_e32 v3, s3
	v_add_co_u32_e32 v1, vcc, s2, v1
	v_addc_co_u32_e32 v2, vcc, v3, v2, vcc
	v_add_u32_e32 v0, 0x100, v0
	v_mov_b32_e32 v3, s1
	global_store_short v[1:2], v3, off
	s_or_b64 exec, exec, s[6:7]
	v_cmp_gt_i32_e32 vcc, s0, v0
	s_and_saveexec_b64 s[6:7], vcc
	s_cbranch_execz .LBB107_7
.LBB107_16:
	v_add_u32_e32 v1, s4, v0
	v_mov_b32_e32 v2, 0
	v_lshlrev_b64 v[1:2], 1, v[1:2]
	v_mov_b32_e32 v3, s3
	v_add_co_u32_e32 v1, vcc, s2, v1
	v_addc_co_u32_e32 v2, vcc, v3, v2, vcc
	v_add_u32_e32 v0, 0x100, v0
	v_mov_b32_e32 v3, s1
	global_store_short v[1:2], v3, off
	s_or_b64 exec, exec, s[6:7]
	v_cmp_gt_i32_e32 vcc, s0, v0
	s_and_saveexec_b64 s[6:7], vcc
	s_cbranch_execz .LBB107_8
.LBB107_17:
	v_add_u32_e32 v1, s4, v0
	v_mov_b32_e32 v2, 0
	v_lshlrev_b64 v[1:2], 1, v[1:2]
	v_mov_b32_e32 v3, s3
	v_add_co_u32_e32 v1, vcc, s2, v1
	v_addc_co_u32_e32 v2, vcc, v3, v2, vcc
	v_add_u32_e32 v0, 0x100, v0
	v_mov_b32_e32 v3, s1
	global_store_short v[1:2], v3, off
	s_or_b64 exec, exec, s[6:7]
	v_cmp_gt_i32_e32 vcc, s0, v0
	s_and_saveexec_b64 s[6:7], vcc
	s_cbranch_execz .LBB107_9
.LBB107_18:
	v_add_u32_e32 v1, s4, v0
	v_mov_b32_e32 v2, 0
	v_lshlrev_b64 v[1:2], 1, v[1:2]
	v_mov_b32_e32 v3, s3
	v_add_co_u32_e32 v1, vcc, s2, v1
	v_addc_co_u32_e32 v2, vcc, v3, v2, vcc
	v_add_u32_e32 v0, 0x100, v0
	v_mov_b32_e32 v3, s1
	global_store_short v[1:2], v3, off
	s_or_b64 exec, exec, s[6:7]
	v_cmp_gt_i32_e32 vcc, s0, v0
	s_and_saveexec_b64 s[6:7], vcc
	s_cbranch_execz .LBB107_10
.LBB107_19:
	v_add_u32_e32 v1, s4, v0
	v_mov_b32_e32 v2, 0
	v_lshlrev_b64 v[1:2], 1, v[1:2]
	v_mov_b32_e32 v3, s3
	v_add_co_u32_e32 v1, vcc, s2, v1
	v_addc_co_u32_e32 v2, vcc, v3, v2, vcc
	v_add_u32_e32 v0, 0x100, v0
	v_mov_b32_e32 v3, s1
	global_store_short v[1:2], v3, off
	s_or_b64 exec, exec, s[6:7]
	v_cmp_gt_i32_e32 vcc, s0, v0
	s_and_saveexec_b64 s[6:7], vcc
	s_cbranch_execnz .LBB107_11
	s_branch .LBB107_12
	.section	.rodata,"a",@progbits
	.p2align	6, 0x0
	.amdhsa_kernel _ZN2at6native29vectorized_elementwise_kernelILi2ENS0_11FillFunctorIN3c108BFloat16EEESt5arrayIPcLm1EEEEviT0_T1_
		.amdhsa_group_segment_fixed_size 0
		.amdhsa_private_segment_fixed_size 0
		.amdhsa_kernarg_size 16
		.amdhsa_user_sgpr_count 6
		.amdhsa_user_sgpr_private_segment_buffer 1
		.amdhsa_user_sgpr_dispatch_ptr 0
		.amdhsa_user_sgpr_queue_ptr 0
		.amdhsa_user_sgpr_kernarg_segment_ptr 1
		.amdhsa_user_sgpr_dispatch_id 0
		.amdhsa_user_sgpr_flat_scratch_init 0
		.amdhsa_user_sgpr_private_segment_size 0
		.amdhsa_uses_dynamic_stack 0
		.amdhsa_system_sgpr_private_segment_wavefront_offset 0
		.amdhsa_system_sgpr_workgroup_id_x 1
		.amdhsa_system_sgpr_workgroup_id_y 0
		.amdhsa_system_sgpr_workgroup_id_z 0
		.amdhsa_system_sgpr_workgroup_info 0
		.amdhsa_system_vgpr_workitem_id 0
		.amdhsa_next_free_vgpr 4
		.amdhsa_next_free_sgpr 9
		.amdhsa_reserve_vcc 1
		.amdhsa_reserve_flat_scratch 0
		.amdhsa_float_round_mode_32 0
		.amdhsa_float_round_mode_16_64 0
		.amdhsa_float_denorm_mode_32 3
		.amdhsa_float_denorm_mode_16_64 3
		.amdhsa_dx10_clamp 1
		.amdhsa_ieee_mode 1
		.amdhsa_fp16_overflow 0
		.amdhsa_exception_fp_ieee_invalid_op 0
		.amdhsa_exception_fp_denorm_src 0
		.amdhsa_exception_fp_ieee_div_zero 0
		.amdhsa_exception_fp_ieee_overflow 0
		.amdhsa_exception_fp_ieee_underflow 0
		.amdhsa_exception_fp_ieee_inexact 0
		.amdhsa_exception_int_div_zero 0
	.end_amdhsa_kernel
	.section	.text._ZN2at6native29vectorized_elementwise_kernelILi2ENS0_11FillFunctorIN3c108BFloat16EEESt5arrayIPcLm1EEEEviT0_T1_,"axG",@progbits,_ZN2at6native29vectorized_elementwise_kernelILi2ENS0_11FillFunctorIN3c108BFloat16EEESt5arrayIPcLm1EEEEviT0_T1_,comdat
.Lfunc_end107:
	.size	_ZN2at6native29vectorized_elementwise_kernelILi2ENS0_11FillFunctorIN3c108BFloat16EEESt5arrayIPcLm1EEEEviT0_T1_, .Lfunc_end107-_ZN2at6native29vectorized_elementwise_kernelILi2ENS0_11FillFunctorIN3c108BFloat16EEESt5arrayIPcLm1EEEEviT0_T1_
                                        ; -- End function
	.set _ZN2at6native29vectorized_elementwise_kernelILi2ENS0_11FillFunctorIN3c108BFloat16EEESt5arrayIPcLm1EEEEviT0_T1_.num_vgpr, 4
	.set _ZN2at6native29vectorized_elementwise_kernelILi2ENS0_11FillFunctorIN3c108BFloat16EEESt5arrayIPcLm1EEEEviT0_T1_.num_agpr, 0
	.set _ZN2at6native29vectorized_elementwise_kernelILi2ENS0_11FillFunctorIN3c108BFloat16EEESt5arrayIPcLm1EEEEviT0_T1_.numbered_sgpr, 9
	.set _ZN2at6native29vectorized_elementwise_kernelILi2ENS0_11FillFunctorIN3c108BFloat16EEESt5arrayIPcLm1EEEEviT0_T1_.num_named_barrier, 0
	.set _ZN2at6native29vectorized_elementwise_kernelILi2ENS0_11FillFunctorIN3c108BFloat16EEESt5arrayIPcLm1EEEEviT0_T1_.private_seg_size, 0
	.set _ZN2at6native29vectorized_elementwise_kernelILi2ENS0_11FillFunctorIN3c108BFloat16EEESt5arrayIPcLm1EEEEviT0_T1_.uses_vcc, 1
	.set _ZN2at6native29vectorized_elementwise_kernelILi2ENS0_11FillFunctorIN3c108BFloat16EEESt5arrayIPcLm1EEEEviT0_T1_.uses_flat_scratch, 0
	.set _ZN2at6native29vectorized_elementwise_kernelILi2ENS0_11FillFunctorIN3c108BFloat16EEESt5arrayIPcLm1EEEEviT0_T1_.has_dyn_sized_stack, 0
	.set _ZN2at6native29vectorized_elementwise_kernelILi2ENS0_11FillFunctorIN3c108BFloat16EEESt5arrayIPcLm1EEEEviT0_T1_.has_recursion, 0
	.set _ZN2at6native29vectorized_elementwise_kernelILi2ENS0_11FillFunctorIN3c108BFloat16EEESt5arrayIPcLm1EEEEviT0_T1_.has_indirect_call, 0
	.section	.AMDGPU.csdata,"",@progbits
; Kernel info:
; codeLenInByte = 740
; TotalNumSgprs: 13
; NumVgprs: 4
; ScratchSize: 0
; MemoryBound: 0
; FloatMode: 240
; IeeeMode: 1
; LDSByteSize: 0 bytes/workgroup (compile time only)
; SGPRBlocks: 1
; VGPRBlocks: 0
; NumSGPRsForWavesPerEU: 13
; NumVGPRsForWavesPerEU: 4
; Occupancy: 10
; WaveLimiterHint : 1
; COMPUTE_PGM_RSRC2:SCRATCH_EN: 0
; COMPUTE_PGM_RSRC2:USER_SGPR: 6
; COMPUTE_PGM_RSRC2:TRAP_HANDLER: 0
; COMPUTE_PGM_RSRC2:TGID_X_EN: 1
; COMPUTE_PGM_RSRC2:TGID_Y_EN: 0
; COMPUTE_PGM_RSRC2:TGID_Z_EN: 0
; COMPUTE_PGM_RSRC2:TIDIG_COMP_CNT: 0
	.section	.text._ZN2at6native27unrolled_elementwise_kernelINS0_11FillFunctorIN3c108BFloat16EEESt5arrayIPcLm1EELi4E23TrivialOffsetCalculatorILi0EjES9_ILi1EjENS0_6memory15LoadWithoutCastENSC_16StoreWithoutCastEEEviT_T0_T2_T3_T4_T5_,"axG",@progbits,_ZN2at6native27unrolled_elementwise_kernelINS0_11FillFunctorIN3c108BFloat16EEESt5arrayIPcLm1EELi4E23TrivialOffsetCalculatorILi0EjES9_ILi1EjENS0_6memory15LoadWithoutCastENSC_16StoreWithoutCastEEEviT_T0_T2_T3_T4_T5_,comdat
	.protected	_ZN2at6native27unrolled_elementwise_kernelINS0_11FillFunctorIN3c108BFloat16EEESt5arrayIPcLm1EELi4E23TrivialOffsetCalculatorILi0EjES9_ILi1EjENS0_6memory15LoadWithoutCastENSC_16StoreWithoutCastEEEviT_T0_T2_T3_T4_T5_ ; -- Begin function _ZN2at6native27unrolled_elementwise_kernelINS0_11FillFunctorIN3c108BFloat16EEESt5arrayIPcLm1EELi4E23TrivialOffsetCalculatorILi0EjES9_ILi1EjENS0_6memory15LoadWithoutCastENSC_16StoreWithoutCastEEEviT_T0_T2_T3_T4_T5_
	.globl	_ZN2at6native27unrolled_elementwise_kernelINS0_11FillFunctorIN3c108BFloat16EEESt5arrayIPcLm1EELi4E23TrivialOffsetCalculatorILi0EjES9_ILi1EjENS0_6memory15LoadWithoutCastENSC_16StoreWithoutCastEEEviT_T0_T2_T3_T4_T5_
	.p2align	8
	.type	_ZN2at6native27unrolled_elementwise_kernelINS0_11FillFunctorIN3c108BFloat16EEESt5arrayIPcLm1EELi4E23TrivialOffsetCalculatorILi0EjES9_ILi1EjENS0_6memory15LoadWithoutCastENSC_16StoreWithoutCastEEEviT_T0_T2_T3_T4_T5_,@function
_ZN2at6native27unrolled_elementwise_kernelINS0_11FillFunctorIN3c108BFloat16EEESt5arrayIPcLm1EELi4E23TrivialOffsetCalculatorILi0EjES9_ILi1EjENS0_6memory15LoadWithoutCastENSC_16StoreWithoutCastEEEviT_T0_T2_T3_T4_T5_: ; @_ZN2at6native27unrolled_elementwise_kernelINS0_11FillFunctorIN3c108BFloat16EEESt5arrayIPcLm1EELi4E23TrivialOffsetCalculatorILi0EjES9_ILi1EjENS0_6memory15LoadWithoutCastENSC_16StoreWithoutCastEEEviT_T0_T2_T3_T4_T5_
; %bb.0:
	s_load_dwordx4 s[0:3], s[4:5], 0x0
	s_lshl_b32 s6, s6, 10
	s_waitcnt lgkmcnt(0)
	s_sub_i32 s0, s0, s6
	v_cmp_gt_i32_e32 vcc, s0, v0
	s_and_saveexec_b64 s[4:5], vcc
	s_cbranch_execnz .LBB108_5
; %bb.1:
	s_or_b64 exec, exec, s[4:5]
	v_cmp_gt_i32_e32 vcc, s0, v0
	s_and_saveexec_b64 s[4:5], vcc
	s_cbranch_execnz .LBB108_6
.LBB108_2:
	s_or_b64 exec, exec, s[4:5]
	v_cmp_gt_i32_e32 vcc, s0, v0
	s_and_saveexec_b64 s[4:5], vcc
	s_cbranch_execnz .LBB108_7
.LBB108_3:
	s_or_b64 exec, exec, s[4:5]
	v_cmp_gt_i32_e32 vcc, s0, v0
	s_and_saveexec_b64 s[4:5], vcc
	s_cbranch_execnz .LBB108_8
.LBB108_4:
	s_endpgm
.LBB108_5:
	v_or_b32_e32 v1, s6, v0
	v_mov_b32_e32 v2, 0
	v_lshlrev_b64 v[1:2], 1, v[1:2]
	v_mov_b32_e32 v3, s3
	v_add_co_u32_e32 v1, vcc, s2, v1
	v_addc_co_u32_e32 v2, vcc, v3, v2, vcc
	v_or_b32_e32 v0, 0x100, v0
	v_mov_b32_e32 v3, s1
	global_store_short v[1:2], v3, off
	s_or_b64 exec, exec, s[4:5]
	v_cmp_gt_i32_e32 vcc, s0, v0
	s_and_saveexec_b64 s[4:5], vcc
	s_cbranch_execz .LBB108_2
.LBB108_6:
	v_add_u32_e32 v2, 0x100, v0
	v_add_u32_e32 v0, s6, v0
	v_mov_b32_e32 v1, 0
	v_lshlrev_b64 v[0:1], 1, v[0:1]
	v_mov_b32_e32 v3, s3
	v_add_co_u32_e32 v0, vcc, s2, v0
	v_addc_co_u32_e32 v1, vcc, v3, v1, vcc
	v_mov_b32_e32 v3, s1
	global_store_short v[0:1], v3, off
	v_mov_b32_e32 v0, v2
	s_or_b64 exec, exec, s[4:5]
	v_cmp_gt_i32_e32 vcc, s0, v0
	s_and_saveexec_b64 s[4:5], vcc
	s_cbranch_execz .LBB108_3
.LBB108_7:
	v_add_u32_e32 v2, 0x100, v0
	v_add_u32_e32 v0, s6, v0
	v_mov_b32_e32 v1, 0
	v_lshlrev_b64 v[0:1], 1, v[0:1]
	v_mov_b32_e32 v3, s3
	v_add_co_u32_e32 v0, vcc, s2, v0
	v_addc_co_u32_e32 v1, vcc, v3, v1, vcc
	v_mov_b32_e32 v3, s1
	global_store_short v[0:1], v3, off
	v_mov_b32_e32 v0, v2
	s_or_b64 exec, exec, s[4:5]
	v_cmp_gt_i32_e32 vcc, s0, v0
	s_and_saveexec_b64 s[4:5], vcc
	s_cbranch_execz .LBB108_4
.LBB108_8:
	v_add_u32_e32 v0, s6, v0
	v_mov_b32_e32 v1, 0
	v_lshlrev_b64 v[0:1], 1, v[0:1]
	v_mov_b32_e32 v2, s3
	v_add_co_u32_e32 v0, vcc, s2, v0
	v_addc_co_u32_e32 v1, vcc, v2, v1, vcc
	v_mov_b32_e32 v2, s1
	global_store_short v[0:1], v2, off
	s_endpgm
	.section	.rodata,"a",@progbits
	.p2align	6, 0x0
	.amdhsa_kernel _ZN2at6native27unrolled_elementwise_kernelINS0_11FillFunctorIN3c108BFloat16EEESt5arrayIPcLm1EELi4E23TrivialOffsetCalculatorILi0EjES9_ILi1EjENS0_6memory15LoadWithoutCastENSC_16StoreWithoutCastEEEviT_T0_T2_T3_T4_T5_
		.amdhsa_group_segment_fixed_size 0
		.amdhsa_private_segment_fixed_size 0
		.amdhsa_kernarg_size 20
		.amdhsa_user_sgpr_count 6
		.amdhsa_user_sgpr_private_segment_buffer 1
		.amdhsa_user_sgpr_dispatch_ptr 0
		.amdhsa_user_sgpr_queue_ptr 0
		.amdhsa_user_sgpr_kernarg_segment_ptr 1
		.amdhsa_user_sgpr_dispatch_id 0
		.amdhsa_user_sgpr_flat_scratch_init 0
		.amdhsa_user_sgpr_private_segment_size 0
		.amdhsa_uses_dynamic_stack 0
		.amdhsa_system_sgpr_private_segment_wavefront_offset 0
		.amdhsa_system_sgpr_workgroup_id_x 1
		.amdhsa_system_sgpr_workgroup_id_y 0
		.amdhsa_system_sgpr_workgroup_id_z 0
		.amdhsa_system_sgpr_workgroup_info 0
		.amdhsa_system_vgpr_workitem_id 0
		.amdhsa_next_free_vgpr 4
		.amdhsa_next_free_sgpr 7
		.amdhsa_reserve_vcc 1
		.amdhsa_reserve_flat_scratch 0
		.amdhsa_float_round_mode_32 0
		.amdhsa_float_round_mode_16_64 0
		.amdhsa_float_denorm_mode_32 3
		.amdhsa_float_denorm_mode_16_64 3
		.amdhsa_dx10_clamp 1
		.amdhsa_ieee_mode 1
		.amdhsa_fp16_overflow 0
		.amdhsa_exception_fp_ieee_invalid_op 0
		.amdhsa_exception_fp_denorm_src 0
		.amdhsa_exception_fp_ieee_div_zero 0
		.amdhsa_exception_fp_ieee_overflow 0
		.amdhsa_exception_fp_ieee_underflow 0
		.amdhsa_exception_fp_ieee_inexact 0
		.amdhsa_exception_int_div_zero 0
	.end_amdhsa_kernel
	.section	.text._ZN2at6native27unrolled_elementwise_kernelINS0_11FillFunctorIN3c108BFloat16EEESt5arrayIPcLm1EELi4E23TrivialOffsetCalculatorILi0EjES9_ILi1EjENS0_6memory15LoadWithoutCastENSC_16StoreWithoutCastEEEviT_T0_T2_T3_T4_T5_,"axG",@progbits,_ZN2at6native27unrolled_elementwise_kernelINS0_11FillFunctorIN3c108BFloat16EEESt5arrayIPcLm1EELi4E23TrivialOffsetCalculatorILi0EjES9_ILi1EjENS0_6memory15LoadWithoutCastENSC_16StoreWithoutCastEEEviT_T0_T2_T3_T4_T5_,comdat
.Lfunc_end108:
	.size	_ZN2at6native27unrolled_elementwise_kernelINS0_11FillFunctorIN3c108BFloat16EEESt5arrayIPcLm1EELi4E23TrivialOffsetCalculatorILi0EjES9_ILi1EjENS0_6memory15LoadWithoutCastENSC_16StoreWithoutCastEEEviT_T0_T2_T3_T4_T5_, .Lfunc_end108-_ZN2at6native27unrolled_elementwise_kernelINS0_11FillFunctorIN3c108BFloat16EEESt5arrayIPcLm1EELi4E23TrivialOffsetCalculatorILi0EjES9_ILi1EjENS0_6memory15LoadWithoutCastENSC_16StoreWithoutCastEEEviT_T0_T2_T3_T4_T5_
                                        ; -- End function
	.set _ZN2at6native27unrolled_elementwise_kernelINS0_11FillFunctorIN3c108BFloat16EEESt5arrayIPcLm1EELi4E23TrivialOffsetCalculatorILi0EjES9_ILi1EjENS0_6memory15LoadWithoutCastENSC_16StoreWithoutCastEEEviT_T0_T2_T3_T4_T5_.num_vgpr, 4
	.set _ZN2at6native27unrolled_elementwise_kernelINS0_11FillFunctorIN3c108BFloat16EEESt5arrayIPcLm1EELi4E23TrivialOffsetCalculatorILi0EjES9_ILi1EjENS0_6memory15LoadWithoutCastENSC_16StoreWithoutCastEEEviT_T0_T2_T3_T4_T5_.num_agpr, 0
	.set _ZN2at6native27unrolled_elementwise_kernelINS0_11FillFunctorIN3c108BFloat16EEESt5arrayIPcLm1EELi4E23TrivialOffsetCalculatorILi0EjES9_ILi1EjENS0_6memory15LoadWithoutCastENSC_16StoreWithoutCastEEEviT_T0_T2_T3_T4_T5_.numbered_sgpr, 7
	.set _ZN2at6native27unrolled_elementwise_kernelINS0_11FillFunctorIN3c108BFloat16EEESt5arrayIPcLm1EELi4E23TrivialOffsetCalculatorILi0EjES9_ILi1EjENS0_6memory15LoadWithoutCastENSC_16StoreWithoutCastEEEviT_T0_T2_T3_T4_T5_.num_named_barrier, 0
	.set _ZN2at6native27unrolled_elementwise_kernelINS0_11FillFunctorIN3c108BFloat16EEESt5arrayIPcLm1EELi4E23TrivialOffsetCalculatorILi0EjES9_ILi1EjENS0_6memory15LoadWithoutCastENSC_16StoreWithoutCastEEEviT_T0_T2_T3_T4_T5_.private_seg_size, 0
	.set _ZN2at6native27unrolled_elementwise_kernelINS0_11FillFunctorIN3c108BFloat16EEESt5arrayIPcLm1EELi4E23TrivialOffsetCalculatorILi0EjES9_ILi1EjENS0_6memory15LoadWithoutCastENSC_16StoreWithoutCastEEEviT_T0_T2_T3_T4_T5_.uses_vcc, 1
	.set _ZN2at6native27unrolled_elementwise_kernelINS0_11FillFunctorIN3c108BFloat16EEESt5arrayIPcLm1EELi4E23TrivialOffsetCalculatorILi0EjES9_ILi1EjENS0_6memory15LoadWithoutCastENSC_16StoreWithoutCastEEEviT_T0_T2_T3_T4_T5_.uses_flat_scratch, 0
	.set _ZN2at6native27unrolled_elementwise_kernelINS0_11FillFunctorIN3c108BFloat16EEESt5arrayIPcLm1EELi4E23TrivialOffsetCalculatorILi0EjES9_ILi1EjENS0_6memory15LoadWithoutCastENSC_16StoreWithoutCastEEEviT_T0_T2_T3_T4_T5_.has_dyn_sized_stack, 0
	.set _ZN2at6native27unrolled_elementwise_kernelINS0_11FillFunctorIN3c108BFloat16EEESt5arrayIPcLm1EELi4E23TrivialOffsetCalculatorILi0EjES9_ILi1EjENS0_6memory15LoadWithoutCastENSC_16StoreWithoutCastEEEviT_T0_T2_T3_T4_T5_.has_recursion, 0
	.set _ZN2at6native27unrolled_elementwise_kernelINS0_11FillFunctorIN3c108BFloat16EEESt5arrayIPcLm1EELi4E23TrivialOffsetCalculatorILi0EjES9_ILi1EjENS0_6memory15LoadWithoutCastENSC_16StoreWithoutCastEEEviT_T0_T2_T3_T4_T5_.has_indirect_call, 0
	.section	.AMDGPU.csdata,"",@progbits
; Kernel info:
; codeLenInByte = 328
; TotalNumSgprs: 11
; NumVgprs: 4
; ScratchSize: 0
; MemoryBound: 0
; FloatMode: 240
; IeeeMode: 1
; LDSByteSize: 0 bytes/workgroup (compile time only)
; SGPRBlocks: 1
; VGPRBlocks: 0
; NumSGPRsForWavesPerEU: 11
; NumVGPRsForWavesPerEU: 4
; Occupancy: 10
; WaveLimiterHint : 0
; COMPUTE_PGM_RSRC2:SCRATCH_EN: 0
; COMPUTE_PGM_RSRC2:USER_SGPR: 6
; COMPUTE_PGM_RSRC2:TRAP_HANDLER: 0
; COMPUTE_PGM_RSRC2:TGID_X_EN: 1
; COMPUTE_PGM_RSRC2:TGID_Y_EN: 0
; COMPUTE_PGM_RSRC2:TGID_Z_EN: 0
; COMPUTE_PGM_RSRC2:TIDIG_COMP_CNT: 0
	.section	.text._ZN2at6native32elementwise_kernel_manual_unrollILi128ELi8EZNS0_22gpu_kernel_impl_nocastINS0_11FillFunctorIN3c108BFloat16EEEEEvRNS_18TensorIteratorBaseERKT_EUlibE_EEviT1_,"axG",@progbits,_ZN2at6native32elementwise_kernel_manual_unrollILi128ELi8EZNS0_22gpu_kernel_impl_nocastINS0_11FillFunctorIN3c108BFloat16EEEEEvRNS_18TensorIteratorBaseERKT_EUlibE_EEviT1_,comdat
	.protected	_ZN2at6native32elementwise_kernel_manual_unrollILi128ELi8EZNS0_22gpu_kernel_impl_nocastINS0_11FillFunctorIN3c108BFloat16EEEEEvRNS_18TensorIteratorBaseERKT_EUlibE_EEviT1_ ; -- Begin function _ZN2at6native32elementwise_kernel_manual_unrollILi128ELi8EZNS0_22gpu_kernel_impl_nocastINS0_11FillFunctorIN3c108BFloat16EEEEEvRNS_18TensorIteratorBaseERKT_EUlibE_EEviT1_
	.globl	_ZN2at6native32elementwise_kernel_manual_unrollILi128ELi8EZNS0_22gpu_kernel_impl_nocastINS0_11FillFunctorIN3c108BFloat16EEEEEvRNS_18TensorIteratorBaseERKT_EUlibE_EEviT1_
	.p2align	8
	.type	_ZN2at6native32elementwise_kernel_manual_unrollILi128ELi8EZNS0_22gpu_kernel_impl_nocastINS0_11FillFunctorIN3c108BFloat16EEEEEvRNS_18TensorIteratorBaseERKT_EUlibE_EEviT1_,@function
_ZN2at6native32elementwise_kernel_manual_unrollILi128ELi8EZNS0_22gpu_kernel_impl_nocastINS0_11FillFunctorIN3c108BFloat16EEEEEvRNS_18TensorIteratorBaseERKT_EUlibE_EEviT1_: ; @_ZN2at6native32elementwise_kernel_manual_unrollILi128ELi8EZNS0_22gpu_kernel_impl_nocastINS0_11FillFunctorIN3c108BFloat16EEEEEvRNS_18TensorIteratorBaseERKT_EUlibE_EEviT1_
; %bb.0:
	s_load_dword s48, s[4:5], 0x0
	s_load_dword s33, s[4:5], 0x8
	s_add_u32 s20, s4, 8
	s_addc_u32 s21, s5, 0
	v_lshl_or_b32 v7, s6, 10, v0
	v_or_b32_e32 v9, 0x380, v7
	s_waitcnt lgkmcnt(0)
	s_add_i32 s46, s33, -1
	s_cmp_gt_u32 s46, 1
	v_cmp_le_i32_e32 vcc, s48, v9
	s_cselect_b64 s[22:23], -1, 0
	s_and_saveexec_b64 s[0:1], vcc
	s_xor_b64 s[24:25], exec, s[0:1]
	s_cbranch_execz .LBB109_7
; %bb.1:
	s_load_dwordx4 s[8:11], s[20:21], 0x4
	s_load_dwordx2 s[30:31], s[20:21], 0x14
	s_load_dwordx2 s[28:29], s[20:21], 0xc4
	;; [unrolled: 1-line block ×3, first 2 shown]
	s_load_dword s47, s[20:21], 0x110
	s_cmp_lg_u32 s33, 0
	s_cselect_b64 s[38:39], -1, 0
	s_add_u32 s36, s20, 0xc4
	s_addc_u32 s37, s21, 0
	s_min_u32 s49, s46, 15
	s_cmp_gt_u32 s33, 1
	s_cselect_b64 s[34:35], -1, 0
	v_cmp_gt_i32_e32 vcc, s48, v7
	s_and_saveexec_b64 s[40:41], vcc
	s_cbranch_execz .LBB109_14
; %bb.2:
	s_andn2_b64 vcc, exec, s[22:23]
	s_cbranch_vccnz .LBB109_21
; %bb.3:
	s_andn2_b64 vcc, exec, s[38:39]
	s_cbranch_vccnz .LBB109_129
; %bb.4:
	s_add_i32 s51, s49, 1
	s_cmp_eq_u32 s46, 2
	s_cbranch_scc1 .LBB109_131
; %bb.5:
	s_and_b32 s50, s51, 28
	s_mov_b32 s52, 0
	v_mov_b32_e32 v0, 0
	s_mov_b64 s[42:43], s[20:21]
	s_mov_b64 s[44:45], s[36:37]
	v_mov_b32_e32 v1, v7
.LBB109_6:                              ; =>This Inner Loop Header: Depth=1
	s_load_dwordx8 s[0:7], s[42:43], 0x4
	s_load_dwordx4 s[12:15], s[42:43], 0x24
	s_load_dwordx4 s[16:19], s[44:45], 0x0
	s_add_u32 s42, s42, 48
	s_addc_u32 s43, s43, 0
	s_waitcnt lgkmcnt(0)
	v_mul_hi_u32 v2, s1, v1
	s_add_i32 s52, s52, 4
	s_add_u32 s44, s44, 16
	s_addc_u32 s45, s45, 0
	v_add_u32_e32 v2, v1, v2
	v_lshrrev_b32_e32 v2, s2, v2
	v_mul_lo_u32 v3, v2, s0
	v_mul_hi_u32 v4, s4, v2
	s_cmp_lg_u32 s50, s52
	v_sub_u32_e32 v1, v1, v3
	v_add_u32_e32 v3, v2, v4
	v_lshrrev_b32_e32 v3, s5, v3
	v_mul_lo_u32 v4, v1, s16
	v_mul_hi_u32 v1, s7, v3
	v_mul_lo_u32 v6, v3, s3
	v_add_u32_e32 v1, v3, v1
	v_lshrrev_b32_e32 v5, s12, v1
	v_mul_hi_u32 v1, s14, v5
	v_sub_u32_e32 v2, v2, v6
	v_mul_lo_u32 v6, v5, s6
	v_mul_lo_u32 v2, v2, s17
	v_add_u32_e32 v1, v5, v1
	v_lshrrev_b32_e32 v1, s15, v1
	v_mul_lo_u32 v8, v1, s13
	v_sub_u32_e32 v3, v3, v6
	v_mul_lo_u32 v3, v3, s18
	v_add3_u32 v0, v4, v0, v2
	v_sub_u32_e32 v5, v5, v8
	v_mul_lo_u32 v5, v5, s19
	v_add3_u32 v0, v3, v0, v5
	s_cbranch_scc1 .LBB109_6
	s_branch .LBB109_132
.LBB109_7:
	s_andn2_saveexec_b64 s[0:1], s[24:25]
	s_cbranch_execz .LBB109_221
.LBB109_8:
	v_cndmask_b32_e64 v0, 0, 1, s[22:23]
	v_cmp_ne_u32_e64 s[0:1], 1, v0
	s_andn2_b64 vcc, exec, s[22:23]
	s_cbranch_vccnz .LBB109_20
; %bb.9:
	s_cmp_lg_u32 s33, 0
	s_mov_b32 s24, 0
	s_cbranch_scc0 .LBB109_23
; %bb.10:
	s_min_u32 s25, s46, 15
	s_add_i32 s25, s25, 1
	s_cmp_eq_u32 s46, 2
	s_cbranch_scc1 .LBB109_24
; %bb.11:
	s_and_b32 s24, s25, 28
	s_add_u32 s2, s20, 0xc4
	s_addc_u32 s3, s21, 0
	s_waitcnt lgkmcnt(0)
	s_mov_b32 s26, 0
	v_mov_b32_e32 v0, 0
	s_mov_b64 s[22:23], s[20:21]
	v_mov_b32_e32 v1, v7
.LBB109_12:                             ; =>This Inner Loop Header: Depth=1
	s_load_dwordx8 s[4:11], s[22:23], 0x4
	s_load_dwordx4 s[12:15], s[22:23], 0x24
	s_load_dwordx4 s[16:19], s[2:3], 0x0
	s_add_u32 s22, s22, 48
	s_addc_u32 s23, s23, 0
	s_waitcnt lgkmcnt(0)
	v_mul_hi_u32 v2, s5, v1
	s_add_i32 s26, s26, 4
	s_add_u32 s2, s2, 16
	s_addc_u32 s3, s3, 0
	v_add_u32_e32 v2, v1, v2
	v_lshrrev_b32_e32 v2, s6, v2
	v_mul_lo_u32 v3, v2, s4
	v_mul_hi_u32 v4, s8, v2
	s_cmp_lg_u32 s24, s26
	v_sub_u32_e32 v1, v1, v3
	v_add_u32_e32 v3, v2, v4
	v_lshrrev_b32_e32 v3, s9, v3
	v_mul_lo_u32 v4, v1, s16
	v_mul_hi_u32 v1, s11, v3
	v_mul_lo_u32 v6, v3, s7
	v_add_u32_e32 v1, v3, v1
	v_lshrrev_b32_e32 v5, s12, v1
	v_mul_hi_u32 v1, s14, v5
	v_sub_u32_e32 v2, v2, v6
	v_mul_lo_u32 v6, v5, s10
	v_mul_lo_u32 v2, v2, s17
	v_add_u32_e32 v1, v5, v1
	v_lshrrev_b32_e32 v1, s15, v1
	v_mul_lo_u32 v8, v1, s13
	v_sub_u32_e32 v3, v3, v6
	v_mul_lo_u32 v3, v3, s18
	v_add3_u32 v0, v4, v0, v2
	v_sub_u32_e32 v5, v5, v8
	v_mul_lo_u32 v5, v5, s19
	v_add3_u32 v0, v3, v0, v5
	s_cbranch_scc1 .LBB109_12
; %bb.13:
	s_and_b32 s6, s25, 3
	s_cmp_eq_u32 s6, 0
	s_cbranch_scc0 .LBB109_25
	s_branch .LBB109_27
.LBB109_14:
	s_or_b64 exec, exec, s[40:41]
	v_cmp_gt_i32_e32 vcc, s48, v7
	s_and_saveexec_b64 s[40:41], vcc
	s_cbranch_execz .LBB109_139
.LBB109_15:
	s_andn2_b64 vcc, exec, s[22:23]
	s_cbranch_vccnz .LBB109_22
; %bb.16:
	s_andn2_b64 vcc, exec, s[38:39]
	s_cbranch_vccnz .LBB109_130
; %bb.17:
	s_add_i32 s51, s49, 1
	s_cmp_eq_u32 s46, 2
	s_cbranch_scc1 .LBB109_147
; %bb.18:
	s_and_b32 s50, s51, 28
	s_mov_b32 s52, 0
	v_mov_b32_e32 v0, 0
	s_mov_b64 s[42:43], s[20:21]
	s_mov_b64 s[44:45], s[36:37]
	v_mov_b32_e32 v1, v7
.LBB109_19:                             ; =>This Inner Loop Header: Depth=1
	s_load_dwordx8 s[0:7], s[42:43], 0x4
	s_load_dwordx4 s[12:15], s[42:43], 0x24
	s_load_dwordx4 s[16:19], s[44:45], 0x0
	s_add_u32 s42, s42, 48
	s_addc_u32 s43, s43, 0
	s_waitcnt lgkmcnt(0)
	v_mul_hi_u32 v2, s1, v1
	s_add_i32 s52, s52, 4
	s_add_u32 s44, s44, 16
	s_addc_u32 s45, s45, 0
	v_add_u32_e32 v2, v1, v2
	v_lshrrev_b32_e32 v2, s2, v2
	v_mul_lo_u32 v3, v2, s0
	v_mul_hi_u32 v4, s4, v2
	s_cmp_eq_u32 s50, s52
	v_sub_u32_e32 v1, v1, v3
	v_add_u32_e32 v3, v2, v4
	v_lshrrev_b32_e32 v3, s5, v3
	v_mul_lo_u32 v4, v1, s16
	v_mul_hi_u32 v1, s7, v3
	v_mul_lo_u32 v6, v3, s3
	v_add_u32_e32 v1, v3, v1
	v_lshrrev_b32_e32 v5, s12, v1
	v_mul_hi_u32 v1, s14, v5
	v_sub_u32_e32 v2, v2, v6
	v_mul_lo_u32 v6, v5, s6
	v_mul_lo_u32 v2, v2, s17
	v_add_u32_e32 v1, v5, v1
	v_lshrrev_b32_e32 v1, s15, v1
	v_mul_lo_u32 v8, v1, s13
	v_sub_u32_e32 v3, v3, v6
	v_mul_lo_u32 v3, v3, s18
	v_add3_u32 v0, v4, v0, v2
	v_sub_u32_e32 v5, v5, v8
	v_mul_lo_u32 v5, v5, s19
	v_add3_u32 v0, v3, v0, v5
	s_cbranch_scc0 .LBB109_19
	s_branch .LBB109_148
.LBB109_20:
                                        ; implicit-def: $vgpr0
	s_branch .LBB109_28
.LBB109_21:
                                        ; implicit-def: $vgpr0
	s_branch .LBB109_136
.LBB109_22:
                                        ; implicit-def: $vgpr0
	s_branch .LBB109_152
.LBB109_23:
	v_mov_b32_e32 v0, 0
	s_branch .LBB109_27
.LBB109_24:
	v_mov_b32_e32 v0, 0
	v_mov_b32_e32 v1, v7
	s_and_b32 s6, s25, 3
	s_cmp_eq_u32 s6, 0
	s_cbranch_scc1 .LBB109_27
.LBB109_25:
	s_lshl_b32 s2, s24, 2
	s_add_u32 s2, s20, s2
	s_addc_u32 s3, s21, 0
	s_add_u32 s2, s2, 0xc4
	s_addc_u32 s3, s3, 0
	s_mul_i32 s4, s24, 12
	s_add_u32 s4, s20, s4
	s_addc_u32 s5, s21, 0
.LBB109_26:                             ; =>This Inner Loop Header: Depth=1
	s_waitcnt lgkmcnt(0)
	s_load_dwordx2 s[8:9], s[4:5], 0x4
	s_load_dword s7, s[4:5], 0xc
	s_add_u32 s4, s4, 12
	s_addc_u32 s5, s5, 0
	s_waitcnt lgkmcnt(0)
	v_mul_hi_u32 v2, s9, v1
	s_load_dword s9, s[2:3], 0x0
	s_add_u32 s2, s2, 4
	s_addc_u32 s3, s3, 0
	v_add_u32_e32 v2, v1, v2
	v_lshrrev_b32_e32 v2, s7, v2
	v_mul_lo_u32 v3, v2, s8
	s_add_i32 s6, s6, -1
	s_cmp_lg_u32 s6, 0
	v_sub_u32_e32 v1, v1, v3
	s_waitcnt lgkmcnt(0)
	v_mad_u64_u32 v[0:1], s[8:9], v1, s9, v[0:1]
	v_mov_b32_e32 v1, v2
	s_cbranch_scc1 .LBB109_26
.LBB109_27:
	s_cbranch_execnz .LBB109_30
.LBB109_28:
	s_load_dwordx4 s[4:7], s[20:21], 0x4
	s_load_dword s2, s[20:21], 0xc4
	s_cmp_lt_u32 s33, 2
	s_waitcnt lgkmcnt(0)
	v_mul_hi_u32 v0, s5, v7
	v_add_u32_e32 v0, v7, v0
	v_lshrrev_b32_e32 v1, s6, v0
	v_mul_lo_u32 v0, v1, s4
	v_sub_u32_e32 v0, v7, v0
	v_mul_lo_u32 v0, v0, s2
	s_cbranch_scc1 .LBB109_30
; %bb.29:
	s_load_dwordx4 s[4:7], s[20:21], 0x10
	s_load_dword s2, s[20:21], 0xc8
	s_waitcnt lgkmcnt(0)
	v_mul_hi_u32 v2, s5, v1
	v_add_u32_e32 v2, v1, v2
	v_lshrrev_b32_e32 v2, s6, v2
	v_mul_lo_u32 v2, v2, s4
	v_sub_u32_e32 v1, v1, v2
	v_mad_u64_u32 v[0:1], s[2:3], v1, s2, v[0:1]
.LBB109_30:
	s_and_b64 vcc, exec, s[0:1]
	v_add_u32_e32 v3, 0x80, v7
	s_cbranch_vccnz .LBB109_36
; %bb.31:
	s_cmp_lg_u32 s33, 0
	s_mov_b32 s24, 0
	s_cbranch_scc0 .LBB109_37
; %bb.32:
	s_min_u32 s25, s46, 15
	s_add_i32 s25, s25, 1
	s_cmp_eq_u32 s46, 2
	s_cbranch_scc1 .LBB109_38
; %bb.33:
	s_and_b32 s24, s25, 28
	s_add_u32 s2, s20, 0xc4
	s_addc_u32 s3, s21, 0
	s_waitcnt lgkmcnt(0)
	s_mov_b32 s26, 0
	v_mov_b32_e32 v1, 0
	s_mov_b64 s[22:23], s[20:21]
	v_mov_b32_e32 v2, v3
.LBB109_34:                             ; =>This Inner Loop Header: Depth=1
	s_load_dwordx8 s[4:11], s[22:23], 0x4
	s_load_dwordx4 s[12:15], s[22:23], 0x24
	s_load_dwordx4 s[16:19], s[2:3], 0x0
	s_add_u32 s22, s22, 48
	s_addc_u32 s23, s23, 0
	s_waitcnt lgkmcnt(0)
	v_mul_hi_u32 v4, s5, v2
	s_add_i32 s26, s26, 4
	s_add_u32 s2, s2, 16
	s_addc_u32 s3, s3, 0
	v_add_u32_e32 v4, v2, v4
	v_lshrrev_b32_e32 v4, s6, v4
	v_mul_lo_u32 v5, v4, s4
	v_mul_hi_u32 v6, s8, v4
	s_cmp_lg_u32 s24, s26
	v_sub_u32_e32 v2, v2, v5
	v_add_u32_e32 v5, v4, v6
	v_lshrrev_b32_e32 v5, s9, v5
	v_mul_lo_u32 v6, v2, s16
	v_mul_hi_u32 v2, s11, v5
	v_mul_lo_u32 v10, v5, s7
	v_add_u32_e32 v2, v5, v2
	v_lshrrev_b32_e32 v8, s12, v2
	v_mul_hi_u32 v2, s14, v8
	v_sub_u32_e32 v4, v4, v10
	v_mul_lo_u32 v10, v8, s10
	v_mul_lo_u32 v4, v4, s17
	v_add_u32_e32 v2, v8, v2
	v_lshrrev_b32_e32 v2, s15, v2
	v_mul_lo_u32 v11, v2, s13
	v_sub_u32_e32 v5, v5, v10
	v_mul_lo_u32 v5, v5, s18
	v_add3_u32 v1, v6, v1, v4
	v_sub_u32_e32 v8, v8, v11
	v_mul_lo_u32 v8, v8, s19
	v_add3_u32 v1, v5, v1, v8
	s_cbranch_scc1 .LBB109_34
; %bb.35:
	s_and_b32 s6, s25, 3
	s_cmp_eq_u32 s6, 0
	s_cbranch_scc0 .LBB109_39
	s_branch .LBB109_41
.LBB109_36:
                                        ; implicit-def: $vgpr1
	s_branch .LBB109_42
.LBB109_37:
	v_mov_b32_e32 v1, 0
	s_branch .LBB109_41
.LBB109_38:
	v_mov_b32_e32 v1, 0
	v_mov_b32_e32 v2, v3
	s_and_b32 s6, s25, 3
	s_cmp_eq_u32 s6, 0
	s_cbranch_scc1 .LBB109_41
.LBB109_39:
	s_lshl_b32 s2, s24, 2
	s_add_u32 s2, s20, s2
	s_addc_u32 s3, s21, 0
	s_add_u32 s2, s2, 0xc4
	s_addc_u32 s3, s3, 0
	s_mul_i32 s4, s24, 12
	s_add_u32 s4, s20, s4
	s_addc_u32 s5, s21, 0
.LBB109_40:                             ; =>This Inner Loop Header: Depth=1
	s_waitcnt lgkmcnt(0)
	s_load_dwordx2 s[8:9], s[4:5], 0x4
	s_load_dword s7, s[4:5], 0xc
	s_add_u32 s4, s4, 12
	s_addc_u32 s5, s5, 0
	s_waitcnt lgkmcnt(0)
	v_mul_hi_u32 v4, s9, v2
	s_load_dword s9, s[2:3], 0x0
	s_add_u32 s2, s2, 4
	s_addc_u32 s3, s3, 0
	v_add_u32_e32 v4, v2, v4
	v_lshrrev_b32_e32 v4, s7, v4
	v_mul_lo_u32 v5, v4, s8
	s_add_i32 s6, s6, -1
	s_cmp_lg_u32 s6, 0
	v_sub_u32_e32 v2, v2, v5
	s_waitcnt lgkmcnt(0)
	v_mad_u64_u32 v[1:2], s[8:9], v2, s9, v[1:2]
	v_mov_b32_e32 v2, v4
	s_cbranch_scc1 .LBB109_40
.LBB109_41:
	s_cbranch_execnz .LBB109_44
.LBB109_42:
	s_load_dwordx4 s[4:7], s[20:21], 0x4
	s_load_dword s2, s[20:21], 0xc4
	s_cmp_lt_u32 s33, 2
	s_waitcnt lgkmcnt(0)
	v_mul_hi_u32 v1, s5, v3
	v_add_u32_e32 v1, v3, v1
	v_lshrrev_b32_e32 v2, s6, v1
	v_mul_lo_u32 v1, v2, s4
	v_sub_u32_e32 v1, v3, v1
	v_mul_lo_u32 v1, v1, s2
	s_cbranch_scc1 .LBB109_44
; %bb.43:
	s_load_dwordx4 s[4:7], s[20:21], 0x10
	s_load_dword s2, s[20:21], 0xc8
	s_waitcnt lgkmcnt(0)
	v_mul_hi_u32 v3, s5, v2
	v_add_u32_e32 v3, v2, v3
	v_lshrrev_b32_e32 v3, s6, v3
	v_mul_lo_u32 v3, v3, s4
	v_sub_u32_e32 v2, v2, v3
	v_mad_u64_u32 v[1:2], s[2:3], v2, s2, v[1:2]
.LBB109_44:
	s_and_b64 vcc, exec, s[0:1]
	v_add_u32_e32 v4, 0x100, v7
	s_cbranch_vccnz .LBB109_50
; %bb.45:
	s_cmp_lg_u32 s33, 0
	s_mov_b32 s24, 0
	s_cbranch_scc0 .LBB109_51
; %bb.46:
	s_min_u32 s25, s46, 15
	s_add_i32 s25, s25, 1
	s_cmp_eq_u32 s46, 2
	s_cbranch_scc1 .LBB109_52
; %bb.47:
	s_and_b32 s24, s25, 28
	s_add_u32 s2, s20, 0xc4
	s_addc_u32 s3, s21, 0
	s_waitcnt lgkmcnt(0)
	s_mov_b32 s26, 0
	v_mov_b32_e32 v2, 0
	s_mov_b64 s[22:23], s[20:21]
	v_mov_b32_e32 v3, v4
.LBB109_48:                             ; =>This Inner Loop Header: Depth=1
	s_load_dwordx8 s[4:11], s[22:23], 0x4
	s_load_dwordx4 s[12:15], s[22:23], 0x24
	s_load_dwordx4 s[16:19], s[2:3], 0x0
	s_add_u32 s22, s22, 48
	s_addc_u32 s23, s23, 0
	s_waitcnt lgkmcnt(0)
	v_mul_hi_u32 v5, s5, v3
	s_add_i32 s26, s26, 4
	s_add_u32 s2, s2, 16
	s_addc_u32 s3, s3, 0
	v_add_u32_e32 v5, v3, v5
	v_lshrrev_b32_e32 v5, s6, v5
	v_mul_lo_u32 v6, v5, s4
	v_mul_hi_u32 v8, s8, v5
	s_cmp_lg_u32 s24, s26
	v_sub_u32_e32 v3, v3, v6
	v_add_u32_e32 v6, v5, v8
	v_lshrrev_b32_e32 v6, s9, v6
	v_mul_lo_u32 v8, v3, s16
	v_mul_hi_u32 v3, s11, v6
	v_mul_lo_u32 v11, v6, s7
	v_add_u32_e32 v3, v6, v3
	v_lshrrev_b32_e32 v10, s12, v3
	v_mul_hi_u32 v3, s14, v10
	v_sub_u32_e32 v5, v5, v11
	v_mul_lo_u32 v11, v10, s10
	v_mul_lo_u32 v5, v5, s17
	v_add_u32_e32 v3, v10, v3
	v_lshrrev_b32_e32 v3, s15, v3
	v_mul_lo_u32 v12, v3, s13
	v_sub_u32_e32 v6, v6, v11
	v_mul_lo_u32 v6, v6, s18
	v_add3_u32 v2, v8, v2, v5
	v_sub_u32_e32 v10, v10, v12
	v_mul_lo_u32 v10, v10, s19
	v_add3_u32 v2, v6, v2, v10
	s_cbranch_scc1 .LBB109_48
; %bb.49:
	s_and_b32 s6, s25, 3
	s_cmp_eq_u32 s6, 0
	s_cbranch_scc0 .LBB109_53
	s_branch .LBB109_55
.LBB109_50:
                                        ; implicit-def: $vgpr2
	s_branch .LBB109_56
.LBB109_51:
	v_mov_b32_e32 v2, 0
	s_branch .LBB109_55
.LBB109_52:
	v_mov_b32_e32 v2, 0
	v_mov_b32_e32 v3, v4
	s_and_b32 s6, s25, 3
	s_cmp_eq_u32 s6, 0
	s_cbranch_scc1 .LBB109_55
.LBB109_53:
	s_lshl_b32 s2, s24, 2
	s_add_u32 s2, s20, s2
	s_addc_u32 s3, s21, 0
	s_add_u32 s2, s2, 0xc4
	s_addc_u32 s3, s3, 0
	s_mul_i32 s4, s24, 12
	s_add_u32 s4, s20, s4
	s_addc_u32 s5, s21, 0
.LBB109_54:                             ; =>This Inner Loop Header: Depth=1
	s_waitcnt lgkmcnt(0)
	s_load_dwordx2 s[8:9], s[4:5], 0x4
	s_load_dword s7, s[4:5], 0xc
	s_add_u32 s4, s4, 12
	s_addc_u32 s5, s5, 0
	s_waitcnt lgkmcnt(0)
	v_mul_hi_u32 v5, s9, v3
	s_load_dword s9, s[2:3], 0x0
	s_add_u32 s2, s2, 4
	s_addc_u32 s3, s3, 0
	v_add_u32_e32 v5, v3, v5
	v_lshrrev_b32_e32 v5, s7, v5
	v_mul_lo_u32 v6, v5, s8
	s_add_i32 s6, s6, -1
	s_cmp_lg_u32 s6, 0
	v_sub_u32_e32 v3, v3, v6
	s_waitcnt lgkmcnt(0)
	v_mad_u64_u32 v[2:3], s[8:9], v3, s9, v[2:3]
	v_mov_b32_e32 v3, v5
	s_cbranch_scc1 .LBB109_54
.LBB109_55:
	s_cbranch_execnz .LBB109_58
.LBB109_56:
	s_load_dwordx4 s[4:7], s[20:21], 0x4
	s_load_dword s2, s[20:21], 0xc4
	s_cmp_lt_u32 s33, 2
	s_waitcnt lgkmcnt(0)
	v_mul_hi_u32 v2, s5, v4
	v_add_u32_e32 v2, v4, v2
	v_lshrrev_b32_e32 v3, s6, v2
	v_mul_lo_u32 v2, v3, s4
	v_sub_u32_e32 v2, v4, v2
	v_mul_lo_u32 v2, v2, s2
	s_cbranch_scc1 .LBB109_58
; %bb.57:
	s_load_dwordx4 s[4:7], s[20:21], 0x10
	s_load_dword s2, s[20:21], 0xc8
	s_waitcnt lgkmcnt(0)
	v_mul_hi_u32 v4, s5, v3
	v_add_u32_e32 v4, v3, v4
	v_lshrrev_b32_e32 v4, s6, v4
	v_mul_lo_u32 v4, v4, s4
	v_sub_u32_e32 v3, v3, v4
	v_mad_u64_u32 v[2:3], s[2:3], v3, s2, v[2:3]
.LBB109_58:
	s_and_b64 vcc, exec, s[0:1]
	v_add_u32_e32 v5, 0x180, v7
	s_cbranch_vccnz .LBB109_64
; %bb.59:
	s_cmp_lg_u32 s33, 0
	s_mov_b32 s24, 0
	s_cbranch_scc0 .LBB109_65
; %bb.60:
	s_min_u32 s25, s46, 15
	s_add_i32 s25, s25, 1
	s_cmp_eq_u32 s46, 2
	s_cbranch_scc1 .LBB109_66
; %bb.61:
	s_and_b32 s24, s25, 28
	s_add_u32 s2, s20, 0xc4
	s_addc_u32 s3, s21, 0
	s_waitcnt lgkmcnt(0)
	s_mov_b32 s26, 0
	v_mov_b32_e32 v3, 0
	s_mov_b64 s[22:23], s[20:21]
	v_mov_b32_e32 v4, v5
.LBB109_62:                             ; =>This Inner Loop Header: Depth=1
	s_load_dwordx8 s[4:11], s[22:23], 0x4
	s_load_dwordx4 s[12:15], s[22:23], 0x24
	s_load_dwordx4 s[16:19], s[2:3], 0x0
	s_add_u32 s22, s22, 48
	s_addc_u32 s23, s23, 0
	s_waitcnt lgkmcnt(0)
	v_mul_hi_u32 v6, s5, v4
	s_add_i32 s26, s26, 4
	s_add_u32 s2, s2, 16
	s_addc_u32 s3, s3, 0
	v_add_u32_e32 v6, v4, v6
	v_lshrrev_b32_e32 v6, s6, v6
	v_mul_lo_u32 v8, v6, s4
	v_mul_hi_u32 v10, s8, v6
	s_cmp_lg_u32 s24, s26
	v_sub_u32_e32 v4, v4, v8
	v_add_u32_e32 v8, v6, v10
	v_lshrrev_b32_e32 v8, s9, v8
	v_mul_lo_u32 v10, v4, s16
	v_mul_hi_u32 v4, s11, v8
	v_mul_lo_u32 v12, v8, s7
	v_add_u32_e32 v4, v8, v4
	v_lshrrev_b32_e32 v11, s12, v4
	v_mul_hi_u32 v4, s14, v11
	v_sub_u32_e32 v6, v6, v12
	v_mul_lo_u32 v12, v11, s10
	v_mul_lo_u32 v6, v6, s17
	v_add_u32_e32 v4, v11, v4
	v_lshrrev_b32_e32 v4, s15, v4
	v_mul_lo_u32 v13, v4, s13
	v_sub_u32_e32 v8, v8, v12
	v_mul_lo_u32 v8, v8, s18
	v_add3_u32 v3, v10, v3, v6
	v_sub_u32_e32 v11, v11, v13
	v_mul_lo_u32 v11, v11, s19
	v_add3_u32 v3, v8, v3, v11
	s_cbranch_scc1 .LBB109_62
; %bb.63:
	s_and_b32 s6, s25, 3
	s_cmp_eq_u32 s6, 0
	s_cbranch_scc0 .LBB109_67
	s_branch .LBB109_69
.LBB109_64:
                                        ; implicit-def: $vgpr3
	s_branch .LBB109_70
.LBB109_65:
	v_mov_b32_e32 v3, 0
	s_branch .LBB109_69
.LBB109_66:
	v_mov_b32_e32 v3, 0
	v_mov_b32_e32 v4, v5
	s_and_b32 s6, s25, 3
	s_cmp_eq_u32 s6, 0
	s_cbranch_scc1 .LBB109_69
.LBB109_67:
	s_lshl_b32 s2, s24, 2
	s_add_u32 s2, s20, s2
	s_addc_u32 s3, s21, 0
	s_add_u32 s2, s2, 0xc4
	s_addc_u32 s3, s3, 0
	s_mul_i32 s4, s24, 12
	s_add_u32 s4, s20, s4
	s_addc_u32 s5, s21, 0
.LBB109_68:                             ; =>This Inner Loop Header: Depth=1
	s_waitcnt lgkmcnt(0)
	s_load_dwordx2 s[8:9], s[4:5], 0x4
	s_load_dword s7, s[4:5], 0xc
	s_add_u32 s4, s4, 12
	s_addc_u32 s5, s5, 0
	s_waitcnt lgkmcnt(0)
	v_mul_hi_u32 v6, s9, v4
	s_load_dword s9, s[2:3], 0x0
	s_add_u32 s2, s2, 4
	s_addc_u32 s3, s3, 0
	v_add_u32_e32 v6, v4, v6
	v_lshrrev_b32_e32 v6, s7, v6
	v_mul_lo_u32 v8, v6, s8
	s_add_i32 s6, s6, -1
	s_cmp_lg_u32 s6, 0
	v_sub_u32_e32 v4, v4, v8
	s_waitcnt lgkmcnt(0)
	v_mad_u64_u32 v[3:4], s[8:9], v4, s9, v[3:4]
	v_mov_b32_e32 v4, v6
	s_cbranch_scc1 .LBB109_68
.LBB109_69:
	s_cbranch_execnz .LBB109_72
.LBB109_70:
	s_load_dwordx4 s[4:7], s[20:21], 0x4
	s_load_dword s2, s[20:21], 0xc4
	s_cmp_lt_u32 s33, 2
	s_waitcnt lgkmcnt(0)
	v_mul_hi_u32 v3, s5, v5
	v_add_u32_e32 v3, v5, v3
	v_lshrrev_b32_e32 v4, s6, v3
	v_mul_lo_u32 v3, v4, s4
	v_sub_u32_e32 v3, v5, v3
	v_mul_lo_u32 v3, v3, s2
	s_cbranch_scc1 .LBB109_72
; %bb.71:
	s_load_dwordx4 s[4:7], s[20:21], 0x10
	s_load_dword s2, s[20:21], 0xc8
	s_waitcnt lgkmcnt(0)
	v_mul_hi_u32 v5, s5, v4
	v_add_u32_e32 v5, v4, v5
	v_lshrrev_b32_e32 v5, s6, v5
	v_mul_lo_u32 v5, v5, s4
	v_sub_u32_e32 v4, v4, v5
	v_mad_u64_u32 v[3:4], s[2:3], v4, s2, v[3:4]
.LBB109_72:
	s_and_b64 vcc, exec, s[0:1]
	v_add_u32_e32 v6, 0x200, v7
	s_cbranch_vccnz .LBB109_78
; %bb.73:
	s_cmp_lg_u32 s33, 0
	s_mov_b32 s24, 0
	s_cbranch_scc0 .LBB109_79
; %bb.74:
	s_min_u32 s25, s46, 15
	s_add_i32 s25, s25, 1
	s_cmp_eq_u32 s46, 2
	s_cbranch_scc1 .LBB109_80
; %bb.75:
	s_and_b32 s24, s25, 28
	s_add_u32 s2, s20, 0xc4
	s_addc_u32 s3, s21, 0
	s_waitcnt lgkmcnt(0)
	s_mov_b32 s26, 0
	v_mov_b32_e32 v4, 0
	s_mov_b64 s[22:23], s[20:21]
	v_mov_b32_e32 v5, v6
.LBB109_76:                             ; =>This Inner Loop Header: Depth=1
	s_load_dwordx8 s[4:11], s[22:23], 0x4
	s_load_dwordx4 s[12:15], s[22:23], 0x24
	s_load_dwordx4 s[16:19], s[2:3], 0x0
	s_add_u32 s22, s22, 48
	s_addc_u32 s23, s23, 0
	s_waitcnt lgkmcnt(0)
	v_mul_hi_u32 v8, s5, v5
	s_add_i32 s26, s26, 4
	s_add_u32 s2, s2, 16
	s_addc_u32 s3, s3, 0
	v_add_u32_e32 v8, v5, v8
	v_lshrrev_b32_e32 v8, s6, v8
	v_mul_lo_u32 v10, v8, s4
	v_mul_hi_u32 v11, s8, v8
	s_cmp_lg_u32 s24, s26
	v_sub_u32_e32 v5, v5, v10
	v_add_u32_e32 v10, v8, v11
	v_lshrrev_b32_e32 v10, s9, v10
	v_mul_lo_u32 v11, v5, s16
	v_mul_hi_u32 v5, s11, v10
	v_mul_lo_u32 v13, v10, s7
	v_add_u32_e32 v5, v10, v5
	v_lshrrev_b32_e32 v12, s12, v5
	v_mul_hi_u32 v5, s14, v12
	v_sub_u32_e32 v8, v8, v13
	v_mul_lo_u32 v13, v12, s10
	v_mul_lo_u32 v8, v8, s17
	v_add_u32_e32 v5, v12, v5
	v_lshrrev_b32_e32 v5, s15, v5
	v_mul_lo_u32 v14, v5, s13
	v_sub_u32_e32 v10, v10, v13
	v_mul_lo_u32 v10, v10, s18
	v_add3_u32 v4, v11, v4, v8
	v_sub_u32_e32 v12, v12, v14
	v_mul_lo_u32 v12, v12, s19
	v_add3_u32 v4, v10, v4, v12
	s_cbranch_scc1 .LBB109_76
; %bb.77:
	s_and_b32 s6, s25, 3
	s_cmp_eq_u32 s6, 0
	s_cbranch_scc0 .LBB109_81
	s_branch .LBB109_83
.LBB109_78:
                                        ; implicit-def: $vgpr4
	s_branch .LBB109_84
.LBB109_79:
	v_mov_b32_e32 v4, 0
	s_branch .LBB109_83
.LBB109_80:
	v_mov_b32_e32 v4, 0
	v_mov_b32_e32 v5, v6
	s_and_b32 s6, s25, 3
	s_cmp_eq_u32 s6, 0
	s_cbranch_scc1 .LBB109_83
.LBB109_81:
	s_lshl_b32 s2, s24, 2
	s_add_u32 s2, s20, s2
	s_addc_u32 s3, s21, 0
	s_add_u32 s2, s2, 0xc4
	s_addc_u32 s3, s3, 0
	s_mul_i32 s4, s24, 12
	s_add_u32 s4, s20, s4
	s_addc_u32 s5, s21, 0
.LBB109_82:                             ; =>This Inner Loop Header: Depth=1
	s_waitcnt lgkmcnt(0)
	s_load_dwordx2 s[8:9], s[4:5], 0x4
	s_load_dword s7, s[4:5], 0xc
	s_add_u32 s4, s4, 12
	s_addc_u32 s5, s5, 0
	s_waitcnt lgkmcnt(0)
	v_mul_hi_u32 v8, s9, v5
	s_load_dword s9, s[2:3], 0x0
	s_add_u32 s2, s2, 4
	s_addc_u32 s3, s3, 0
	v_add_u32_e32 v8, v5, v8
	v_lshrrev_b32_e32 v8, s7, v8
	v_mul_lo_u32 v10, v8, s8
	s_add_i32 s6, s6, -1
	s_cmp_lg_u32 s6, 0
	v_sub_u32_e32 v5, v5, v10
	s_waitcnt lgkmcnt(0)
	v_mad_u64_u32 v[4:5], s[8:9], v5, s9, v[4:5]
	v_mov_b32_e32 v5, v8
	s_cbranch_scc1 .LBB109_82
.LBB109_83:
	s_cbranch_execnz .LBB109_86
.LBB109_84:
	s_load_dwordx4 s[4:7], s[20:21], 0x4
	s_load_dword s2, s[20:21], 0xc4
	s_cmp_lt_u32 s33, 2
	s_waitcnt lgkmcnt(0)
	v_mul_hi_u32 v4, s5, v6
	v_add_u32_e32 v4, v6, v4
	v_lshrrev_b32_e32 v5, s6, v4
	v_mul_lo_u32 v4, v5, s4
	v_sub_u32_e32 v4, v6, v4
	v_mul_lo_u32 v4, v4, s2
	s_cbranch_scc1 .LBB109_86
; %bb.85:
	s_load_dwordx4 s[4:7], s[20:21], 0x10
	s_load_dword s2, s[20:21], 0xc8
	s_waitcnt lgkmcnt(0)
	v_mul_hi_u32 v6, s5, v5
	v_add_u32_e32 v6, v5, v6
	v_lshrrev_b32_e32 v6, s6, v6
	v_mul_lo_u32 v6, v6, s4
	v_sub_u32_e32 v5, v5, v6
	v_mad_u64_u32 v[4:5], s[2:3], v5, s2, v[4:5]
.LBB109_86:
	s_and_b64 vcc, exec, s[0:1]
	v_add_u32_e32 v8, 0x280, v7
	s_cbranch_vccnz .LBB109_92
; %bb.87:
	s_cmp_lg_u32 s33, 0
	s_mov_b32 s24, 0
	s_cbranch_scc0 .LBB109_93
; %bb.88:
	s_min_u32 s25, s46, 15
	s_add_i32 s25, s25, 1
	s_cmp_eq_u32 s46, 2
	s_cbranch_scc1 .LBB109_94
; %bb.89:
	s_and_b32 s24, s25, 28
	s_add_u32 s2, s20, 0xc4
	s_addc_u32 s3, s21, 0
	s_waitcnt lgkmcnt(0)
	s_mov_b32 s26, 0
	v_mov_b32_e32 v5, 0
	s_mov_b64 s[22:23], s[20:21]
	v_mov_b32_e32 v6, v8
.LBB109_90:                             ; =>This Inner Loop Header: Depth=1
	s_load_dwordx8 s[4:11], s[22:23], 0x4
	s_load_dwordx4 s[12:15], s[22:23], 0x24
	s_load_dwordx4 s[16:19], s[2:3], 0x0
	s_add_u32 s22, s22, 48
	s_addc_u32 s23, s23, 0
	s_waitcnt lgkmcnt(0)
	v_mul_hi_u32 v10, s5, v6
	s_add_i32 s26, s26, 4
	s_add_u32 s2, s2, 16
	s_addc_u32 s3, s3, 0
	v_add_u32_e32 v10, v6, v10
	v_lshrrev_b32_e32 v10, s6, v10
	v_mul_lo_u32 v11, v10, s4
	v_mul_hi_u32 v12, s8, v10
	s_cmp_lg_u32 s24, s26
	v_sub_u32_e32 v6, v6, v11
	v_add_u32_e32 v11, v10, v12
	v_lshrrev_b32_e32 v11, s9, v11
	v_mul_lo_u32 v12, v6, s16
	v_mul_hi_u32 v6, s11, v11
	v_mul_lo_u32 v14, v11, s7
	v_add_u32_e32 v6, v11, v6
	v_lshrrev_b32_e32 v13, s12, v6
	v_mul_hi_u32 v6, s14, v13
	v_sub_u32_e32 v10, v10, v14
	v_mul_lo_u32 v14, v13, s10
	v_mul_lo_u32 v10, v10, s17
	v_add_u32_e32 v6, v13, v6
	v_lshrrev_b32_e32 v6, s15, v6
	v_mul_lo_u32 v15, v6, s13
	v_sub_u32_e32 v11, v11, v14
	v_mul_lo_u32 v11, v11, s18
	v_add3_u32 v5, v12, v5, v10
	v_sub_u32_e32 v13, v13, v15
	v_mul_lo_u32 v13, v13, s19
	v_add3_u32 v5, v11, v5, v13
	s_cbranch_scc1 .LBB109_90
; %bb.91:
	s_and_b32 s6, s25, 3
	s_cmp_eq_u32 s6, 0
	s_cbranch_scc0 .LBB109_95
	s_branch .LBB109_97
.LBB109_92:
                                        ; implicit-def: $vgpr5
	s_branch .LBB109_98
.LBB109_93:
	v_mov_b32_e32 v5, 0
	s_branch .LBB109_97
.LBB109_94:
	v_mov_b32_e32 v5, 0
	v_mov_b32_e32 v6, v8
	s_and_b32 s6, s25, 3
	s_cmp_eq_u32 s6, 0
	s_cbranch_scc1 .LBB109_97
.LBB109_95:
	s_lshl_b32 s2, s24, 2
	s_add_u32 s2, s20, s2
	s_addc_u32 s3, s21, 0
	s_add_u32 s2, s2, 0xc4
	s_addc_u32 s3, s3, 0
	s_mul_i32 s4, s24, 12
	s_add_u32 s4, s20, s4
	s_addc_u32 s5, s21, 0
.LBB109_96:                             ; =>This Inner Loop Header: Depth=1
	s_waitcnt lgkmcnt(0)
	s_load_dwordx2 s[8:9], s[4:5], 0x4
	s_load_dword s7, s[4:5], 0xc
	s_add_u32 s4, s4, 12
	s_addc_u32 s5, s5, 0
	s_waitcnt lgkmcnt(0)
	v_mul_hi_u32 v10, s9, v6
	s_load_dword s9, s[2:3], 0x0
	s_add_u32 s2, s2, 4
	s_addc_u32 s3, s3, 0
	v_add_u32_e32 v10, v6, v10
	v_lshrrev_b32_e32 v10, s7, v10
	v_mul_lo_u32 v11, v10, s8
	s_add_i32 s6, s6, -1
	s_cmp_lg_u32 s6, 0
	v_sub_u32_e32 v6, v6, v11
	s_waitcnt lgkmcnt(0)
	v_mad_u64_u32 v[5:6], s[8:9], v6, s9, v[5:6]
	v_mov_b32_e32 v6, v10
	s_cbranch_scc1 .LBB109_96
.LBB109_97:
	s_cbranch_execnz .LBB109_100
.LBB109_98:
	s_load_dwordx4 s[4:7], s[20:21], 0x4
	s_load_dword s2, s[20:21], 0xc4
	s_cmp_lt_u32 s33, 2
	s_waitcnt lgkmcnt(0)
	v_mul_hi_u32 v5, s5, v8
	v_add_u32_e32 v5, v8, v5
	v_lshrrev_b32_e32 v6, s6, v5
	v_mul_lo_u32 v5, v6, s4
	v_sub_u32_e32 v5, v8, v5
	v_mul_lo_u32 v5, v5, s2
	s_cbranch_scc1 .LBB109_100
; %bb.99:
	s_load_dwordx4 s[4:7], s[20:21], 0x10
	s_load_dword s2, s[20:21], 0xc8
	s_waitcnt lgkmcnt(0)
	v_mul_hi_u32 v8, s5, v6
	v_add_u32_e32 v8, v6, v8
	v_lshrrev_b32_e32 v8, s6, v8
	v_mul_lo_u32 v8, v8, s4
	v_sub_u32_e32 v6, v6, v8
	v_mad_u64_u32 v[5:6], s[2:3], v6, s2, v[5:6]
.LBB109_100:
	s_and_b64 vcc, exec, s[0:1]
	v_add_u32_e32 v8, 0x300, v7
	s_cbranch_vccnz .LBB109_106
; %bb.101:
	s_cmp_lg_u32 s33, 0
	s_mov_b32 s24, 0
	s_cbranch_scc0 .LBB109_107
; %bb.102:
	s_min_u32 s25, s46, 15
	s_add_i32 s25, s25, 1
	s_cmp_eq_u32 s46, 2
	s_cbranch_scc1 .LBB109_108
; %bb.103:
	s_and_b32 s24, s25, 28
	s_add_u32 s2, s20, 0xc4
	s_addc_u32 s3, s21, 0
	s_waitcnt lgkmcnt(0)
	s_mov_b32 s26, 0
	v_mov_b32_e32 v6, 0
	s_mov_b64 s[22:23], s[20:21]
	v_mov_b32_e32 v7, v8
.LBB109_104:                            ; =>This Inner Loop Header: Depth=1
	s_load_dwordx8 s[4:11], s[22:23], 0x4
	s_load_dwordx4 s[12:15], s[22:23], 0x24
	s_load_dwordx4 s[16:19], s[2:3], 0x0
	s_add_u32 s22, s22, 48
	s_addc_u32 s23, s23, 0
	s_waitcnt lgkmcnt(0)
	v_mul_hi_u32 v10, s5, v7
	s_add_i32 s26, s26, 4
	s_add_u32 s2, s2, 16
	s_addc_u32 s3, s3, 0
	v_add_u32_e32 v10, v7, v10
	v_lshrrev_b32_e32 v10, s6, v10
	v_mul_lo_u32 v11, v10, s4
	v_mul_hi_u32 v12, s8, v10
	s_cmp_lg_u32 s24, s26
	v_sub_u32_e32 v7, v7, v11
	v_add_u32_e32 v11, v10, v12
	v_lshrrev_b32_e32 v11, s9, v11
	v_mul_lo_u32 v12, v7, s16
	v_mul_hi_u32 v7, s11, v11
	v_mul_lo_u32 v14, v11, s7
	v_add_u32_e32 v7, v11, v7
	v_lshrrev_b32_e32 v13, s12, v7
	v_mul_hi_u32 v7, s14, v13
	v_sub_u32_e32 v10, v10, v14
	v_mul_lo_u32 v14, v13, s10
	v_mul_lo_u32 v10, v10, s17
	v_add_u32_e32 v7, v13, v7
	v_lshrrev_b32_e32 v7, s15, v7
	v_mul_lo_u32 v15, v7, s13
	v_sub_u32_e32 v11, v11, v14
	v_mul_lo_u32 v11, v11, s18
	v_add3_u32 v6, v12, v6, v10
	v_sub_u32_e32 v13, v13, v15
	v_mul_lo_u32 v13, v13, s19
	v_add3_u32 v6, v11, v6, v13
	s_cbranch_scc1 .LBB109_104
; %bb.105:
	s_and_b32 s6, s25, 3
	s_cmp_eq_u32 s6, 0
	s_cbranch_scc0 .LBB109_109
	s_branch .LBB109_111
.LBB109_106:
                                        ; implicit-def: $vgpr6
	s_branch .LBB109_112
.LBB109_107:
	v_mov_b32_e32 v6, 0
	s_branch .LBB109_111
.LBB109_108:
	v_mov_b32_e32 v6, 0
	v_mov_b32_e32 v7, v8
	s_and_b32 s6, s25, 3
	s_cmp_eq_u32 s6, 0
	s_cbranch_scc1 .LBB109_111
.LBB109_109:
	s_lshl_b32 s2, s24, 2
	s_add_u32 s2, s20, s2
	s_addc_u32 s3, s21, 0
	s_add_u32 s2, s2, 0xc4
	s_addc_u32 s3, s3, 0
	s_mul_i32 s4, s24, 12
	s_add_u32 s4, s20, s4
	s_addc_u32 s5, s21, 0
.LBB109_110:                            ; =>This Inner Loop Header: Depth=1
	s_waitcnt lgkmcnt(0)
	s_load_dwordx2 s[8:9], s[4:5], 0x4
	s_load_dword s7, s[4:5], 0xc
	s_add_u32 s4, s4, 12
	s_addc_u32 s5, s5, 0
	s_waitcnt lgkmcnt(0)
	v_mul_hi_u32 v10, s9, v7
	s_load_dword s9, s[2:3], 0x0
	s_add_u32 s2, s2, 4
	s_addc_u32 s3, s3, 0
	v_add_u32_e32 v10, v7, v10
	v_lshrrev_b32_e32 v10, s7, v10
	v_mul_lo_u32 v11, v10, s8
	s_add_i32 s6, s6, -1
	s_cmp_lg_u32 s6, 0
	v_sub_u32_e32 v7, v7, v11
	s_waitcnt lgkmcnt(0)
	v_mad_u64_u32 v[6:7], s[8:9], v7, s9, v[6:7]
	v_mov_b32_e32 v7, v10
	s_cbranch_scc1 .LBB109_110
.LBB109_111:
	s_cbranch_execnz .LBB109_114
.LBB109_112:
	s_load_dwordx4 s[4:7], s[20:21], 0x4
	s_load_dword s2, s[20:21], 0xc4
	s_cmp_lt_u32 s33, 2
	s_waitcnt lgkmcnt(0)
	v_mul_hi_u32 v6, s5, v8
	v_add_u32_e32 v6, v8, v6
	v_lshrrev_b32_e32 v7, s6, v6
	v_mul_lo_u32 v6, v7, s4
	v_sub_u32_e32 v6, v8, v6
	v_mul_lo_u32 v6, v6, s2
	s_cbranch_scc1 .LBB109_114
; %bb.113:
	s_load_dwordx4 s[4:7], s[20:21], 0x10
	s_load_dword s2, s[20:21], 0xc8
	s_waitcnt lgkmcnt(0)
	v_mul_hi_u32 v8, s5, v7
	v_add_u32_e32 v8, v7, v8
	v_lshrrev_b32_e32 v8, s6, v8
	v_mul_lo_u32 v8, v8, s4
	v_sub_u32_e32 v7, v7, v8
	v_mad_u64_u32 v[6:7], s[2:3], v7, s2, v[6:7]
.LBB109_114:
	s_and_b64 vcc, exec, s[0:1]
	s_cbranch_vccnz .LBB109_120
; %bb.115:
	s_cmp_lg_u32 s33, 0
	s_mov_b32 s22, 0
	s_cbranch_scc0 .LBB109_121
; %bb.116:
	s_min_u32 s23, s46, 15
	s_add_i32 s23, s23, 1
	s_cmp_eq_u32 s46, 2
	s_cbranch_scc1 .LBB109_122
; %bb.117:
	s_and_b32 s22, s23, 28
	s_add_u32 s16, s20, 0xc4
	s_addc_u32 s17, s21, 0
	s_mov_b32 s24, 0
	v_mov_b32_e32 v7, 0
	s_mov_b64 s[18:19], s[20:21]
	v_mov_b32_e32 v8, v9
.LBB109_118:                            ; =>This Inner Loop Header: Depth=1
	s_load_dwordx8 s[0:7], s[18:19], 0x4
	s_waitcnt lgkmcnt(0)
	s_load_dwordx4 s[8:11], s[18:19], 0x24
	s_load_dwordx4 s[12:15], s[16:17], 0x0
	s_add_u32 s18, s18, 48
	s_addc_u32 s19, s19, 0
	v_mul_hi_u32 v10, s1, v8
	s_add_i32 s24, s24, 4
	s_add_u32 s16, s16, 16
	s_addc_u32 s17, s17, 0
	v_add_u32_e32 v10, v8, v10
	v_lshrrev_b32_e32 v10, s2, v10
	v_mul_lo_u32 v11, v10, s0
	v_mul_hi_u32 v12, s4, v10
	s_cmp_lg_u32 s22, s24
	v_sub_u32_e32 v8, v8, v11
	v_add_u32_e32 v11, v10, v12
	v_lshrrev_b32_e32 v11, s5, v11
	s_waitcnt lgkmcnt(0)
	v_mul_lo_u32 v12, v8, s12
	v_mul_hi_u32 v8, s7, v11
	v_mul_lo_u32 v14, v11, s3
	v_add_u32_e32 v8, v11, v8
	v_lshrrev_b32_e32 v13, s8, v8
	v_mul_hi_u32 v8, s10, v13
	v_sub_u32_e32 v10, v10, v14
	v_mul_lo_u32 v14, v13, s6
	v_mul_lo_u32 v10, v10, s13
	v_add_u32_e32 v8, v13, v8
	v_lshrrev_b32_e32 v8, s11, v8
	v_mul_lo_u32 v15, v8, s9
	v_sub_u32_e32 v11, v11, v14
	v_mul_lo_u32 v11, v11, s14
	v_add3_u32 v7, v12, v7, v10
	v_sub_u32_e32 v13, v13, v15
	v_mul_lo_u32 v13, v13, s15
	v_add3_u32 v7, v11, v7, v13
	s_cbranch_scc1 .LBB109_118
; %bb.119:
	s_and_b32 s4, s23, 3
	s_cmp_eq_u32 s4, 0
	s_cbranch_scc0 .LBB109_123
	s_branch .LBB109_125
.LBB109_120:
                                        ; implicit-def: $vgpr7
	s_branch .LBB109_126
.LBB109_121:
	v_mov_b32_e32 v7, 0
	s_branch .LBB109_125
.LBB109_122:
	v_mov_b32_e32 v7, 0
	v_mov_b32_e32 v8, v9
	s_and_b32 s4, s23, 3
	s_cmp_eq_u32 s4, 0
	s_cbranch_scc1 .LBB109_125
.LBB109_123:
	s_lshl_b32 s0, s22, 2
	s_add_u32 s0, s20, s0
	s_addc_u32 s1, s21, 0
	s_add_u32 s0, s0, 0xc4
	s_addc_u32 s1, s1, 0
	s_mul_i32 s2, s22, 12
	s_add_u32 s2, s20, s2
	s_addc_u32 s3, s21, 0
.LBB109_124:                            ; =>This Inner Loop Header: Depth=1
	s_load_dwordx2 s[6:7], s[2:3], 0x4
	s_load_dword s5, s[2:3], 0xc
	s_add_u32 s2, s2, 12
	s_addc_u32 s3, s3, 0
	s_waitcnt lgkmcnt(0)
	v_mul_hi_u32 v10, s7, v8
	s_load_dword s7, s[0:1], 0x0
	s_add_u32 s0, s0, 4
	s_addc_u32 s1, s1, 0
	v_add_u32_e32 v10, v8, v10
	v_lshrrev_b32_e32 v10, s5, v10
	v_mul_lo_u32 v11, v10, s6
	s_add_i32 s4, s4, -1
	s_cmp_lg_u32 s4, 0
	v_sub_u32_e32 v8, v8, v11
	s_waitcnt lgkmcnt(0)
	v_mad_u64_u32 v[7:8], s[6:7], v8, s7, v[7:8]
	v_mov_b32_e32 v8, v10
	s_cbranch_scc1 .LBB109_124
.LBB109_125:
	s_cbranch_execnz .LBB109_128
.LBB109_126:
	s_load_dwordx4 s[0:3], s[20:21], 0x4
	s_waitcnt lgkmcnt(0)
	s_load_dword s3, s[20:21], 0xc4
	s_cmp_lt_u32 s33, 2
	v_mul_hi_u32 v7, s1, v9
	v_add_u32_e32 v7, v9, v7
	v_lshrrev_b32_e32 v8, s2, v7
	v_mul_lo_u32 v7, v8, s0
	v_sub_u32_e32 v7, v9, v7
	s_waitcnt lgkmcnt(0)
	v_mul_lo_u32 v7, v7, s3
	s_cbranch_scc1 .LBB109_128
; %bb.127:
	s_load_dwordx4 s[0:3], s[20:21], 0x10
	s_waitcnt lgkmcnt(0)
	s_load_dword s3, s[20:21], 0xc8
	v_mul_hi_u32 v9, s1, v8
	v_add_u32_e32 v9, v8, v9
	v_lshrrev_b32_e32 v9, s2, v9
	v_mul_lo_u32 v9, v9, s0
	v_sub_u32_e32 v8, v8, v9
	s_waitcnt lgkmcnt(0)
	v_mad_u64_u32 v[7:8], s[0:1], v8, s3, v[7:8]
.LBB109_128:
	s_load_dword s2, s[20:21], 0x110
	s_load_dwordx2 s[0:1], s[20:21], 0x108
	s_waitcnt lgkmcnt(0)
	v_mov_b32_e32 v8, s2
	s_nop 0
	global_store_short v0, v8, s[0:1]
	global_store_short v1, v8, s[0:1]
	global_store_short v2, v8, s[0:1]
	global_store_short v3, v8, s[0:1]
	global_store_short v4, v8, s[0:1]
	global_store_short v5, v8, s[0:1]
	global_store_short v6, v8, s[0:1]
	global_store_short v7, v8, s[0:1]
	s_endpgm
.LBB109_129:
	v_mov_b32_e32 v0, 0
	s_branch .LBB109_135
.LBB109_130:
	v_mov_b32_e32 v0, 0
	s_branch .LBB109_151
.LBB109_131:
	v_mov_b32_e32 v0, 0
	s_mov_b32 s50, 0
	v_mov_b32_e32 v1, v7
.LBB109_132:
	s_and_b32 s4, s51, 3
	s_cmp_eq_u32 s4, 0
	s_cbranch_scc1 .LBB109_135
; %bb.133:
	s_lshl_b32 s0, s50, 2
	s_add_u32 s0, s20, s0
	s_addc_u32 s1, s21, 0
	s_add_u32 s0, s0, 0xc4
	s_addc_u32 s1, s1, 0
	s_mul_i32 s2, s50, 12
	s_add_u32 s2, s20, s2
	s_addc_u32 s3, s21, 0
.LBB109_134:                            ; =>This Inner Loop Header: Depth=1
	s_load_dwordx2 s[6:7], s[2:3], 0x4
	s_load_dword s5, s[2:3], 0xc
	s_add_u32 s2, s2, 12
	s_addc_u32 s3, s3, 0
	s_waitcnt lgkmcnt(0)
	v_mul_hi_u32 v2, s7, v1
	s_load_dword s7, s[0:1], 0x0
	s_add_u32 s0, s0, 4
	s_addc_u32 s1, s1, 0
	v_add_u32_e32 v2, v1, v2
	v_lshrrev_b32_e32 v2, s5, v2
	v_mul_lo_u32 v3, v2, s6
	s_add_i32 s4, s4, -1
	s_cmp_lg_u32 s4, 0
	v_sub_u32_e32 v1, v1, v3
	s_waitcnt lgkmcnt(0)
	v_mad_u64_u32 v[0:1], s[6:7], v1, s7, v[0:1]
	v_mov_b32_e32 v1, v2
	s_cbranch_scc1 .LBB109_134
.LBB109_135:
	s_cbranch_execnz .LBB109_138
.LBB109_136:
	s_waitcnt lgkmcnt(0)
	v_mul_hi_u32 v0, s9, v7
	s_andn2_b64 vcc, exec, s[34:35]
	v_add_u32_e32 v0, v7, v0
	v_lshrrev_b32_e32 v1, s10, v0
	v_mul_lo_u32 v0, v1, s8
	v_sub_u32_e32 v0, v7, v0
	v_mul_lo_u32 v0, v0, s28
	s_cbranch_vccnz .LBB109_138
; %bb.137:
	v_mul_hi_u32 v2, s30, v1
	v_add_u32_e32 v2, v1, v2
	v_lshrrev_b32_e32 v2, s31, v2
	v_mul_lo_u32 v2, v2, s11
	v_sub_u32_e32 v1, v1, v2
	v_mad_u64_u32 v[0:1], s[0:1], v1, s29, v[0:1]
.LBB109_138:
	s_waitcnt lgkmcnt(0)
	v_mov_b32_e32 v1, s47
	v_add_u32_e32 v7, 0x80, v7
	global_store_short v0, v1, s[26:27]
	s_or_b64 exec, exec, s[40:41]
	v_cmp_gt_i32_e32 vcc, s48, v7
	s_and_saveexec_b64 s[40:41], vcc
	s_cbranch_execnz .LBB109_15
.LBB109_139:
	s_or_b64 exec, exec, s[40:41]
	v_cmp_gt_i32_e32 vcc, s48, v7
	s_and_saveexec_b64 s[40:41], vcc
	s_cbranch_execz .LBB109_155
.LBB109_140:
	s_andn2_b64 vcc, exec, s[22:23]
	s_cbranch_vccnz .LBB109_145
; %bb.141:
	s_andn2_b64 vcc, exec, s[38:39]
	s_cbranch_vccnz .LBB109_146
; %bb.142:
	s_add_i32 s51, s49, 1
	s_cmp_eq_u32 s46, 2
	s_cbranch_scc1 .LBB109_163
; %bb.143:
	s_and_b32 s50, s51, 28
	s_mov_b32 s52, 0
	v_mov_b32_e32 v0, 0
	s_mov_b64 s[42:43], s[20:21]
	s_mov_b64 s[44:45], s[36:37]
	v_mov_b32_e32 v1, v7
.LBB109_144:                            ; =>This Inner Loop Header: Depth=1
	s_load_dwordx8 s[0:7], s[42:43], 0x4
	s_load_dwordx4 s[12:15], s[42:43], 0x24
	s_load_dwordx4 s[16:19], s[44:45], 0x0
	s_add_u32 s42, s42, 48
	s_addc_u32 s43, s43, 0
	s_waitcnt lgkmcnt(0)
	v_mul_hi_u32 v2, s1, v1
	s_add_i32 s52, s52, 4
	s_add_u32 s44, s44, 16
	s_addc_u32 s45, s45, 0
	v_add_u32_e32 v2, v1, v2
	v_lshrrev_b32_e32 v2, s2, v2
	v_mul_lo_u32 v3, v2, s0
	v_mul_hi_u32 v4, s4, v2
	s_cmp_eq_u32 s50, s52
	v_sub_u32_e32 v1, v1, v3
	v_add_u32_e32 v3, v2, v4
	v_lshrrev_b32_e32 v3, s5, v3
	v_mul_lo_u32 v4, v1, s16
	v_mul_hi_u32 v1, s7, v3
	v_mul_lo_u32 v6, v3, s3
	v_add_u32_e32 v1, v3, v1
	v_lshrrev_b32_e32 v5, s12, v1
	v_mul_hi_u32 v1, s14, v5
	v_sub_u32_e32 v2, v2, v6
	v_mul_lo_u32 v6, v5, s6
	v_mul_lo_u32 v2, v2, s17
	v_add_u32_e32 v1, v5, v1
	v_lshrrev_b32_e32 v1, s15, v1
	v_mul_lo_u32 v8, v1, s13
	v_sub_u32_e32 v3, v3, v6
	v_mul_lo_u32 v3, v3, s18
	v_add3_u32 v0, v4, v0, v2
	v_sub_u32_e32 v5, v5, v8
	v_mul_lo_u32 v5, v5, s19
	v_add3_u32 v0, v3, v0, v5
	s_cbranch_scc0 .LBB109_144
	s_branch .LBB109_164
.LBB109_145:
                                        ; implicit-def: $vgpr0
	s_branch .LBB109_168
.LBB109_146:
	v_mov_b32_e32 v0, 0
	s_branch .LBB109_167
.LBB109_147:
	v_mov_b32_e32 v0, 0
	s_mov_b32 s50, 0
	v_mov_b32_e32 v1, v7
.LBB109_148:
	s_and_b32 s4, s51, 3
	s_cmp_eq_u32 s4, 0
	s_cbranch_scc1 .LBB109_151
; %bb.149:
	s_lshl_b32 s0, s50, 2
	s_add_u32 s0, s20, s0
	s_addc_u32 s1, s21, 0
	s_add_u32 s0, s0, 0xc4
	s_addc_u32 s1, s1, 0
	s_mul_i32 s2, s50, 12
	s_add_u32 s2, s20, s2
	s_addc_u32 s3, s21, 0
.LBB109_150:                            ; =>This Inner Loop Header: Depth=1
	s_load_dwordx2 s[6:7], s[2:3], 0x4
	s_load_dword s5, s[2:3], 0xc
	s_add_u32 s2, s2, 12
	s_addc_u32 s3, s3, 0
	s_waitcnt lgkmcnt(0)
	v_mul_hi_u32 v2, s7, v1
	s_load_dword s7, s[0:1], 0x0
	s_add_u32 s0, s0, 4
	s_addc_u32 s1, s1, 0
	v_add_u32_e32 v2, v1, v2
	v_lshrrev_b32_e32 v2, s5, v2
	v_mul_lo_u32 v3, v2, s6
	s_add_i32 s4, s4, -1
	s_cmp_lg_u32 s4, 0
	v_sub_u32_e32 v1, v1, v3
	s_waitcnt lgkmcnt(0)
	v_mad_u64_u32 v[0:1], s[6:7], v1, s7, v[0:1]
	v_mov_b32_e32 v1, v2
	s_cbranch_scc1 .LBB109_150
.LBB109_151:
	s_cbranch_execnz .LBB109_154
.LBB109_152:
	s_waitcnt lgkmcnt(0)
	v_mul_hi_u32 v0, s9, v7
	s_andn2_b64 vcc, exec, s[34:35]
	v_add_u32_e32 v0, v7, v0
	v_lshrrev_b32_e32 v1, s10, v0
	v_mul_lo_u32 v0, v1, s8
	v_sub_u32_e32 v0, v7, v0
	v_mul_lo_u32 v0, v0, s28
	s_cbranch_vccnz .LBB109_154
; %bb.153:
	v_mul_hi_u32 v2, s30, v1
	v_add_u32_e32 v2, v1, v2
	v_lshrrev_b32_e32 v2, s31, v2
	v_mul_lo_u32 v2, v2, s11
	v_sub_u32_e32 v1, v1, v2
	v_mad_u64_u32 v[0:1], s[0:1], v1, s29, v[0:1]
.LBB109_154:
	s_waitcnt lgkmcnt(0)
	v_mov_b32_e32 v1, s47
	v_add_u32_e32 v7, 0x80, v7
	global_store_short v0, v1, s[26:27]
	s_or_b64 exec, exec, s[40:41]
	v_cmp_gt_i32_e32 vcc, s48, v7
	s_and_saveexec_b64 s[40:41], vcc
	s_cbranch_execnz .LBB109_140
.LBB109_155:
	s_or_b64 exec, exec, s[40:41]
	v_cmp_gt_i32_e32 vcc, s48, v7
	s_and_saveexec_b64 s[40:41], vcc
	s_cbranch_execz .LBB109_171
.LBB109_156:
	s_andn2_b64 vcc, exec, s[22:23]
	s_cbranch_vccnz .LBB109_161
; %bb.157:
	s_andn2_b64 vcc, exec, s[38:39]
	s_cbranch_vccnz .LBB109_162
; %bb.158:
	s_add_i32 s51, s49, 1
	s_cmp_eq_u32 s46, 2
	s_cbranch_scc1 .LBB109_179
; %bb.159:
	s_and_b32 s50, s51, 28
	s_mov_b32 s52, 0
	v_mov_b32_e32 v0, 0
	s_mov_b64 s[42:43], s[20:21]
	s_mov_b64 s[44:45], s[36:37]
	v_mov_b32_e32 v1, v7
.LBB109_160:                            ; =>This Inner Loop Header: Depth=1
	s_load_dwordx8 s[0:7], s[42:43], 0x4
	s_load_dwordx4 s[12:15], s[42:43], 0x24
	s_load_dwordx4 s[16:19], s[44:45], 0x0
	s_add_u32 s42, s42, 48
	s_addc_u32 s43, s43, 0
	s_waitcnt lgkmcnt(0)
	v_mul_hi_u32 v2, s1, v1
	s_add_i32 s52, s52, 4
	s_add_u32 s44, s44, 16
	s_addc_u32 s45, s45, 0
	v_add_u32_e32 v2, v1, v2
	v_lshrrev_b32_e32 v2, s2, v2
	v_mul_lo_u32 v3, v2, s0
	v_mul_hi_u32 v4, s4, v2
	s_cmp_eq_u32 s50, s52
	v_sub_u32_e32 v1, v1, v3
	v_add_u32_e32 v3, v2, v4
	v_lshrrev_b32_e32 v3, s5, v3
	v_mul_lo_u32 v4, v1, s16
	v_mul_hi_u32 v1, s7, v3
	v_mul_lo_u32 v6, v3, s3
	v_add_u32_e32 v1, v3, v1
	v_lshrrev_b32_e32 v5, s12, v1
	v_mul_hi_u32 v1, s14, v5
	v_sub_u32_e32 v2, v2, v6
	v_mul_lo_u32 v6, v5, s6
	v_mul_lo_u32 v2, v2, s17
	v_add_u32_e32 v1, v5, v1
	v_lshrrev_b32_e32 v1, s15, v1
	v_mul_lo_u32 v8, v1, s13
	v_sub_u32_e32 v3, v3, v6
	v_mul_lo_u32 v3, v3, s18
	v_add3_u32 v0, v4, v0, v2
	v_sub_u32_e32 v5, v5, v8
	v_mul_lo_u32 v5, v5, s19
	v_add3_u32 v0, v3, v0, v5
	s_cbranch_scc0 .LBB109_160
	s_branch .LBB109_180
.LBB109_161:
                                        ; implicit-def: $vgpr0
	s_branch .LBB109_184
.LBB109_162:
	v_mov_b32_e32 v0, 0
	s_branch .LBB109_183
.LBB109_163:
	v_mov_b32_e32 v0, 0
	s_mov_b32 s50, 0
	v_mov_b32_e32 v1, v7
.LBB109_164:
	s_and_b32 s4, s51, 3
	s_cmp_eq_u32 s4, 0
	s_cbranch_scc1 .LBB109_167
; %bb.165:
	s_lshl_b32 s0, s50, 2
	s_add_u32 s0, s20, s0
	s_addc_u32 s1, s21, 0
	s_add_u32 s0, s0, 0xc4
	s_addc_u32 s1, s1, 0
	s_mul_i32 s2, s50, 12
	s_add_u32 s2, s20, s2
	s_addc_u32 s3, s21, 0
.LBB109_166:                            ; =>This Inner Loop Header: Depth=1
	s_load_dwordx2 s[6:7], s[2:3], 0x4
	s_load_dword s5, s[2:3], 0xc
	s_add_u32 s2, s2, 12
	s_addc_u32 s3, s3, 0
	s_waitcnt lgkmcnt(0)
	v_mul_hi_u32 v2, s7, v1
	s_load_dword s7, s[0:1], 0x0
	s_add_u32 s0, s0, 4
	s_addc_u32 s1, s1, 0
	v_add_u32_e32 v2, v1, v2
	v_lshrrev_b32_e32 v2, s5, v2
	v_mul_lo_u32 v3, v2, s6
	s_add_i32 s4, s4, -1
	s_cmp_lg_u32 s4, 0
	v_sub_u32_e32 v1, v1, v3
	s_waitcnt lgkmcnt(0)
	v_mad_u64_u32 v[0:1], s[6:7], v1, s7, v[0:1]
	v_mov_b32_e32 v1, v2
	s_cbranch_scc1 .LBB109_166
.LBB109_167:
	s_cbranch_execnz .LBB109_170
.LBB109_168:
	s_waitcnt lgkmcnt(0)
	v_mul_hi_u32 v0, s9, v7
	s_andn2_b64 vcc, exec, s[34:35]
	v_add_u32_e32 v0, v7, v0
	v_lshrrev_b32_e32 v1, s10, v0
	v_mul_lo_u32 v0, v1, s8
	v_sub_u32_e32 v0, v7, v0
	v_mul_lo_u32 v0, v0, s28
	s_cbranch_vccnz .LBB109_170
; %bb.169:
	v_mul_hi_u32 v2, s30, v1
	v_add_u32_e32 v2, v1, v2
	v_lshrrev_b32_e32 v2, s31, v2
	v_mul_lo_u32 v2, v2, s11
	v_sub_u32_e32 v1, v1, v2
	v_mad_u64_u32 v[0:1], s[0:1], v1, s29, v[0:1]
.LBB109_170:
	s_waitcnt lgkmcnt(0)
	v_mov_b32_e32 v1, s47
	v_add_u32_e32 v7, 0x80, v7
	global_store_short v0, v1, s[26:27]
	s_or_b64 exec, exec, s[40:41]
	v_cmp_gt_i32_e32 vcc, s48, v7
	s_and_saveexec_b64 s[40:41], vcc
	s_cbranch_execnz .LBB109_156
.LBB109_171:
	s_or_b64 exec, exec, s[40:41]
	v_cmp_gt_i32_e32 vcc, s48, v7
	s_and_saveexec_b64 s[40:41], vcc
	s_cbranch_execz .LBB109_187
.LBB109_172:
	s_andn2_b64 vcc, exec, s[22:23]
	s_cbranch_vccnz .LBB109_177
; %bb.173:
	s_andn2_b64 vcc, exec, s[38:39]
	s_cbranch_vccnz .LBB109_178
; %bb.174:
	s_add_i32 s51, s49, 1
	s_cmp_eq_u32 s46, 2
	s_cbranch_scc1 .LBB109_195
; %bb.175:
	s_and_b32 s50, s51, 28
	s_mov_b32 s52, 0
	v_mov_b32_e32 v0, 0
	s_mov_b64 s[42:43], s[20:21]
	s_mov_b64 s[44:45], s[36:37]
	v_mov_b32_e32 v1, v7
.LBB109_176:                            ; =>This Inner Loop Header: Depth=1
	s_load_dwordx8 s[0:7], s[42:43], 0x4
	s_load_dwordx4 s[12:15], s[42:43], 0x24
	s_load_dwordx4 s[16:19], s[44:45], 0x0
	s_add_u32 s42, s42, 48
	s_addc_u32 s43, s43, 0
	s_waitcnt lgkmcnt(0)
	v_mul_hi_u32 v2, s1, v1
	s_add_i32 s52, s52, 4
	s_add_u32 s44, s44, 16
	s_addc_u32 s45, s45, 0
	v_add_u32_e32 v2, v1, v2
	v_lshrrev_b32_e32 v2, s2, v2
	v_mul_lo_u32 v3, v2, s0
	v_mul_hi_u32 v4, s4, v2
	s_cmp_eq_u32 s50, s52
	v_sub_u32_e32 v1, v1, v3
	v_add_u32_e32 v3, v2, v4
	v_lshrrev_b32_e32 v3, s5, v3
	v_mul_lo_u32 v4, v1, s16
	v_mul_hi_u32 v1, s7, v3
	v_mul_lo_u32 v6, v3, s3
	v_add_u32_e32 v1, v3, v1
	v_lshrrev_b32_e32 v5, s12, v1
	v_mul_hi_u32 v1, s14, v5
	v_sub_u32_e32 v2, v2, v6
	v_mul_lo_u32 v6, v5, s6
	v_mul_lo_u32 v2, v2, s17
	v_add_u32_e32 v1, v5, v1
	v_lshrrev_b32_e32 v1, s15, v1
	v_mul_lo_u32 v8, v1, s13
	v_sub_u32_e32 v3, v3, v6
	v_mul_lo_u32 v3, v3, s18
	v_add3_u32 v0, v4, v0, v2
	v_sub_u32_e32 v5, v5, v8
	v_mul_lo_u32 v5, v5, s19
	v_add3_u32 v0, v3, v0, v5
	s_cbranch_scc0 .LBB109_176
	s_branch .LBB109_196
.LBB109_177:
                                        ; implicit-def: $vgpr0
	s_branch .LBB109_200
.LBB109_178:
	v_mov_b32_e32 v0, 0
	s_branch .LBB109_199
.LBB109_179:
	v_mov_b32_e32 v0, 0
	s_mov_b32 s50, 0
	v_mov_b32_e32 v1, v7
.LBB109_180:
	s_and_b32 s4, s51, 3
	s_cmp_eq_u32 s4, 0
	s_cbranch_scc1 .LBB109_183
; %bb.181:
	s_lshl_b32 s0, s50, 2
	s_add_u32 s0, s20, s0
	s_addc_u32 s1, s21, 0
	s_add_u32 s0, s0, 0xc4
	s_addc_u32 s1, s1, 0
	s_mul_i32 s2, s50, 12
	s_add_u32 s2, s20, s2
	s_addc_u32 s3, s21, 0
.LBB109_182:                            ; =>This Inner Loop Header: Depth=1
	s_load_dwordx2 s[6:7], s[2:3], 0x4
	s_load_dword s5, s[2:3], 0xc
	s_add_u32 s2, s2, 12
	s_addc_u32 s3, s3, 0
	s_waitcnt lgkmcnt(0)
	v_mul_hi_u32 v2, s7, v1
	s_load_dword s7, s[0:1], 0x0
	s_add_u32 s0, s0, 4
	s_addc_u32 s1, s1, 0
	v_add_u32_e32 v2, v1, v2
	v_lshrrev_b32_e32 v2, s5, v2
	v_mul_lo_u32 v3, v2, s6
	s_add_i32 s4, s4, -1
	s_cmp_lg_u32 s4, 0
	v_sub_u32_e32 v1, v1, v3
	s_waitcnt lgkmcnt(0)
	v_mad_u64_u32 v[0:1], s[6:7], v1, s7, v[0:1]
	v_mov_b32_e32 v1, v2
	s_cbranch_scc1 .LBB109_182
.LBB109_183:
	s_cbranch_execnz .LBB109_186
.LBB109_184:
	s_waitcnt lgkmcnt(0)
	v_mul_hi_u32 v0, s9, v7
	s_andn2_b64 vcc, exec, s[34:35]
	v_add_u32_e32 v0, v7, v0
	v_lshrrev_b32_e32 v1, s10, v0
	v_mul_lo_u32 v0, v1, s8
	v_sub_u32_e32 v0, v7, v0
	v_mul_lo_u32 v0, v0, s28
	s_cbranch_vccnz .LBB109_186
; %bb.185:
	v_mul_hi_u32 v2, s30, v1
	v_add_u32_e32 v2, v1, v2
	v_lshrrev_b32_e32 v2, s31, v2
	v_mul_lo_u32 v2, v2, s11
	v_sub_u32_e32 v1, v1, v2
	v_mad_u64_u32 v[0:1], s[0:1], v1, s29, v[0:1]
.LBB109_186:
	s_waitcnt lgkmcnt(0)
	v_mov_b32_e32 v1, s47
	v_add_u32_e32 v7, 0x80, v7
	global_store_short v0, v1, s[26:27]
	s_or_b64 exec, exec, s[40:41]
	v_cmp_gt_i32_e32 vcc, s48, v7
	s_and_saveexec_b64 s[40:41], vcc
	s_cbranch_execnz .LBB109_172
.LBB109_187:
	s_or_b64 exec, exec, s[40:41]
	v_cmp_gt_i32_e32 vcc, s48, v7
	s_and_saveexec_b64 s[40:41], vcc
	s_cbranch_execz .LBB109_203
.LBB109_188:
	s_andn2_b64 vcc, exec, s[22:23]
	s_cbranch_vccnz .LBB109_193
; %bb.189:
	s_andn2_b64 vcc, exec, s[38:39]
	s_cbranch_vccnz .LBB109_194
; %bb.190:
	s_add_i32 s51, s49, 1
	s_cmp_eq_u32 s46, 2
	s_cbranch_scc1 .LBB109_211
; %bb.191:
	s_and_b32 s50, s51, 28
	s_mov_b32 s52, 0
	v_mov_b32_e32 v0, 0
	s_mov_b64 s[42:43], s[20:21]
	s_mov_b64 s[44:45], s[36:37]
	v_mov_b32_e32 v1, v7
.LBB109_192:                            ; =>This Inner Loop Header: Depth=1
	s_load_dwordx8 s[0:7], s[42:43], 0x4
	s_load_dwordx4 s[12:15], s[42:43], 0x24
	s_load_dwordx4 s[16:19], s[44:45], 0x0
	s_add_u32 s42, s42, 48
	s_addc_u32 s43, s43, 0
	s_waitcnt lgkmcnt(0)
	v_mul_hi_u32 v2, s1, v1
	s_add_i32 s52, s52, 4
	s_add_u32 s44, s44, 16
	s_addc_u32 s45, s45, 0
	v_add_u32_e32 v2, v1, v2
	v_lshrrev_b32_e32 v2, s2, v2
	v_mul_lo_u32 v3, v2, s0
	v_mul_hi_u32 v4, s4, v2
	s_cmp_eq_u32 s50, s52
	v_sub_u32_e32 v1, v1, v3
	v_add_u32_e32 v3, v2, v4
	v_lshrrev_b32_e32 v3, s5, v3
	v_mul_lo_u32 v4, v1, s16
	v_mul_hi_u32 v1, s7, v3
	v_mul_lo_u32 v6, v3, s3
	v_add_u32_e32 v1, v3, v1
	v_lshrrev_b32_e32 v5, s12, v1
	v_mul_hi_u32 v1, s14, v5
	v_sub_u32_e32 v2, v2, v6
	v_mul_lo_u32 v6, v5, s6
	v_mul_lo_u32 v2, v2, s17
	v_add_u32_e32 v1, v5, v1
	v_lshrrev_b32_e32 v1, s15, v1
	v_mul_lo_u32 v8, v1, s13
	v_sub_u32_e32 v3, v3, v6
	v_mul_lo_u32 v3, v3, s18
	v_add3_u32 v0, v4, v0, v2
	v_sub_u32_e32 v5, v5, v8
	v_mul_lo_u32 v5, v5, s19
	v_add3_u32 v0, v3, v0, v5
	s_cbranch_scc0 .LBB109_192
	s_branch .LBB109_212
.LBB109_193:
                                        ; implicit-def: $vgpr0
	s_branch .LBB109_216
.LBB109_194:
	v_mov_b32_e32 v0, 0
	s_branch .LBB109_215
.LBB109_195:
	v_mov_b32_e32 v0, 0
	s_mov_b32 s50, 0
	v_mov_b32_e32 v1, v7
.LBB109_196:
	s_and_b32 s4, s51, 3
	s_cmp_eq_u32 s4, 0
	s_cbranch_scc1 .LBB109_199
; %bb.197:
	s_lshl_b32 s0, s50, 2
	s_add_u32 s0, s20, s0
	s_addc_u32 s1, s21, 0
	s_add_u32 s0, s0, 0xc4
	s_addc_u32 s1, s1, 0
	s_mul_i32 s2, s50, 12
	s_add_u32 s2, s20, s2
	s_addc_u32 s3, s21, 0
.LBB109_198:                            ; =>This Inner Loop Header: Depth=1
	s_load_dwordx2 s[6:7], s[2:3], 0x4
	s_load_dword s5, s[2:3], 0xc
	s_add_u32 s2, s2, 12
	s_addc_u32 s3, s3, 0
	s_waitcnt lgkmcnt(0)
	v_mul_hi_u32 v2, s7, v1
	s_load_dword s7, s[0:1], 0x0
	s_add_u32 s0, s0, 4
	s_addc_u32 s1, s1, 0
	v_add_u32_e32 v2, v1, v2
	v_lshrrev_b32_e32 v2, s5, v2
	v_mul_lo_u32 v3, v2, s6
	s_add_i32 s4, s4, -1
	s_cmp_lg_u32 s4, 0
	v_sub_u32_e32 v1, v1, v3
	s_waitcnt lgkmcnt(0)
	v_mad_u64_u32 v[0:1], s[6:7], v1, s7, v[0:1]
	v_mov_b32_e32 v1, v2
	s_cbranch_scc1 .LBB109_198
.LBB109_199:
	s_cbranch_execnz .LBB109_202
.LBB109_200:
	s_waitcnt lgkmcnt(0)
	v_mul_hi_u32 v0, s9, v7
	s_andn2_b64 vcc, exec, s[34:35]
	v_add_u32_e32 v0, v7, v0
	v_lshrrev_b32_e32 v1, s10, v0
	v_mul_lo_u32 v0, v1, s8
	v_sub_u32_e32 v0, v7, v0
	v_mul_lo_u32 v0, v0, s28
	s_cbranch_vccnz .LBB109_202
; %bb.201:
	v_mul_hi_u32 v2, s30, v1
	v_add_u32_e32 v2, v1, v2
	v_lshrrev_b32_e32 v2, s31, v2
	v_mul_lo_u32 v2, v2, s11
	v_sub_u32_e32 v1, v1, v2
	v_mad_u64_u32 v[0:1], s[0:1], v1, s29, v[0:1]
.LBB109_202:
	s_waitcnt lgkmcnt(0)
	v_mov_b32_e32 v1, s47
	v_add_u32_e32 v7, 0x80, v7
	global_store_short v0, v1, s[26:27]
	s_or_b64 exec, exec, s[40:41]
	v_cmp_gt_i32_e32 vcc, s48, v7
	s_and_saveexec_b64 s[40:41], vcc
	s_cbranch_execnz .LBB109_188
.LBB109_203:
	s_or_b64 exec, exec, s[40:41]
	v_cmp_gt_i32_e32 vcc, s48, v7
	s_and_saveexec_b64 s[40:41], vcc
	s_cbranch_execz .LBB109_219
.LBB109_204:
	s_andn2_b64 vcc, exec, s[22:23]
	s_cbranch_vccnz .LBB109_209
; %bb.205:
	s_andn2_b64 vcc, exec, s[38:39]
	s_cbranch_vccnz .LBB109_210
; %bb.206:
	s_add_i32 s51, s49, 1
	s_cmp_eq_u32 s46, 2
	s_cbranch_scc1 .LBB109_222
; %bb.207:
	s_and_b32 s50, s51, 28
	s_mov_b32 s52, 0
	v_mov_b32_e32 v0, 0
	s_mov_b64 s[42:43], s[20:21]
	s_mov_b64 s[44:45], s[36:37]
	v_mov_b32_e32 v1, v7
.LBB109_208:                            ; =>This Inner Loop Header: Depth=1
	s_load_dwordx8 s[0:7], s[42:43], 0x4
	s_load_dwordx4 s[12:15], s[42:43], 0x24
	s_load_dwordx4 s[16:19], s[44:45], 0x0
	s_add_u32 s42, s42, 48
	s_addc_u32 s43, s43, 0
	s_waitcnt lgkmcnt(0)
	v_mul_hi_u32 v2, s1, v1
	s_add_i32 s52, s52, 4
	s_add_u32 s44, s44, 16
	s_addc_u32 s45, s45, 0
	v_add_u32_e32 v2, v1, v2
	v_lshrrev_b32_e32 v2, s2, v2
	v_mul_lo_u32 v3, v2, s0
	v_mul_hi_u32 v4, s4, v2
	s_cmp_eq_u32 s50, s52
	v_sub_u32_e32 v1, v1, v3
	v_add_u32_e32 v3, v2, v4
	v_lshrrev_b32_e32 v3, s5, v3
	v_mul_lo_u32 v4, v1, s16
	v_mul_hi_u32 v1, s7, v3
	v_mul_lo_u32 v6, v3, s3
	v_add_u32_e32 v1, v3, v1
	v_lshrrev_b32_e32 v5, s12, v1
	v_mul_hi_u32 v1, s14, v5
	v_sub_u32_e32 v2, v2, v6
	v_mul_lo_u32 v6, v5, s6
	v_mul_lo_u32 v2, v2, s17
	v_add_u32_e32 v1, v5, v1
	v_lshrrev_b32_e32 v1, s15, v1
	v_mul_lo_u32 v8, v1, s13
	v_sub_u32_e32 v3, v3, v6
	v_mul_lo_u32 v3, v3, s18
	v_add3_u32 v0, v4, v0, v2
	v_sub_u32_e32 v5, v5, v8
	v_mul_lo_u32 v5, v5, s19
	v_add3_u32 v0, v3, v0, v5
	s_cbranch_scc0 .LBB109_208
	s_branch .LBB109_223
.LBB109_209:
                                        ; implicit-def: $vgpr0
	s_branch .LBB109_227
.LBB109_210:
	v_mov_b32_e32 v0, 0
	s_branch .LBB109_226
.LBB109_211:
	v_mov_b32_e32 v0, 0
	s_mov_b32 s50, 0
	v_mov_b32_e32 v1, v7
.LBB109_212:
	s_and_b32 s4, s51, 3
	s_cmp_eq_u32 s4, 0
	s_cbranch_scc1 .LBB109_215
; %bb.213:
	s_lshl_b32 s0, s50, 2
	s_add_u32 s0, s20, s0
	s_addc_u32 s1, s21, 0
	s_add_u32 s0, s0, 0xc4
	s_addc_u32 s1, s1, 0
	s_mul_i32 s2, s50, 12
	s_add_u32 s2, s20, s2
	s_addc_u32 s3, s21, 0
.LBB109_214:                            ; =>This Inner Loop Header: Depth=1
	s_load_dwordx2 s[6:7], s[2:3], 0x4
	s_load_dword s5, s[2:3], 0xc
	s_add_u32 s2, s2, 12
	s_addc_u32 s3, s3, 0
	s_waitcnt lgkmcnt(0)
	v_mul_hi_u32 v2, s7, v1
	s_load_dword s7, s[0:1], 0x0
	s_add_u32 s0, s0, 4
	s_addc_u32 s1, s1, 0
	v_add_u32_e32 v2, v1, v2
	v_lshrrev_b32_e32 v2, s5, v2
	v_mul_lo_u32 v3, v2, s6
	s_add_i32 s4, s4, -1
	s_cmp_lg_u32 s4, 0
	v_sub_u32_e32 v1, v1, v3
	s_waitcnt lgkmcnt(0)
	v_mad_u64_u32 v[0:1], s[6:7], v1, s7, v[0:1]
	v_mov_b32_e32 v1, v2
	s_cbranch_scc1 .LBB109_214
.LBB109_215:
	s_cbranch_execnz .LBB109_218
.LBB109_216:
	s_waitcnt lgkmcnt(0)
	v_mul_hi_u32 v0, s9, v7
	s_andn2_b64 vcc, exec, s[34:35]
	v_add_u32_e32 v0, v7, v0
	v_lshrrev_b32_e32 v1, s10, v0
	v_mul_lo_u32 v0, v1, s8
	v_sub_u32_e32 v0, v7, v0
	v_mul_lo_u32 v0, v0, s28
	s_cbranch_vccnz .LBB109_218
; %bb.217:
	v_mul_hi_u32 v2, s30, v1
	v_add_u32_e32 v2, v1, v2
	v_lshrrev_b32_e32 v2, s31, v2
	v_mul_lo_u32 v2, v2, s11
	v_sub_u32_e32 v1, v1, v2
	v_mad_u64_u32 v[0:1], s[0:1], v1, s29, v[0:1]
.LBB109_218:
	s_waitcnt lgkmcnt(0)
	v_mov_b32_e32 v1, s47
	v_add_u32_e32 v7, 0x80, v7
	global_store_short v0, v1, s[26:27]
	s_or_b64 exec, exec, s[40:41]
	v_cmp_gt_i32_e32 vcc, s48, v7
	s_and_saveexec_b64 s[40:41], vcc
	s_cbranch_execnz .LBB109_204
.LBB109_219:
	s_or_b64 exec, exec, s[40:41]
	v_cmp_gt_i32_e32 vcc, s48, v7
	s_and_saveexec_b64 s[40:41], vcc
	s_cbranch_execnz .LBB109_230
.LBB109_220:
	s_or_b64 exec, exec, s[40:41]
                                        ; implicit-def: $vgpr9
                                        ; implicit-def: $vgpr7
	s_andn2_saveexec_b64 s[0:1], s[24:25]
	s_cbranch_execnz .LBB109_8
.LBB109_221:
	s_endpgm
.LBB109_222:
	v_mov_b32_e32 v0, 0
	s_mov_b32 s50, 0
	v_mov_b32_e32 v1, v7
.LBB109_223:
	s_and_b32 s4, s51, 3
	s_cmp_eq_u32 s4, 0
	s_cbranch_scc1 .LBB109_226
; %bb.224:
	s_lshl_b32 s0, s50, 2
	s_add_u32 s0, s20, s0
	s_addc_u32 s1, s21, 0
	s_add_u32 s0, s0, 0xc4
	s_addc_u32 s1, s1, 0
	s_mul_i32 s2, s50, 12
	s_add_u32 s2, s20, s2
	s_addc_u32 s3, s21, 0
.LBB109_225:                            ; =>This Inner Loop Header: Depth=1
	s_load_dwordx2 s[6:7], s[2:3], 0x4
	s_load_dword s5, s[2:3], 0xc
	s_add_u32 s2, s2, 12
	s_addc_u32 s3, s3, 0
	s_waitcnt lgkmcnt(0)
	v_mul_hi_u32 v2, s7, v1
	s_load_dword s7, s[0:1], 0x0
	s_add_u32 s0, s0, 4
	s_addc_u32 s1, s1, 0
	v_add_u32_e32 v2, v1, v2
	v_lshrrev_b32_e32 v2, s5, v2
	v_mul_lo_u32 v3, v2, s6
	s_add_i32 s4, s4, -1
	s_cmp_lg_u32 s4, 0
	v_sub_u32_e32 v1, v1, v3
	s_waitcnt lgkmcnt(0)
	v_mad_u64_u32 v[0:1], s[6:7], v1, s7, v[0:1]
	v_mov_b32_e32 v1, v2
	s_cbranch_scc1 .LBB109_225
.LBB109_226:
	s_cbranch_execnz .LBB109_229
.LBB109_227:
	s_waitcnt lgkmcnt(0)
	v_mul_hi_u32 v0, s9, v7
	s_andn2_b64 vcc, exec, s[34:35]
	v_add_u32_e32 v0, v7, v0
	v_lshrrev_b32_e32 v1, s10, v0
	v_mul_lo_u32 v0, v1, s8
	v_sub_u32_e32 v0, v7, v0
	v_mul_lo_u32 v0, v0, s28
	s_cbranch_vccnz .LBB109_229
; %bb.228:
	v_mul_hi_u32 v2, s30, v1
	v_add_u32_e32 v2, v1, v2
	v_lshrrev_b32_e32 v2, s31, v2
	v_mul_lo_u32 v2, v2, s11
	v_sub_u32_e32 v1, v1, v2
	v_mad_u64_u32 v[0:1], s[0:1], v1, s29, v[0:1]
.LBB109_229:
	s_waitcnt lgkmcnt(0)
	v_mov_b32_e32 v1, s47
	v_add_u32_e32 v7, 0x80, v7
	global_store_short v0, v1, s[26:27]
	s_or_b64 exec, exec, s[40:41]
	v_cmp_gt_i32_e32 vcc, s48, v7
	s_and_saveexec_b64 s[40:41], vcc
	s_cbranch_execz .LBB109_220
.LBB109_230:
	s_andn2_b64 vcc, exec, s[22:23]
	s_cbranch_vccnz .LBB109_235
; %bb.231:
	s_andn2_b64 vcc, exec, s[38:39]
	s_cbranch_vccnz .LBB109_236
; %bb.232:
	s_add_i32 s49, s49, 1
	s_cmp_eq_u32 s46, 2
	s_cbranch_scc1 .LBB109_237
; %bb.233:
	s_and_b32 s42, s49, 28
	s_mov_b32 s43, 0
	v_mov_b32_e32 v0, 0
	s_mov_b64 s[38:39], s[20:21]
	v_mov_b32_e32 v1, v7
.LBB109_234:                            ; =>This Inner Loop Header: Depth=1
	s_load_dwordx8 s[0:7], s[38:39], 0x4
	s_load_dwordx4 s[12:15], s[38:39], 0x24
	s_load_dwordx4 s[16:19], s[36:37], 0x0
	s_add_u32 s38, s38, 48
	s_addc_u32 s39, s39, 0
	s_waitcnt lgkmcnt(0)
	v_mul_hi_u32 v2, s1, v1
	s_add_i32 s43, s43, 4
	s_add_u32 s36, s36, 16
	s_addc_u32 s37, s37, 0
	v_add_u32_e32 v2, v1, v2
	v_lshrrev_b32_e32 v2, s2, v2
	v_mul_lo_u32 v3, v2, s0
	v_mul_hi_u32 v4, s4, v2
	s_cmp_eq_u32 s42, s43
	v_sub_u32_e32 v1, v1, v3
	v_add_u32_e32 v3, v2, v4
	v_lshrrev_b32_e32 v3, s5, v3
	v_mul_lo_u32 v4, v1, s16
	v_mul_hi_u32 v1, s7, v3
	v_mul_lo_u32 v6, v3, s3
	v_add_u32_e32 v1, v3, v1
	v_lshrrev_b32_e32 v5, s12, v1
	v_mul_hi_u32 v1, s14, v5
	v_sub_u32_e32 v2, v2, v6
	v_mul_lo_u32 v6, v5, s6
	v_mul_lo_u32 v2, v2, s17
	v_add_u32_e32 v1, v5, v1
	v_lshrrev_b32_e32 v1, s15, v1
	v_mul_lo_u32 v8, v1, s13
	v_sub_u32_e32 v3, v3, v6
	v_mul_lo_u32 v3, v3, s18
	v_add3_u32 v0, v4, v0, v2
	v_sub_u32_e32 v5, v5, v8
	v_mul_lo_u32 v5, v5, s19
	v_add3_u32 v0, v3, v0, v5
	s_cbranch_scc0 .LBB109_234
	s_branch .LBB109_238
.LBB109_235:
                                        ; implicit-def: $vgpr0
	s_branch .LBB109_242
.LBB109_236:
	v_mov_b32_e32 v0, 0
	s_branch .LBB109_241
.LBB109_237:
	v_mov_b32_e32 v0, 0
	s_mov_b32 s42, 0
	v_mov_b32_e32 v1, v7
.LBB109_238:
	s_and_b32 s4, s49, 3
	s_cmp_eq_u32 s4, 0
	s_cbranch_scc1 .LBB109_241
; %bb.239:
	s_lshl_b32 s0, s42, 2
	s_add_u32 s0, s20, s0
	s_addc_u32 s1, s21, 0
	s_add_u32 s0, s0, 0xc4
	s_addc_u32 s1, s1, 0
	s_mul_i32 s2, s42, 12
	s_add_u32 s2, s20, s2
	s_addc_u32 s3, s21, 0
.LBB109_240:                            ; =>This Inner Loop Header: Depth=1
	s_load_dwordx2 s[6:7], s[2:3], 0x4
	s_load_dword s5, s[2:3], 0xc
	s_add_u32 s2, s2, 12
	s_addc_u32 s3, s3, 0
	s_waitcnt lgkmcnt(0)
	v_mul_hi_u32 v2, s7, v1
	s_load_dword s7, s[0:1], 0x0
	s_add_u32 s0, s0, 4
	s_addc_u32 s1, s1, 0
	v_add_u32_e32 v2, v1, v2
	v_lshrrev_b32_e32 v2, s5, v2
	v_mul_lo_u32 v3, v2, s6
	s_add_i32 s4, s4, -1
	s_cmp_lg_u32 s4, 0
	v_sub_u32_e32 v1, v1, v3
	s_waitcnt lgkmcnt(0)
	v_mad_u64_u32 v[0:1], s[6:7], v1, s7, v[0:1]
	v_mov_b32_e32 v1, v2
	s_cbranch_scc1 .LBB109_240
.LBB109_241:
	s_cbranch_execnz .LBB109_244
.LBB109_242:
	s_waitcnt lgkmcnt(0)
	v_mul_hi_u32 v0, s9, v7
	s_andn2_b64 vcc, exec, s[34:35]
	v_add_u32_e32 v0, v7, v0
	v_lshrrev_b32_e32 v1, s10, v0
	v_mul_lo_u32 v0, v1, s8
	v_sub_u32_e32 v0, v7, v0
	v_mul_lo_u32 v0, v0, s28
	s_cbranch_vccnz .LBB109_244
; %bb.243:
	v_mul_hi_u32 v2, s30, v1
	v_add_u32_e32 v2, v1, v2
	v_lshrrev_b32_e32 v2, s31, v2
	v_mul_lo_u32 v2, v2, s11
	v_sub_u32_e32 v1, v1, v2
	v_mad_u64_u32 v[0:1], s[0:1], v1, s29, v[0:1]
.LBB109_244:
	s_waitcnt lgkmcnt(0)
	v_mov_b32_e32 v1, s47
	global_store_short v0, v1, s[26:27]
	s_or_b64 exec, exec, s[40:41]
                                        ; implicit-def: $vgpr9
                                        ; implicit-def: $vgpr7
	s_andn2_saveexec_b64 s[0:1], s[24:25]
	s_cbranch_execz .LBB109_221
	s_branch .LBB109_8
	.section	.rodata,"a",@progbits
	.p2align	6, 0x0
	.amdhsa_kernel _ZN2at6native32elementwise_kernel_manual_unrollILi128ELi8EZNS0_22gpu_kernel_impl_nocastINS0_11FillFunctorIN3c108BFloat16EEEEEvRNS_18TensorIteratorBaseERKT_EUlibE_EEviT1_
		.amdhsa_group_segment_fixed_size 0
		.amdhsa_private_segment_fixed_size 0
		.amdhsa_kernarg_size 288
		.amdhsa_user_sgpr_count 6
		.amdhsa_user_sgpr_private_segment_buffer 1
		.amdhsa_user_sgpr_dispatch_ptr 0
		.amdhsa_user_sgpr_queue_ptr 0
		.amdhsa_user_sgpr_kernarg_segment_ptr 1
		.amdhsa_user_sgpr_dispatch_id 0
		.amdhsa_user_sgpr_flat_scratch_init 0
		.amdhsa_user_sgpr_private_segment_size 0
		.amdhsa_uses_dynamic_stack 0
		.amdhsa_system_sgpr_private_segment_wavefront_offset 0
		.amdhsa_system_sgpr_workgroup_id_x 1
		.amdhsa_system_sgpr_workgroup_id_y 0
		.amdhsa_system_sgpr_workgroup_id_z 0
		.amdhsa_system_sgpr_workgroup_info 0
		.amdhsa_system_vgpr_workitem_id 0
		.amdhsa_next_free_vgpr 16
		.amdhsa_next_free_sgpr 53
		.amdhsa_reserve_vcc 1
		.amdhsa_reserve_flat_scratch 0
		.amdhsa_float_round_mode_32 0
		.amdhsa_float_round_mode_16_64 0
		.amdhsa_float_denorm_mode_32 3
		.amdhsa_float_denorm_mode_16_64 3
		.amdhsa_dx10_clamp 1
		.amdhsa_ieee_mode 1
		.amdhsa_fp16_overflow 0
		.amdhsa_exception_fp_ieee_invalid_op 0
		.amdhsa_exception_fp_denorm_src 0
		.amdhsa_exception_fp_ieee_div_zero 0
		.amdhsa_exception_fp_ieee_overflow 0
		.amdhsa_exception_fp_ieee_underflow 0
		.amdhsa_exception_fp_ieee_inexact 0
		.amdhsa_exception_int_div_zero 0
	.end_amdhsa_kernel
	.section	.text._ZN2at6native32elementwise_kernel_manual_unrollILi128ELi8EZNS0_22gpu_kernel_impl_nocastINS0_11FillFunctorIN3c108BFloat16EEEEEvRNS_18TensorIteratorBaseERKT_EUlibE_EEviT1_,"axG",@progbits,_ZN2at6native32elementwise_kernel_manual_unrollILi128ELi8EZNS0_22gpu_kernel_impl_nocastINS0_11FillFunctorIN3c108BFloat16EEEEEvRNS_18TensorIteratorBaseERKT_EUlibE_EEviT1_,comdat
.Lfunc_end109:
	.size	_ZN2at6native32elementwise_kernel_manual_unrollILi128ELi8EZNS0_22gpu_kernel_impl_nocastINS0_11FillFunctorIN3c108BFloat16EEEEEvRNS_18TensorIteratorBaseERKT_EUlibE_EEviT1_, .Lfunc_end109-_ZN2at6native32elementwise_kernel_manual_unrollILi128ELi8EZNS0_22gpu_kernel_impl_nocastINS0_11FillFunctorIN3c108BFloat16EEEEEvRNS_18TensorIteratorBaseERKT_EUlibE_EEviT1_
                                        ; -- End function
	.set _ZN2at6native32elementwise_kernel_manual_unrollILi128ELi8EZNS0_22gpu_kernel_impl_nocastINS0_11FillFunctorIN3c108BFloat16EEEEEvRNS_18TensorIteratorBaseERKT_EUlibE_EEviT1_.num_vgpr, 16
	.set _ZN2at6native32elementwise_kernel_manual_unrollILi128ELi8EZNS0_22gpu_kernel_impl_nocastINS0_11FillFunctorIN3c108BFloat16EEEEEvRNS_18TensorIteratorBaseERKT_EUlibE_EEviT1_.num_agpr, 0
	.set _ZN2at6native32elementwise_kernel_manual_unrollILi128ELi8EZNS0_22gpu_kernel_impl_nocastINS0_11FillFunctorIN3c108BFloat16EEEEEvRNS_18TensorIteratorBaseERKT_EUlibE_EEviT1_.numbered_sgpr, 53
	.set _ZN2at6native32elementwise_kernel_manual_unrollILi128ELi8EZNS0_22gpu_kernel_impl_nocastINS0_11FillFunctorIN3c108BFloat16EEEEEvRNS_18TensorIteratorBaseERKT_EUlibE_EEviT1_.num_named_barrier, 0
	.set _ZN2at6native32elementwise_kernel_manual_unrollILi128ELi8EZNS0_22gpu_kernel_impl_nocastINS0_11FillFunctorIN3c108BFloat16EEEEEvRNS_18TensorIteratorBaseERKT_EUlibE_EEviT1_.private_seg_size, 0
	.set _ZN2at6native32elementwise_kernel_manual_unrollILi128ELi8EZNS0_22gpu_kernel_impl_nocastINS0_11FillFunctorIN3c108BFloat16EEEEEvRNS_18TensorIteratorBaseERKT_EUlibE_EEviT1_.uses_vcc, 1
	.set _ZN2at6native32elementwise_kernel_manual_unrollILi128ELi8EZNS0_22gpu_kernel_impl_nocastINS0_11FillFunctorIN3c108BFloat16EEEEEvRNS_18TensorIteratorBaseERKT_EUlibE_EEviT1_.uses_flat_scratch, 0
	.set _ZN2at6native32elementwise_kernel_manual_unrollILi128ELi8EZNS0_22gpu_kernel_impl_nocastINS0_11FillFunctorIN3c108BFloat16EEEEEvRNS_18TensorIteratorBaseERKT_EUlibE_EEviT1_.has_dyn_sized_stack, 0
	.set _ZN2at6native32elementwise_kernel_manual_unrollILi128ELi8EZNS0_22gpu_kernel_impl_nocastINS0_11FillFunctorIN3c108BFloat16EEEEEvRNS_18TensorIteratorBaseERKT_EUlibE_EEviT1_.has_recursion, 0
	.set _ZN2at6native32elementwise_kernel_manual_unrollILi128ELi8EZNS0_22gpu_kernel_impl_nocastINS0_11FillFunctorIN3c108BFloat16EEEEEvRNS_18TensorIteratorBaseERKT_EUlibE_EEviT1_.has_indirect_call, 0
	.section	.AMDGPU.csdata,"",@progbits
; Kernel info:
; codeLenInByte = 9820
; TotalNumSgprs: 57
; NumVgprs: 16
; ScratchSize: 0
; MemoryBound: 0
; FloatMode: 240
; IeeeMode: 1
; LDSByteSize: 0 bytes/workgroup (compile time only)
; SGPRBlocks: 7
; VGPRBlocks: 3
; NumSGPRsForWavesPerEU: 57
; NumVGPRsForWavesPerEU: 16
; Occupancy: 10
; WaveLimiterHint : 1
; COMPUTE_PGM_RSRC2:SCRATCH_EN: 0
; COMPUTE_PGM_RSRC2:USER_SGPR: 6
; COMPUTE_PGM_RSRC2:TRAP_HANDLER: 0
; COMPUTE_PGM_RSRC2:TGID_X_EN: 1
; COMPUTE_PGM_RSRC2:TGID_Y_EN: 0
; COMPUTE_PGM_RSRC2:TGID_Z_EN: 0
; COMPUTE_PGM_RSRC2:TIDIG_COMP_CNT: 0
	.section	.text._ZN2at6native32elementwise_kernel_manual_unrollILi128ELi4EZNS0_15gpu_kernel_implINS0_11FillFunctorIN3c108BFloat16EEEEEvRNS_18TensorIteratorBaseERKT_EUlibE_EEviT1_,"axG",@progbits,_ZN2at6native32elementwise_kernel_manual_unrollILi128ELi4EZNS0_15gpu_kernel_implINS0_11FillFunctorIN3c108BFloat16EEEEEvRNS_18TensorIteratorBaseERKT_EUlibE_EEviT1_,comdat
	.protected	_ZN2at6native32elementwise_kernel_manual_unrollILi128ELi4EZNS0_15gpu_kernel_implINS0_11FillFunctorIN3c108BFloat16EEEEEvRNS_18TensorIteratorBaseERKT_EUlibE_EEviT1_ ; -- Begin function _ZN2at6native32elementwise_kernel_manual_unrollILi128ELi4EZNS0_15gpu_kernel_implINS0_11FillFunctorIN3c108BFloat16EEEEEvRNS_18TensorIteratorBaseERKT_EUlibE_EEviT1_
	.globl	_ZN2at6native32elementwise_kernel_manual_unrollILi128ELi4EZNS0_15gpu_kernel_implINS0_11FillFunctorIN3c108BFloat16EEEEEvRNS_18TensorIteratorBaseERKT_EUlibE_EEviT1_
	.p2align	8
	.type	_ZN2at6native32elementwise_kernel_manual_unrollILi128ELi4EZNS0_15gpu_kernel_implINS0_11FillFunctorIN3c108BFloat16EEEEEvRNS_18TensorIteratorBaseERKT_EUlibE_EEviT1_,@function
_ZN2at6native32elementwise_kernel_manual_unrollILi128ELi4EZNS0_15gpu_kernel_implINS0_11FillFunctorIN3c108BFloat16EEEEEvRNS_18TensorIteratorBaseERKT_EUlibE_EEviT1_: ; @_ZN2at6native32elementwise_kernel_manual_unrollILi128ELi4EZNS0_15gpu_kernel_implINS0_11FillFunctorIN3c108BFloat16EEEEEvRNS_18TensorIteratorBaseERKT_EUlibE_EEviT1_
; %bb.0:
	s_load_dwordx4 s[8:11], s[4:5], 0x8
	s_load_dword s48, s[4:5], 0x0
	v_lshl_or_b32 v15, s6, 9, v0
	v_or_b32_e32 v0, 0x180, v15
	s_mov_b64 s[4:5], 0
	s_waitcnt lgkmcnt(0)
	s_lshr_b32 s33, s11, 16
	v_cmp_le_i32_e32 vcc, s48, v0
	s_mov_b64 s[0:1], 0
	s_and_saveexec_b64 s[2:3], vcc
	s_xor_b64 s[2:3], exec, s[2:3]
	s_cbranch_execz .LBB110_404
; %bb.1:
	s_and_b32 s64, 0xffff, s11
	s_lshl_b32 s52, s11, 16
	s_lshr_b32 s14, s64, 7
	s_or_b32 s12, s14, s52
	s_bfe_u32 s0, s64, 0x80007
	s_cmpk_eq_i32 s0, 0xff
	s_cselect_b64 s[0:1], -1, 0
	s_bitcmp1_b32 s64, 6
	s_cselect_b64 s[6:7], -1, 0
	s_and_b32 s12, s12, 0x3f00ff
	s_cmp_lg_u32 s12, 0
	v_trunc_f32_e32 v2, s52
	s_cselect_b64 s[12:13], -1, 0
	v_mul_f32_e32 v0, 0x2f800000, v2
	s_and_b64 s[6:7], s[6:7], s[12:13]
	s_and_b32 s30, s52, 0x7fffffff
	v_floor_f32_e32 v0, v0
	v_mov_b32_e32 v1, v2
	s_cmp_lt_u32 s30, 0x43800000
	v_cvt_u32_f32_e32 v7, v0
	v_fmac_f32_e32 v1, 0xcf800000, v0
	v_cndmask_b32_e64 v0, 0, 1, s[6:7]
	s_cselect_b64 s[26:27], -1, 0
	s_cmp_gt_u32 s30, 0x3bffffff
	v_add_u32_e32 v14, s14, v0
	s_cselect_b64 s[24:25], -1, 0
	s_bfe_u32 s6, s64, 0x10004
	v_mov_b32_e32 v0, 0x46000000
	s_or_b32 s12, s52, s6
	v_add_f32_e64 v0, |s52|, v0
	s_add_i32 s6, s12, 0x487ffff
	v_readfirstlane_b32 s63, v0
	s_lshr_b32 s62, s6, 20
	s_and_b32 s6, s63, 0xff
	s_cmp_lg_u32 s6, 0
	s_cselect_b64 s[28:29], -1, 0
	s_lshr_b32 s6, s64, 8
	s_and_b32 s53, s6, 0x80
	s_cmp_gt_u32 s30, 0x477fffff
	s_cselect_b64 s[6:7], -1, 0
	s_cmp_lt_u32 s30, 0x47800000
	s_cselect_b64 s[20:21], -1, 0
	s_cmp_gt_u32 s30, 0x37ffffff
	s_cselect_b64 s[18:19], -1, 0
	s_bfe_u32 s13, s64, 0x10005
	v_mov_b32_e32 v0, 0x42800000
	s_or_b32 s31, s52, s13
	v_add_f32_e64 v0, |s52|, v0
	s_add_i32 s13, s31, 0x88fffff
	v_readfirstlane_b32 s61, v0
	s_lshr_b32 s59, s13, 21
	s_and_b32 s13, s61, 0xff
	s_cmp_lg_u32 s13, 0
	s_cselect_b64 s[22:23], -1, 0
	s_cmp_gt_u32 s30, 0x43efffff
	s_cselect_b64 s[14:15], -1, 0
	s_cmp_lt_u32 s30, 0x3c800000
	s_mov_b32 s34, 0x2f800000
	s_cselect_b64 s[16:17], -1, 0
	s_add_i32 s12, s12, 0x407ffff
	s_lshr_b32 s13, s12, 20
	s_and_b32 s12, s12, 0xff00000
	v_mul_f32_e64 v3, |v2|, s34
	s_mov_b32 s35, 0xcf800000
	s_cmp_lg_u32 s12, 0x7f00000
	v_floor_f32_e32 v3, v3
	s_cselect_b32 s57, s13, 0x7e
	s_cmp_lt_u32 s30, 0x38800000
	v_fma_f32 v4, v3, s35, |v2|
	v_mov_b32_e32 v0, 0x46800000
	s_cselect_b64 s[12:13], -1, 0
	s_add_i32 s31, s31, 0x80fffff
	v_cvt_u32_f32_e32 v4, v4
	v_add_f32_e64 v0, |s52|, v0
	s_lshr_b32 s54, s31, 21
	v_cvt_u32_f32_e32 v3, v3
	v_readfirstlane_b32 s58, v0
	s_cmp_gt_u32 s30, 0x7f800000
	s_movk_i32 s30, 0x7f
	v_mov_b32_e32 v0, 0x43000000
	s_cselect_b32 s60, s30, 0x7e
	v_add_f32_e64 v0, |s52|, v0
	s_movk_i32 s30, 0x7c
	v_ashrrev_i32_e32 v2, 31, v2
	v_cvt_u32_f32_e32 v6, v1
	v_cvt_u32_f32_e32 v13, s52
	v_readfirstlane_b32 s55, v0
	s_cselect_b32 s56, 0x7f, s30
	s_and_b32 s30, s11, 0x7fff
	v_cvt_f64_f32_e32 v[0:1], s52
	v_cvt_f16_f32_e32 v11, s52
	v_xor_b32_e32 v4, v4, v2
	v_cvt_i32_f32_e32 v10, s52
	s_cmp_lg_u32 s30, 0
	v_xor_b32_e32 v3, v3, v2
	v_sub_co_u32_e32 v4, vcc, v4, v2
	s_cselect_b64 s[30:31], -1, 0
	v_subb_co_u32_e32 v5, vcc, v3, v2, vcc
	v_cndmask_b32_e64 v12, 0, 1, s[30:31]
	v_cmp_gt_i32_e32 vcc, s48, v15
	s_mov_b64 s[36:37], -1
	s_mov_b64 s[38:39], 0
	s_mov_b64 s[30:31], 0
	s_and_saveexec_b64 s[34:35], vcc
	s_cbranch_execz .LBB110_100
; %bb.2:
	v_mul_lo_u32 v2, v15, s10
	v_mov_b32_e32 v3, s9
	s_and_b32 s42, s33, 0xff
	s_cmp_lt_i32 s42, 11
	v_ashrrev_i32_e32 v9, 31, v2
	v_add_co_u32_e32 v8, vcc, s8, v2
	v_addc_co_u32_e32 v9, vcc, v3, v9, vcc
	s_cbranch_scc1 .LBB110_9
; %bb.3:
	s_and_b32 s43, 0xffff, s42
	s_cmp_gt_i32 s43, 25
	s_cbranch_scc0 .LBB110_12
; %bb.4:
	s_cmp_gt_i32 s43, 28
	s_cbranch_scc0 .LBB110_13
; %bb.5:
	;; [unrolled: 3-line block ×4, first 2 shown]
	s_mov_b64 s[40:41], 0
	s_mov_b64 s[30:31], -1
	s_cmp_eq_u32 s43, 46
	s_mov_b64 s[36:37], 0
	s_cbranch_scc0 .LBB110_16
; %bb.8:
	v_mov_b32_e32 v2, s64
	global_store_dword v[8:9], v2, off
	s_mov_b64 s[36:37], -1
	s_mov_b64 s[30:31], 0
	s_branch .LBB110_16
.LBB110_9:
	s_mov_b64 s[36:37], 0
	s_cbranch_execnz .LBB110_60
.LBB110_10:
	s_andn2_b64 vcc, exec, s[36:37]
	s_cbranch_vccnz .LBB110_98
.LBB110_11:
	v_add_u32_e32 v15, 0x80, v15
	s_mov_b64 s[36:37], -1
	s_branch .LBB110_99
.LBB110_12:
	s_mov_b64 s[36:37], 0
	s_cbranch_execnz .LBB110_38
	s_branch .LBB110_59
.LBB110_13:
	s_mov_b64 s[40:41], -1
	s_mov_b64 s[36:37], 0
	s_branch .LBB110_24
.LBB110_14:
	s_mov_b64 s[40:41], -1
	s_mov_b64 s[36:37], 0
	s_branch .LBB110_20
.LBB110_15:
	s_mov_b64 s[40:41], -1
	s_mov_b64 s[36:37], 0
.LBB110_16:
	s_and_b64 vcc, exec, s[40:41]
	s_cbranch_vccz .LBB110_19
; %bb.17:
	s_cmp_eq_u32 s43, 44
	s_mov_b64 s[30:31], -1
	s_cbranch_scc0 .LBB110_19
; %bb.18:
	v_mov_b32_e32 v2, 0xffff
	v_cndmask_b32_e64 v2, v14, v2, s[0:1]
	global_store_byte v[8:9], v2, off
	s_mov_b64 s[36:37], -1
	s_mov_b64 s[30:31], 0
.LBB110_19:
	s_mov_b64 s[40:41], 0
.LBB110_20:
	s_and_b64 vcc, exec, s[40:41]
	s_cbranch_vccz .LBB110_23
; %bb.21:
	s_cmp_eq_u32 s43, 29
	s_mov_b64 s[30:31], -1
	s_cbranch_scc0 .LBB110_23
; %bb.22:
	global_store_dwordx2 v[8:9], v[6:7], off
	s_mov_b64 s[36:37], -1
	s_mov_b64 s[30:31], 0
.LBB110_23:
	s_mov_b64 s[40:41], 0
.LBB110_24:
	s_and_b64 vcc, exec, s[40:41]
	s_cbranch_vccz .LBB110_37
; %bb.25:
	s_cmp_lt_i32 s43, 27
	s_mov_b64 s[36:37], -1
	s_cbranch_scc1 .LBB110_31
; %bb.26:
	s_cmp_gt_i32 s43, 27
	s_cbranch_scc0 .LBB110_28
; %bb.27:
	s_mov_b64 s[36:37], 0
	global_store_dword v[8:9], v13, off
.LBB110_28:
	s_andn2_b64 vcc, exec, s[36:37]
	s_cbranch_vccnz .LBB110_30
; %bb.29:
	global_store_short v[8:9], v13, off
.LBB110_30:
	s_mov_b64 s[36:37], 0
.LBB110_31:
	s_andn2_b64 vcc, exec, s[36:37]
	s_cbranch_vccnz .LBB110_36
; %bb.32:
	s_andn2_b64 vcc, exec, s[26:27]
	s_movk_i32 s36, 0x80
	s_cbranch_vccnz .LBB110_35
; %bb.33:
	s_or_b64 s[36:37], s[24:25], s[28:29]
	s_andn2_b64 vcc, exec, s[36:37]
	s_mov_b32 s36, 0
	s_cbranch_vccnz .LBB110_35
; %bb.34:
	s_and_b64 s[36:37], s[24:25], exec
	s_cselect_b32 s36, s62, s63
	s_or_b32 s36, s36, s53
.LBB110_35:
	v_mov_b32_e32 v2, s36
	global_store_byte v[8:9], v2, off
.LBB110_36:
	s_mov_b64 s[36:37], -1
.LBB110_37:
	s_branch .LBB110_59
.LBB110_38:
	s_cmp_gt_i32 s43, 22
	s_mov_b64 s[40:41], -1
	s_cbranch_scc0 .LBB110_51
; %bb.39:
	s_cmp_lt_i32 s43, 24
	s_mov_b64 s[36:37], -1
	s_cbranch_scc1 .LBB110_48
; %bb.40:
	s_cmp_gt_i32 s43, 24
	s_cbranch_scc0 .LBB110_45
; %bb.41:
	s_andn2_b64 vcc, exec, s[20:21]
	s_movk_i32 s36, 0x80
	s_cbranch_vccnz .LBB110_44
; %bb.42:
	s_or_b64 s[36:37], s[18:19], s[22:23]
	s_andn2_b64 vcc, exec, s[36:37]
	s_mov_b32 s36, 0
	s_cbranch_vccnz .LBB110_44
; %bb.43:
	s_and_b64 s[36:37], s[18:19], exec
	s_cselect_b32 s36, s59, s61
	s_or_b32 s36, s36, s53
.LBB110_44:
	v_mov_b32_e32 v2, s36
	s_mov_b64 s[36:37], 0
	global_store_byte v[8:9], v2, off
.LBB110_45:
	s_and_b64 vcc, exec, s[36:37]
	s_cbranch_vccz .LBB110_47
; %bb.46:
	s_and_b64 s[36:37], s[16:17], exec
	s_cselect_b32 s40, s58, s57
	s_and_b64 s[36:37], s[14:15], exec
	s_cselect_b32 s36, s60, s40
	s_or_b32 s36, s36, s53
	v_mov_b32_e32 v2, s36
	global_store_byte v[8:9], v2, off
.LBB110_47:
	s_mov_b64 s[36:37], 0
.LBB110_48:
	s_andn2_b64 vcc, exec, s[36:37]
	s_cbranch_vccnz .LBB110_50
; %bb.49:
	s_and_b64 s[36:37], s[12:13], exec
	s_cselect_b32 s40, s55, s54
	s_and_b64 s[36:37], s[6:7], exec
	s_cselect_b32 s36, s56, s40
	s_or_b32 s36, s36, s53
	v_mov_b32_e32 v2, s36
	global_store_byte v[8:9], v2, off
.LBB110_50:
	s_mov_b64 s[40:41], 0
	s_mov_b64 s[36:37], -1
.LBB110_51:
	s_andn2_b64 vcc, exec, s[40:41]
	s_cbranch_vccnz .LBB110_59
; %bb.52:
	s_cmp_gt_i32 s43, 14
	s_mov_b64 s[40:41], -1
	s_cbranch_scc0 .LBB110_56
; %bb.53:
	s_cmp_eq_u32 s43, 15
	s_mov_b64 s[30:31], -1
	s_cbranch_scc0 .LBB110_55
; %bb.54:
	v_mov_b32_e32 v2, s11
	global_store_short v[8:9], v2, off
	s_mov_b64 s[36:37], -1
	s_mov_b64 s[30:31], 0
.LBB110_55:
	s_mov_b64 s[40:41], 0
.LBB110_56:
	s_and_b64 vcc, exec, s[40:41]
	s_cbranch_vccz .LBB110_59
; %bb.57:
	s_cmp_eq_u32 s43, 11
	s_mov_b64 s[30:31], -1
	s_cbranch_scc0 .LBB110_59
; %bb.58:
	s_mov_b64 s[36:37], -1
	s_mov_b64 s[30:31], 0
	global_store_byte v[8:9], v12, off
.LBB110_59:
	s_branch .LBB110_10
.LBB110_60:
	s_and_b32 s40, 0xffff, s42
	s_cmp_lt_i32 s40, 5
	s_mov_b64 s[36:37], -1
	s_cbranch_scc1 .LBB110_81
; %bb.61:
	s_cmp_lt_i32 s40, 8
	s_cbranch_scc1 .LBB110_71
; %bb.62:
	s_cmp_lt_i32 s40, 9
	s_cbranch_scc1 .LBB110_68
; %bb.63:
	s_cmp_gt_i32 s40, 9
	s_cbranch_scc0 .LBB110_65
; %bb.64:
	v_mov_b32_e32 v2, 0
	v_mov_b32_e32 v3, v2
	global_store_dwordx4 v[8:9], v[0:3], off
	s_mov_b64 s[36:37], 0
.LBB110_65:
	s_andn2_b64 vcc, exec, s[36:37]
	s_cbranch_vccnz .LBB110_67
; %bb.66:
	v_mov_b32_e32 v2, s52
	v_mov_b32_e32 v3, 0
	global_store_dwordx2 v[8:9], v[2:3], off
.LBB110_67:
	s_mov_b64 s[36:37], 0
.LBB110_68:
	s_andn2_b64 vcc, exec, s[36:37]
	s_cbranch_vccnz .LBB110_70
; %bb.69:
	global_store_dword v[8:9], v11, off
.LBB110_70:
	s_mov_b64 s[36:37], 0
.LBB110_71:
	s_andn2_b64 vcc, exec, s[36:37]
	s_cbranch_vccnz .LBB110_80
; %bb.72:
	s_cmp_lt_i32 s40, 6
	s_mov_b64 s[36:37], -1
	s_cbranch_scc1 .LBB110_78
; %bb.73:
	s_cmp_gt_i32 s40, 6
	s_cbranch_scc0 .LBB110_75
; %bb.74:
	global_store_dwordx2 v[8:9], v[0:1], off
	s_mov_b64 s[36:37], 0
.LBB110_75:
	s_andn2_b64 vcc, exec, s[36:37]
	s_cbranch_vccnz .LBB110_77
; %bb.76:
	v_mov_b32_e32 v2, s52
	global_store_dword v[8:9], v2, off
.LBB110_77:
	s_mov_b64 s[36:37], 0
.LBB110_78:
	s_andn2_b64 vcc, exec, s[36:37]
	s_cbranch_vccnz .LBB110_80
; %bb.79:
	global_store_short v[8:9], v11, off
.LBB110_80:
	s_mov_b64 s[36:37], 0
.LBB110_81:
	s_andn2_b64 vcc, exec, s[36:37]
	s_cbranch_vccnz .LBB110_97
; %bb.82:
	s_cmp_lt_i32 s40, 2
	s_mov_b64 s[36:37], -1
	s_cbranch_scc1 .LBB110_92
; %bb.83:
	s_cmp_lt_i32 s40, 3
	s_cbranch_scc1 .LBB110_89
; %bb.84:
	s_cmp_gt_i32 s40, 3
	s_cbranch_scc0 .LBB110_86
; %bb.85:
	global_store_dwordx2 v[8:9], v[4:5], off
	s_mov_b64 s[36:37], 0
.LBB110_86:
	s_andn2_b64 vcc, exec, s[36:37]
	s_cbranch_vccnz .LBB110_88
; %bb.87:
	global_store_dword v[8:9], v10, off
.LBB110_88:
	s_mov_b64 s[36:37], 0
.LBB110_89:
	s_andn2_b64 vcc, exec, s[36:37]
	s_cbranch_vccnz .LBB110_91
; %bb.90:
	global_store_short v[8:9], v10, off
.LBB110_91:
	s_mov_b64 s[36:37], 0
.LBB110_92:
	s_andn2_b64 vcc, exec, s[36:37]
	s_cbranch_vccnz .LBB110_97
; %bb.93:
	s_cmp_gt_i32 s40, 0
	s_mov_b64 s[36:37], -1
	s_cbranch_scc0 .LBB110_95
; %bb.94:
	global_store_byte v[8:9], v10, off
	s_mov_b64 s[36:37], 0
.LBB110_95:
	s_andn2_b64 vcc, exec, s[36:37]
	s_cbranch_vccnz .LBB110_97
; %bb.96:
	global_store_byte v[8:9], v4, off
.LBB110_97:
	s_branch .LBB110_11
.LBB110_98:
	s_mov_b64 s[36:37], 0
                                        ; implicit-def: $vgpr15
.LBB110_99:
	s_and_b64 s[30:31], s[30:31], exec
	s_orn2_b64 s[36:37], s[36:37], exec
.LBB110_100:
	s_or_b64 exec, exec, s[34:35]
	s_mov_b64 s[40:41], 0
                                        ; implicit-def: $sgpr65
                                        ; implicit-def: $vgpr8_vgpr9
	s_and_saveexec_b64 s[34:35], s[36:37]
	s_cbranch_execz .LBB110_109
; %bb.101:
	v_cmp_gt_i32_e32 vcc, s48, v15
	s_mov_b64 s[42:43], -1
	s_mov_b64 s[36:37], s[30:31]
	s_and_saveexec_b64 s[38:39], vcc
	s_cbranch_execz .LBB110_204
; %bb.102:
	v_mul_lo_u32 v2, v15, s10
	v_mov_b32_e32 v3, s9
	s_and_b32 s44, s33, 0xff
	s_cmp_lt_i32 s44, 11
	v_ashrrev_i32_e32 v9, 31, v2
	v_add_co_u32_e32 v8, vcc, s8, v2
	v_addc_co_u32_e32 v9, vcc, v3, v9, vcc
	s_cbranch_scc1 .LBB110_112
; %bb.103:
	s_and_b32 s45, 0xffff, s44
	s_cmp_gt_i32 s45, 25
	s_cbranch_scc0 .LBB110_115
; %bb.104:
	s_cmp_gt_i32 s45, 28
	s_cbranch_scc0 .LBB110_116
; %bb.105:
	;; [unrolled: 3-line block ×4, first 2 shown]
	s_mov_b64 s[42:43], 0
	s_mov_b64 s[36:37], -1
	s_cmp_eq_u32 s45, 46
	s_cbranch_scc0 .LBB110_119
; %bb.108:
	v_mov_b32_e32 v2, s64
	global_store_dword v[8:9], v2, off
	s_mov_b64 s[40:41], -1
	s_mov_b64 s[36:37], 0
	s_branch .LBB110_119
.LBB110_109:
	s_or_b64 exec, exec, s[34:35]
	s_mov_b64 s[0:1], 0
	s_and_saveexec_b64 s[6:7], s[30:31]
	s_cbranch_execnz .LBB110_364
.LBB110_110:
	s_or_b64 exec, exec, s[6:7]
	s_and_saveexec_b64 s[6:7], s[38:39]
	s_xor_b64 s[6:7], exec, s[6:7]
	s_cbranch_execz .LBB110_365
.LBB110_111:
	global_store_byte v[8:9], v12, off
	s_or_b64 exec, exec, s[6:7]
	s_and_saveexec_b64 s[6:7], s[40:41]
	s_xor_b64 s[6:7], exec, s[6:7]
	s_cbranch_execz .LBB110_403
	s_branch .LBB110_366
.LBB110_112:
	s_mov_b64 s[36:37], s[30:31]
	s_and_b64 vcc, exec, s[42:43]
	s_cbranch_vccnz .LBB110_164
.LBB110_113:
	s_andn2_b64 vcc, exec, s[40:41]
	s_cbranch_vccnz .LBB110_202
.LBB110_114:
	v_add_u32_e32 v15, 0x80, v15
	s_mov_b64 s[40:41], -1
	s_branch .LBB110_203
.LBB110_115:
	s_mov_b64 s[36:37], s[30:31]
	s_branch .LBB110_141
.LBB110_116:
	s_mov_b64 s[36:37], s[30:31]
	s_branch .LBB110_127
.LBB110_117:
	s_mov_b64 s[36:37], s[30:31]
	s_branch .LBB110_123
.LBB110_118:
	s_mov_b64 s[36:37], s[30:31]
.LBB110_119:
	s_and_b64 vcc, exec, s[42:43]
	s_cbranch_vccz .LBB110_122
; %bb.120:
	s_cmp_eq_u32 s45, 44
	s_mov_b64 s[36:37], -1
	s_cbranch_scc0 .LBB110_122
; %bb.121:
	v_mov_b32_e32 v2, 0xffff
	v_cndmask_b32_e64 v2, v14, v2, s[0:1]
	s_mov_b64 s[40:41], -1
	s_mov_b64 s[36:37], 0
	global_store_byte v[8:9], v2, off
.LBB110_122:
	s_mov_b64 s[42:43], 0
.LBB110_123:
	s_and_b64 vcc, exec, s[42:43]
	s_cbranch_vccz .LBB110_126
; %bb.124:
	s_cmp_eq_u32 s45, 29
	s_mov_b64 s[36:37], -1
	s_cbranch_scc0 .LBB110_126
; %bb.125:
	global_store_dwordx2 v[8:9], v[6:7], off
	s_mov_b64 s[40:41], -1
	s_mov_b64 s[36:37], 0
.LBB110_126:
	s_mov_b64 s[42:43], 0
.LBB110_127:
	s_and_b64 vcc, exec, s[42:43]
	s_cbranch_vccz .LBB110_140
; %bb.128:
	s_cmp_lt_i32 s45, 27
	s_mov_b64 s[40:41], -1
	s_cbranch_scc1 .LBB110_134
; %bb.129:
	s_cmp_gt_i32 s45, 27
	s_cbranch_scc0 .LBB110_131
; %bb.130:
	s_mov_b64 s[40:41], 0
	global_store_dword v[8:9], v13, off
.LBB110_131:
	s_andn2_b64 vcc, exec, s[40:41]
	s_cbranch_vccnz .LBB110_133
; %bb.132:
	global_store_short v[8:9], v13, off
.LBB110_133:
	s_mov_b64 s[40:41], 0
.LBB110_134:
	s_andn2_b64 vcc, exec, s[40:41]
	s_cbranch_vccnz .LBB110_139
; %bb.135:
	s_andn2_b64 vcc, exec, s[26:27]
	s_movk_i32 s40, 0x80
	s_cbranch_vccnz .LBB110_138
; %bb.136:
	s_or_b64 s[40:41], s[24:25], s[28:29]
	s_andn2_b64 vcc, exec, s[40:41]
	s_mov_b32 s40, 0
	s_cbranch_vccnz .LBB110_138
; %bb.137:
	s_and_b64 s[40:41], s[24:25], exec
	s_cselect_b32 s40, s62, s63
	s_or_b32 s40, s40, s53
.LBB110_138:
	v_mov_b32_e32 v2, s40
	global_store_byte v[8:9], v2, off
.LBB110_139:
	s_mov_b64 s[40:41], -1
.LBB110_140:
	s_mov_b64 s[42:43], 0
.LBB110_141:
	s_and_b64 vcc, exec, s[42:43]
	s_cbranch_vccz .LBB110_163
; %bb.142:
	s_cmp_gt_i32 s45, 22
	s_mov_b64 s[42:43], -1
	s_cbranch_scc0 .LBB110_155
; %bb.143:
	s_cmp_lt_i32 s45, 24
	s_mov_b64 s[40:41], -1
	s_cbranch_scc1 .LBB110_152
; %bb.144:
	s_cmp_gt_i32 s45, 24
	s_cbranch_scc0 .LBB110_149
; %bb.145:
	s_andn2_b64 vcc, exec, s[20:21]
	s_movk_i32 s40, 0x80
	s_cbranch_vccnz .LBB110_148
; %bb.146:
	s_or_b64 s[40:41], s[18:19], s[22:23]
	s_andn2_b64 vcc, exec, s[40:41]
	s_mov_b32 s40, 0
	s_cbranch_vccnz .LBB110_148
; %bb.147:
	s_and_b64 s[40:41], s[18:19], exec
	s_cselect_b32 s40, s59, s61
	s_or_b32 s40, s40, s53
.LBB110_148:
	v_mov_b32_e32 v2, s40
	s_mov_b64 s[40:41], 0
	global_store_byte v[8:9], v2, off
.LBB110_149:
	s_and_b64 vcc, exec, s[40:41]
	s_cbranch_vccz .LBB110_151
; %bb.150:
	s_and_b64 s[40:41], s[16:17], exec
	s_cselect_b32 s42, s58, s57
	s_and_b64 s[40:41], s[14:15], exec
	s_cselect_b32 s40, s60, s42
	s_or_b32 s40, s40, s53
	v_mov_b32_e32 v2, s40
	global_store_byte v[8:9], v2, off
.LBB110_151:
	s_mov_b64 s[40:41], 0
.LBB110_152:
	s_andn2_b64 vcc, exec, s[40:41]
	s_cbranch_vccnz .LBB110_154
; %bb.153:
	s_and_b64 s[40:41], s[12:13], exec
	s_cselect_b32 s42, s55, s54
	s_and_b64 s[40:41], s[6:7], exec
	s_cselect_b32 s40, s56, s42
	s_or_b32 s40, s40, s53
	v_mov_b32_e32 v2, s40
	global_store_byte v[8:9], v2, off
.LBB110_154:
	s_mov_b64 s[42:43], 0
	s_mov_b64 s[40:41], -1
.LBB110_155:
	s_andn2_b64 vcc, exec, s[42:43]
	s_cbranch_vccnz .LBB110_163
; %bb.156:
	s_cmp_gt_i32 s45, 14
	s_mov_b64 s[42:43], -1
	s_cbranch_scc0 .LBB110_160
; %bb.157:
	s_cmp_eq_u32 s45, 15
	s_mov_b64 s[36:37], -1
	s_cbranch_scc0 .LBB110_159
; %bb.158:
	v_mov_b32_e32 v2, s11
	global_store_short v[8:9], v2, off
	s_mov_b64 s[40:41], -1
	s_mov_b64 s[36:37], 0
.LBB110_159:
	s_mov_b64 s[42:43], 0
.LBB110_160:
	s_and_b64 vcc, exec, s[42:43]
	s_cbranch_vccz .LBB110_163
; %bb.161:
	s_cmp_eq_u32 s45, 11
	s_mov_b64 s[36:37], -1
	s_cbranch_scc0 .LBB110_163
; %bb.162:
	s_mov_b64 s[40:41], -1
	s_mov_b64 s[36:37], 0
	global_store_byte v[8:9], v12, off
.LBB110_163:
	s_branch .LBB110_113
.LBB110_164:
	s_and_b32 s42, 0xffff, s44
	s_cmp_lt_i32 s42, 5
	s_mov_b64 s[40:41], -1
	s_cbranch_scc1 .LBB110_185
; %bb.165:
	s_cmp_lt_i32 s42, 8
	s_cbranch_scc1 .LBB110_175
; %bb.166:
	s_cmp_lt_i32 s42, 9
	s_cbranch_scc1 .LBB110_172
; %bb.167:
	s_cmp_gt_i32 s42, 9
	s_cbranch_scc0 .LBB110_169
; %bb.168:
	v_mov_b32_e32 v2, 0
	v_mov_b32_e32 v3, v2
	s_mov_b64 s[40:41], 0
	global_store_dwordx4 v[8:9], v[0:3], off
.LBB110_169:
	s_andn2_b64 vcc, exec, s[40:41]
	s_cbranch_vccnz .LBB110_171
; %bb.170:
	v_mov_b32_e32 v2, s52
	v_mov_b32_e32 v3, 0
	global_store_dwordx2 v[8:9], v[2:3], off
.LBB110_171:
	s_mov_b64 s[40:41], 0
.LBB110_172:
	s_andn2_b64 vcc, exec, s[40:41]
	s_cbranch_vccnz .LBB110_174
; %bb.173:
	global_store_dword v[8:9], v11, off
.LBB110_174:
	s_mov_b64 s[40:41], 0
.LBB110_175:
	s_andn2_b64 vcc, exec, s[40:41]
	s_cbranch_vccnz .LBB110_184
; %bb.176:
	s_cmp_lt_i32 s42, 6
	s_mov_b64 s[40:41], -1
	s_cbranch_scc1 .LBB110_182
; %bb.177:
	s_cmp_gt_i32 s42, 6
	s_cbranch_scc0 .LBB110_179
; %bb.178:
	s_mov_b64 s[40:41], 0
	global_store_dwordx2 v[8:9], v[0:1], off
.LBB110_179:
	s_andn2_b64 vcc, exec, s[40:41]
	s_cbranch_vccnz .LBB110_181
; %bb.180:
	v_mov_b32_e32 v2, s52
	global_store_dword v[8:9], v2, off
.LBB110_181:
	s_mov_b64 s[40:41], 0
.LBB110_182:
	s_andn2_b64 vcc, exec, s[40:41]
	s_cbranch_vccnz .LBB110_184
; %bb.183:
	global_store_short v[8:9], v11, off
.LBB110_184:
	s_mov_b64 s[40:41], 0
.LBB110_185:
	s_andn2_b64 vcc, exec, s[40:41]
	s_cbranch_vccnz .LBB110_201
; %bb.186:
	s_cmp_lt_i32 s42, 2
	s_mov_b64 s[40:41], -1
	s_cbranch_scc1 .LBB110_196
; %bb.187:
	s_cmp_lt_i32 s42, 3
	s_cbranch_scc1 .LBB110_193
; %bb.188:
	s_cmp_gt_i32 s42, 3
	s_cbranch_scc0 .LBB110_190
; %bb.189:
	s_mov_b64 s[40:41], 0
	global_store_dwordx2 v[8:9], v[4:5], off
.LBB110_190:
	s_andn2_b64 vcc, exec, s[40:41]
	s_cbranch_vccnz .LBB110_192
; %bb.191:
	global_store_dword v[8:9], v10, off
.LBB110_192:
	s_mov_b64 s[40:41], 0
.LBB110_193:
	s_andn2_b64 vcc, exec, s[40:41]
	s_cbranch_vccnz .LBB110_195
; %bb.194:
	global_store_short v[8:9], v10, off
.LBB110_195:
	s_mov_b64 s[40:41], 0
.LBB110_196:
	s_andn2_b64 vcc, exec, s[40:41]
	s_cbranch_vccnz .LBB110_201
; %bb.197:
	s_cmp_gt_i32 s42, 0
	s_mov_b64 s[40:41], -1
	s_cbranch_scc0 .LBB110_199
; %bb.198:
	s_mov_b64 s[40:41], 0
	global_store_byte v[8:9], v10, off
.LBB110_199:
	s_andn2_b64 vcc, exec, s[40:41]
	s_cbranch_vccnz .LBB110_201
; %bb.200:
	global_store_byte v[8:9], v4, off
.LBB110_201:
	s_branch .LBB110_114
.LBB110_202:
	s_mov_b64 s[40:41], 0
                                        ; implicit-def: $vgpr15
.LBB110_203:
	s_andn2_b64 s[42:43], s[30:31], exec
	s_and_b64 s[36:37], s[36:37], exec
	s_or_b64 s[36:37], s[42:43], s[36:37]
	s_orn2_b64 s[42:43], s[40:41], exec
.LBB110_204:
	s_or_b64 exec, exec, s[38:39]
	s_mov_b64 s[44:45], 0
	s_mov_b64 s[40:41], 0
                                        ; implicit-def: $sgpr65
                                        ; implicit-def: $vgpr8_vgpr9
	s_and_saveexec_b64 s[38:39], s[42:43]
	s_cbranch_execz .LBB110_363
; %bb.205:
	v_cmp_gt_i32_e32 vcc, s48, v15
	s_mov_b64 s[46:47], -1
	s_mov_b64 s[42:43], s[36:37]
	s_and_saveexec_b64 s[40:41], vcc
	s_cbranch_execz .LBB110_306
; %bb.206:
	v_mul_lo_u32 v2, v15, s10
	v_mov_b32_e32 v3, s9
	s_and_b32 s49, s33, 0xff
	s_cmp_lt_i32 s49, 11
	v_ashrrev_i32_e32 v9, 31, v2
	v_add_co_u32_e32 v8, vcc, s8, v2
	v_addc_co_u32_e32 v9, vcc, v3, v9, vcc
	s_cbranch_scc1 .LBB110_213
; %bb.207:
	s_and_b32 s50, 0xffff, s49
	s_cmp_gt_i32 s50, 25
	s_cbranch_scc0 .LBB110_214
; %bb.208:
	s_cmp_gt_i32 s50, 28
	s_cbranch_scc0 .LBB110_215
; %bb.209:
	;; [unrolled: 3-line block ×4, first 2 shown]
	s_mov_b64 s[46:47], 0
	s_mov_b64 s[42:43], -1
	s_cmp_eq_u32 s50, 46
	s_cbranch_scc0 .LBB110_218
; %bb.212:
	v_mov_b32_e32 v2, s64
	global_store_dword v[8:9], v2, off
	s_mov_b64 s[44:45], -1
	s_mov_b64 s[42:43], 0
	s_branch .LBB110_218
.LBB110_213:
	s_mov_b64 s[42:43], s[36:37]
	s_branch .LBB110_263
.LBB110_214:
	s_mov_b64 s[42:43], s[36:37]
	s_branch .LBB110_240
.LBB110_215:
	s_mov_b64 s[42:43], s[36:37]
	s_branch .LBB110_226
.LBB110_216:
	s_mov_b64 s[42:43], s[36:37]
	s_branch .LBB110_222
.LBB110_217:
	s_mov_b64 s[42:43], s[36:37]
.LBB110_218:
	s_and_b64 vcc, exec, s[46:47]
	s_cbranch_vccz .LBB110_221
; %bb.219:
	s_cmp_eq_u32 s50, 44
	s_mov_b64 s[42:43], -1
	s_cbranch_scc0 .LBB110_221
; %bb.220:
	v_mov_b32_e32 v2, 0xffff
	v_cndmask_b32_e64 v2, v14, v2, s[0:1]
	s_mov_b64 s[44:45], -1
	s_mov_b64 s[42:43], 0
	global_store_byte v[8:9], v2, off
.LBB110_221:
	s_mov_b64 s[46:47], 0
.LBB110_222:
	s_and_b64 vcc, exec, s[46:47]
	s_cbranch_vccz .LBB110_225
; %bb.223:
	s_cmp_eq_u32 s50, 29
	s_mov_b64 s[42:43], -1
	s_cbranch_scc0 .LBB110_225
; %bb.224:
	global_store_dwordx2 v[8:9], v[6:7], off
	s_mov_b64 s[44:45], -1
	s_mov_b64 s[42:43], 0
.LBB110_225:
	s_mov_b64 s[46:47], 0
.LBB110_226:
	s_and_b64 vcc, exec, s[46:47]
	s_cbranch_vccz .LBB110_239
; %bb.227:
	s_cmp_lt_i32 s50, 27
	s_mov_b64 s[44:45], -1
	s_cbranch_scc1 .LBB110_233
; %bb.228:
	s_cmp_gt_i32 s50, 27
	s_cbranch_scc0 .LBB110_230
; %bb.229:
	s_mov_b64 s[44:45], 0
	global_store_dword v[8:9], v13, off
.LBB110_230:
	s_andn2_b64 vcc, exec, s[44:45]
	s_cbranch_vccnz .LBB110_232
; %bb.231:
	global_store_short v[8:9], v13, off
.LBB110_232:
	s_mov_b64 s[44:45], 0
.LBB110_233:
	s_andn2_b64 vcc, exec, s[44:45]
	s_cbranch_vccnz .LBB110_238
; %bb.234:
	s_andn2_b64 vcc, exec, s[26:27]
	s_movk_i32 s44, 0x80
	s_cbranch_vccnz .LBB110_237
; %bb.235:
	s_or_b64 s[44:45], s[24:25], s[28:29]
	s_andn2_b64 vcc, exec, s[44:45]
	s_mov_b32 s44, 0
	s_cbranch_vccnz .LBB110_237
; %bb.236:
	s_and_b64 s[44:45], s[24:25], exec
	s_cselect_b32 s44, s62, s63
	s_or_b32 s44, s44, s53
.LBB110_237:
	v_mov_b32_e32 v2, s44
	global_store_byte v[8:9], v2, off
.LBB110_238:
	s_mov_b64 s[44:45], -1
.LBB110_239:
	s_mov_b64 s[46:47], 0
.LBB110_240:
	s_and_b64 vcc, exec, s[46:47]
	s_cbranch_vccz .LBB110_262
; %bb.241:
	s_cmp_gt_i32 s50, 22
	s_mov_b64 s[46:47], -1
	s_cbranch_scc0 .LBB110_254
; %bb.242:
	s_cmp_lt_i32 s50, 24
	s_mov_b64 s[44:45], -1
	s_cbranch_scc1 .LBB110_251
; %bb.243:
	s_cmp_gt_i32 s50, 24
	s_cbranch_scc0 .LBB110_248
; %bb.244:
	s_andn2_b64 vcc, exec, s[20:21]
	s_movk_i32 s44, 0x80
	s_cbranch_vccnz .LBB110_247
; %bb.245:
	s_or_b64 s[44:45], s[18:19], s[22:23]
	s_andn2_b64 vcc, exec, s[44:45]
	s_mov_b32 s44, 0
	s_cbranch_vccnz .LBB110_247
; %bb.246:
	s_and_b64 s[44:45], s[18:19], exec
	s_cselect_b32 s44, s59, s61
	s_or_b32 s44, s44, s53
.LBB110_247:
	v_mov_b32_e32 v2, s44
	s_mov_b64 s[44:45], 0
	global_store_byte v[8:9], v2, off
.LBB110_248:
	s_and_b64 vcc, exec, s[44:45]
	s_cbranch_vccz .LBB110_250
; %bb.249:
	s_and_b64 s[44:45], s[16:17], exec
	s_cselect_b32 s46, s58, s57
	s_and_b64 s[44:45], s[14:15], exec
	s_cselect_b32 s44, s60, s46
	s_or_b32 s44, s44, s53
	v_mov_b32_e32 v2, s44
	global_store_byte v[8:9], v2, off
.LBB110_250:
	s_mov_b64 s[44:45], 0
.LBB110_251:
	s_andn2_b64 vcc, exec, s[44:45]
	s_cbranch_vccnz .LBB110_253
; %bb.252:
	s_and_b64 s[44:45], s[12:13], exec
	s_cselect_b32 s46, s55, s54
	s_and_b64 s[44:45], s[6:7], exec
	s_cselect_b32 s44, s56, s46
	s_or_b32 s44, s44, s53
	v_mov_b32_e32 v2, s44
	global_store_byte v[8:9], v2, off
.LBB110_253:
	s_mov_b64 s[46:47], 0
	s_mov_b64 s[44:45], -1
.LBB110_254:
	s_andn2_b64 vcc, exec, s[46:47]
	s_cbranch_vccnz .LBB110_262
; %bb.255:
	s_cmp_gt_i32 s50, 14
	s_mov_b64 s[46:47], -1
	s_cbranch_scc0 .LBB110_259
; %bb.256:
	s_cmp_eq_u32 s50, 15
	s_mov_b64 s[42:43], -1
	s_cbranch_scc0 .LBB110_258
; %bb.257:
	v_mov_b32_e32 v2, s11
	global_store_short v[8:9], v2, off
	s_mov_b64 s[44:45], -1
	s_mov_b64 s[42:43], 0
.LBB110_258:
	s_mov_b64 s[46:47], 0
.LBB110_259:
	s_and_b64 vcc, exec, s[46:47]
	s_cbranch_vccz .LBB110_262
; %bb.260:
	s_cmp_eq_u32 s50, 11
	s_mov_b64 s[42:43], -1
	s_cbranch_scc0 .LBB110_262
; %bb.261:
	s_mov_b64 s[44:45], -1
	s_mov_b64 s[42:43], 0
	global_store_byte v[8:9], v12, off
.LBB110_262:
	s_mov_b64 s[46:47], 0
.LBB110_263:
	s_and_b64 vcc, exec, s[46:47]
	s_cbranch_vccz .LBB110_302
; %bb.264:
	s_and_b32 s46, 0xffff, s49
	s_cmp_lt_i32 s46, 5
	s_mov_b64 s[44:45], -1
	s_cbranch_scc1 .LBB110_285
; %bb.265:
	s_cmp_lt_i32 s46, 8
	s_cbranch_scc1 .LBB110_275
; %bb.266:
	s_cmp_lt_i32 s46, 9
	s_cbranch_scc1 .LBB110_272
; %bb.267:
	s_cmp_gt_i32 s46, 9
	s_cbranch_scc0 .LBB110_269
; %bb.268:
	v_mov_b32_e32 v2, 0
	v_mov_b32_e32 v3, v2
	s_mov_b64 s[44:45], 0
	global_store_dwordx4 v[8:9], v[0:3], off
.LBB110_269:
	s_andn2_b64 vcc, exec, s[44:45]
	s_cbranch_vccnz .LBB110_271
; %bb.270:
	v_mov_b32_e32 v2, s52
	v_mov_b32_e32 v3, 0
	global_store_dwordx2 v[8:9], v[2:3], off
.LBB110_271:
	s_mov_b64 s[44:45], 0
.LBB110_272:
	s_andn2_b64 vcc, exec, s[44:45]
	s_cbranch_vccnz .LBB110_274
; %bb.273:
	global_store_dword v[8:9], v11, off
.LBB110_274:
	s_mov_b64 s[44:45], 0
.LBB110_275:
	s_andn2_b64 vcc, exec, s[44:45]
	s_cbranch_vccnz .LBB110_284
; %bb.276:
	s_cmp_lt_i32 s46, 6
	s_mov_b64 s[44:45], -1
	s_cbranch_scc1 .LBB110_282
; %bb.277:
	s_cmp_gt_i32 s46, 6
	s_cbranch_scc0 .LBB110_279
; %bb.278:
	s_mov_b64 s[44:45], 0
	global_store_dwordx2 v[8:9], v[0:1], off
.LBB110_279:
	s_andn2_b64 vcc, exec, s[44:45]
	s_cbranch_vccnz .LBB110_281
; %bb.280:
	v_mov_b32_e32 v2, s52
	global_store_dword v[8:9], v2, off
.LBB110_281:
	s_mov_b64 s[44:45], 0
.LBB110_282:
	s_andn2_b64 vcc, exec, s[44:45]
	s_cbranch_vccnz .LBB110_284
; %bb.283:
	global_store_short v[8:9], v11, off
.LBB110_284:
	s_mov_b64 s[44:45], 0
.LBB110_285:
	s_andn2_b64 vcc, exec, s[44:45]
	s_cbranch_vccnz .LBB110_301
; %bb.286:
	s_cmp_lt_i32 s46, 2
	s_mov_b64 s[44:45], -1
	s_cbranch_scc1 .LBB110_296
; %bb.287:
	s_cmp_lt_i32 s46, 3
	s_cbranch_scc1 .LBB110_293
; %bb.288:
	s_cmp_gt_i32 s46, 3
	s_cbranch_scc0 .LBB110_290
; %bb.289:
	s_mov_b64 s[44:45], 0
	global_store_dwordx2 v[8:9], v[4:5], off
.LBB110_290:
	s_andn2_b64 vcc, exec, s[44:45]
	s_cbranch_vccnz .LBB110_292
; %bb.291:
	global_store_dword v[8:9], v10, off
.LBB110_292:
	s_mov_b64 s[44:45], 0
.LBB110_293:
	s_andn2_b64 vcc, exec, s[44:45]
	s_cbranch_vccnz .LBB110_295
; %bb.294:
	global_store_short v[8:9], v10, off
.LBB110_295:
	s_mov_b64 s[44:45], 0
.LBB110_296:
	s_andn2_b64 vcc, exec, s[44:45]
	s_cbranch_vccnz .LBB110_301
; %bb.297:
	s_cmp_gt_i32 s46, 0
	s_mov_b64 s[44:45], -1
	s_cbranch_scc0 .LBB110_299
; %bb.298:
	s_mov_b64 s[44:45], 0
	global_store_byte v[8:9], v10, off
.LBB110_299:
	s_andn2_b64 vcc, exec, s[44:45]
	s_cbranch_vccnz .LBB110_301
; %bb.300:
	global_store_byte v[8:9], v4, off
.LBB110_301:
	s_mov_b64 s[44:45], -1
.LBB110_302:
	s_andn2_b64 vcc, exec, s[44:45]
	s_cbranch_vccnz .LBB110_304
; %bb.303:
	v_add_u32_e32 v15, 0x80, v15
	s_mov_b64 s[44:45], -1
	s_branch .LBB110_305
.LBB110_304:
	s_mov_b64 s[44:45], 0
                                        ; implicit-def: $vgpr15
.LBB110_305:
	s_andn2_b64 s[46:47], s[36:37], exec
	s_and_b64 s[42:43], s[42:43], exec
	s_or_b64 s[42:43], s[46:47], s[42:43]
	s_orn2_b64 s[46:47], s[44:45], exec
.LBB110_306:
	s_or_b64 exec, exec, s[40:41]
	s_mov_b64 s[44:45], 0
	s_mov_b64 s[50:51], 0
                                        ; implicit-def: $sgpr65
                                        ; implicit-def: $vgpr8_vgpr9
	s_and_saveexec_b64 s[40:41], s[46:47]
	s_cbranch_execz .LBB110_362
; %bb.307:
	v_cmp_gt_i32_e32 vcc, s48, v15
	s_mov_b64 s[48:49], 0
	s_mov_b64 s[46:47], s[42:43]
                                        ; implicit-def: $sgpr65
                                        ; implicit-def: $vgpr8_vgpr9
	s_and_saveexec_b64 s[44:45], vcc
	s_cbranch_execz .LBB110_361
; %bb.308:
	v_mul_lo_u32 v2, v15, s10
	v_mov_b32_e32 v3, s9
	s_and_b32 s65, s33, 0xff
	s_cmp_lt_i32 s65, 11
	v_ashrrev_i32_e32 v9, 31, v2
	v_add_co_u32_e32 v8, vcc, s8, v2
	v_addc_co_u32_e32 v9, vcc, v3, v9, vcc
	s_cbranch_scc1 .LBB110_358
; %bb.309:
	s_and_b32 s50, 0xffff, s65
	s_mov_b64 s[48:49], -1
	s_cmp_gt_i32 s50, 25
	s_mov_b64 s[46:47], s[42:43]
	s_cbranch_scc0 .LBB110_337
; %bb.310:
	s_cmp_gt_i32 s50, 28
	s_mov_b64 s[46:47], s[42:43]
	s_cbranch_scc0 .LBB110_324
; %bb.311:
	;; [unrolled: 4-line block ×4, first 2 shown]
	s_cmp_eq_u32 s50, 46
	s_mov_b64 s[46:47], -1
	s_cbranch_scc0 .LBB110_315
; %bb.314:
	v_mov_b32_e32 v2, s64
	global_store_dword v[8:9], v2, off
	s_mov_b64 s[46:47], 0
.LBB110_315:
	s_mov_b64 s[48:49], 0
.LBB110_316:
	s_and_b64 vcc, exec, s[48:49]
	s_cbranch_vccz .LBB110_319
; %bb.317:
	s_cmp_eq_u32 s50, 44
	s_mov_b64 s[46:47], -1
	s_cbranch_scc0 .LBB110_319
; %bb.318:
	v_mov_b32_e32 v2, 0xffff
	v_cndmask_b32_e64 v2, v14, v2, s[0:1]
	global_store_byte v[8:9], v2, off
	s_mov_b64 s[46:47], 0
.LBB110_319:
	s_mov_b64 s[48:49], 0
.LBB110_320:
	s_and_b64 vcc, exec, s[48:49]
	s_cbranch_vccz .LBB110_323
; %bb.321:
	s_cmp_eq_u32 s50, 29
	s_mov_b64 s[46:47], -1
	s_cbranch_scc0 .LBB110_323
; %bb.322:
	global_store_dwordx2 v[8:9], v[6:7], off
	s_mov_b64 s[46:47], 0
.LBB110_323:
	s_mov_b64 s[48:49], 0
.LBB110_324:
	s_and_b64 vcc, exec, s[48:49]
	s_cbranch_vccz .LBB110_336
; %bb.325:
	s_cmp_lt_i32 s50, 27
	s_mov_b64 s[0:1], -1
	s_cbranch_scc1 .LBB110_331
; %bb.326:
	s_cmp_gt_i32 s50, 27
	s_cbranch_scc0 .LBB110_328
; %bb.327:
	s_mov_b64 s[0:1], 0
	global_store_dword v[8:9], v13, off
.LBB110_328:
	s_andn2_b64 vcc, exec, s[0:1]
	s_cbranch_vccnz .LBB110_330
; %bb.329:
	global_store_short v[8:9], v13, off
.LBB110_330:
	s_mov_b64 s[0:1], 0
.LBB110_331:
	s_andn2_b64 vcc, exec, s[0:1]
	s_cbranch_vccnz .LBB110_336
; %bb.332:
	s_andn2_b64 vcc, exec, s[26:27]
	s_movk_i32 s0, 0x80
	s_cbranch_vccnz .LBB110_335
; %bb.333:
	s_or_b64 s[0:1], s[24:25], s[28:29]
	s_andn2_b64 vcc, exec, s[0:1]
	s_mov_b32 s0, 0
	s_cbranch_vccnz .LBB110_335
; %bb.334:
	s_and_b64 s[0:1], s[24:25], exec
	s_cselect_b32 s0, s62, s63
	s_or_b32 s0, s0, s53
.LBB110_335:
	v_mov_b32_e32 v2, s0
	global_store_byte v[8:9], v2, off
.LBB110_336:
	s_mov_b64 s[48:49], 0
.LBB110_337:
	s_mov_b64 s[0:1], 0
	s_and_b64 vcc, exec, s[48:49]
	s_cbranch_vccz .LBB110_359
; %bb.338:
	s_cmp_gt_i32 s50, 22
	s_mov_b64 s[24:25], -1
	s_cbranch_scc0 .LBB110_351
; %bb.339:
	s_cmp_lt_i32 s50, 24
	s_cbranch_scc1 .LBB110_348
; %bb.340:
	s_cmp_gt_i32 s50, 24
	s_cbranch_scc0 .LBB110_345
; %bb.341:
	s_andn2_b64 vcc, exec, s[20:21]
	s_movk_i32 s20, 0x80
	s_cbranch_vccnz .LBB110_344
; %bb.342:
	s_or_b64 s[20:21], s[18:19], s[22:23]
	s_andn2_b64 vcc, exec, s[20:21]
	s_mov_b32 s20, 0
	s_cbranch_vccnz .LBB110_344
; %bb.343:
	s_and_b64 s[18:19], s[18:19], exec
	s_cselect_b32 s18, s59, s61
	s_or_b32 s20, s18, s53
.LBB110_344:
	v_mov_b32_e32 v2, s20
	s_mov_b64 s[24:25], 0
	global_store_byte v[8:9], v2, off
.LBB110_345:
	s_and_b64 vcc, exec, s[24:25]
	s_cbranch_vccz .LBB110_347
; %bb.346:
	s_and_b64 s[16:17], s[16:17], exec
	s_cselect_b32 s16, s58, s57
	s_and_b64 s[14:15], s[14:15], exec
	s_cselect_b32 s14, s60, s16
	s_or_b32 s14, s14, s53
	v_mov_b32_e32 v2, s14
	global_store_byte v[8:9], v2, off
.LBB110_347:
	s_mov_b64 s[24:25], 0
.LBB110_348:
	s_andn2_b64 vcc, exec, s[24:25]
	s_cbranch_vccnz .LBB110_350
; %bb.349:
	s_and_b64 s[12:13], s[12:13], exec
	s_cselect_b32 s12, s55, s54
	s_and_b64 s[6:7], s[6:7], exec
	s_cselect_b32 s6, s56, s12
	s_or_b32 s6, s6, s53
	v_mov_b32_e32 v2, s6
	global_store_byte v[8:9], v2, off
.LBB110_350:
	s_mov_b64 s[24:25], 0
.LBB110_351:
	s_andn2_b64 vcc, exec, s[24:25]
	s_mov_b64 s[6:7], 0
	s_cbranch_vccnz .LBB110_360
; %bb.352:
	s_cmp_gt_i32 s50, 14
	s_mov_b64 s[12:13], -1
	s_cbranch_scc0 .LBB110_356
; %bb.353:
	s_cmp_eq_u32 s50, 15
	s_mov_b64 s[46:47], -1
	s_cbranch_scc0 .LBB110_355
; %bb.354:
	v_mov_b32_e32 v2, s11
	global_store_short v[8:9], v2, off
	s_mov_b64 s[46:47], 0
.LBB110_355:
	s_mov_b64 s[12:13], 0
.LBB110_356:
	s_and_b64 vcc, exec, s[12:13]
	s_cbranch_vccz .LBB110_360
; %bb.357:
	s_cmp_lg_u32 s50, 11
	s_cselect_b64 s[12:13], -1, 0
	s_andn2_b64 s[14:15], s[46:47], exec
	s_and_b64 s[12:13], s[12:13], exec
	s_mov_b64 s[6:7], -1
	s_or_b64 s[46:47], s[14:15], s[12:13]
	s_branch .LBB110_360
.LBB110_358:
	s_mov_b64 s[6:7], 0
	s_mov_b64 s[0:1], -1
	s_mov_b64 s[46:47], s[42:43]
	s_branch .LBB110_360
.LBB110_359:
	s_mov_b64 s[6:7], 0
.LBB110_360:
	s_and_b64 s[50:51], s[0:1], exec
	s_and_b64 s[48:49], s[6:7], exec
	s_andn2_b64 s[0:1], s[42:43], exec
	s_and_b64 s[6:7], s[46:47], exec
	s_or_b64 s[46:47], s[0:1], s[6:7]
.LBB110_361:
	s_or_b64 exec, exec, s[44:45]
	s_andn2_b64 s[0:1], s[42:43], exec
	s_and_b64 s[6:7], s[46:47], exec
	s_and_b64 s[50:51], s[50:51], exec
	;; [unrolled: 1-line block ×3, first 2 shown]
	s_or_b64 s[42:43], s[0:1], s[6:7]
.LBB110_362:
	s_or_b64 exec, exec, s[40:41]
	s_andn2_b64 s[0:1], s[36:37], exec
	s_and_b64 s[6:7], s[42:43], exec
	s_and_b64 s[40:41], s[50:51], exec
	;; [unrolled: 1-line block ×3, first 2 shown]
	s_or_b64 s[36:37], s[0:1], s[6:7]
.LBB110_363:
	s_or_b64 exec, exec, s[38:39]
	s_andn2_b64 s[0:1], s[30:31], exec
	s_and_b64 s[6:7], s[36:37], exec
	s_and_b64 s[40:41], s[40:41], exec
	;; [unrolled: 1-line block ×3, first 2 shown]
	s_or_b64 s[30:31], s[0:1], s[6:7]
	s_or_b64 exec, exec, s[34:35]
	s_mov_b64 s[0:1], 0
	s_and_saveexec_b64 s[6:7], s[30:31]
	s_cbranch_execz .LBB110_110
.LBB110_364:
	s_mov_b64 s[0:1], exec
	s_andn2_b64 s[38:39], s[38:39], exec
	s_trap 2
	s_or_b64 exec, exec, s[6:7]
	s_and_saveexec_b64 s[6:7], s[38:39]
	s_xor_b64 s[6:7], exec, s[6:7]
	s_cbranch_execnz .LBB110_111
.LBB110_365:
	s_or_b64 exec, exec, s[6:7]
	s_and_saveexec_b64 s[6:7], s[40:41]
	s_xor_b64 s[6:7], exec, s[6:7]
	s_cbranch_execz .LBB110_403
.LBB110_366:
	s_sext_i32_i16 s14, s65
	s_cmp_lt_i32 s14, 5
	s_mov_b64 s[12:13], -1
	s_cbranch_scc1 .LBB110_387
; %bb.367:
	s_cmp_lt_i32 s14, 8
	s_cbranch_scc1 .LBB110_377
; %bb.368:
	s_cmp_lt_i32 s14, 9
	s_cbranch_scc1 .LBB110_374
; %bb.369:
	s_cmp_gt_i32 s14, 9
	s_cbranch_scc0 .LBB110_371
; %bb.370:
	v_mov_b32_e32 v2, 0
	v_mov_b32_e32 v3, v2
	s_mov_b64 s[12:13], 0
	global_store_dwordx4 v[8:9], v[0:3], off
.LBB110_371:
	s_andn2_b64 vcc, exec, s[12:13]
	s_cbranch_vccnz .LBB110_373
; %bb.372:
	v_mov_b32_e32 v2, s52
	v_mov_b32_e32 v3, 0
	global_store_dwordx2 v[8:9], v[2:3], off
.LBB110_373:
	s_mov_b64 s[12:13], 0
.LBB110_374:
	s_andn2_b64 vcc, exec, s[12:13]
	s_cbranch_vccnz .LBB110_376
; %bb.375:
	global_store_dword v[8:9], v11, off
.LBB110_376:
	s_mov_b64 s[12:13], 0
.LBB110_377:
	s_andn2_b64 vcc, exec, s[12:13]
	s_cbranch_vccnz .LBB110_386
; %bb.378:
	s_sext_i32_i16 s14, s65
	s_cmp_lt_i32 s14, 6
	s_mov_b64 s[12:13], -1
	s_cbranch_scc1 .LBB110_384
; %bb.379:
	s_cmp_gt_i32 s14, 6
	s_cbranch_scc0 .LBB110_381
; %bb.380:
	s_mov_b64 s[12:13], 0
	global_store_dwordx2 v[8:9], v[0:1], off
.LBB110_381:
	s_andn2_b64 vcc, exec, s[12:13]
	s_cbranch_vccnz .LBB110_383
; %bb.382:
	v_mov_b32_e32 v0, s52
	global_store_dword v[8:9], v0, off
.LBB110_383:
	s_mov_b64 s[12:13], 0
.LBB110_384:
	s_andn2_b64 vcc, exec, s[12:13]
	s_cbranch_vccnz .LBB110_386
; %bb.385:
	global_store_short v[8:9], v11, off
.LBB110_386:
	s_mov_b64 s[12:13], 0
.LBB110_387:
	s_andn2_b64 vcc, exec, s[12:13]
	s_cbranch_vccnz .LBB110_403
; %bb.388:
	s_sext_i32_i16 s14, s65
	s_cmp_lt_i32 s14, 2
	s_mov_b64 s[12:13], -1
	s_cbranch_scc1 .LBB110_398
; %bb.389:
	s_cmp_lt_i32 s14, 3
	s_cbranch_scc1 .LBB110_395
; %bb.390:
	s_cmp_gt_i32 s14, 3
	s_cbranch_scc0 .LBB110_392
; %bb.391:
	s_mov_b64 s[12:13], 0
	global_store_dwordx2 v[8:9], v[4:5], off
.LBB110_392:
	s_andn2_b64 vcc, exec, s[12:13]
	s_cbranch_vccnz .LBB110_394
; %bb.393:
	global_store_dword v[8:9], v10, off
.LBB110_394:
	s_mov_b64 s[12:13], 0
.LBB110_395:
	s_andn2_b64 vcc, exec, s[12:13]
	s_cbranch_vccnz .LBB110_397
; %bb.396:
	global_store_short v[8:9], v10, off
.LBB110_397:
	s_mov_b64 s[12:13], 0
.LBB110_398:
	s_andn2_b64 vcc, exec, s[12:13]
	s_cbranch_vccnz .LBB110_403
; %bb.399:
	s_sext_i32_i16 s12, s65
	s_cmp_gt_i32 s12, 0
	s_mov_b64 s[12:13], -1
	s_cbranch_scc0 .LBB110_401
; %bb.400:
	s_mov_b64 s[12:13], 0
	global_store_byte v[8:9], v10, off
.LBB110_401:
	s_andn2_b64 vcc, exec, s[12:13]
	s_cbranch_vccnz .LBB110_403
; %bb.402:
	global_store_byte v[8:9], v4, off
.LBB110_403:
	s_or_b64 exec, exec, s[6:7]
	s_and_b64 s[0:1], s[0:1], exec
                                        ; implicit-def: $vgpr15
.LBB110_404:
	s_or_saveexec_b64 s[2:3], s[2:3]
	s_mov_b64 s[12:13], 0
                                        ; implicit-def: $sgpr18
                                        ; implicit-def: $vgpr0_vgpr1
	s_xor_b64 exec, exec, s[2:3]
	s_cbranch_execz .LBB110_433
; %bb.405:
	v_mul_lo_u32 v2, s10, v15
	v_mov_b32_e32 v1, s9
	s_and_b32 s18, s33, 0xff
	s_cmp_lt_i32 s18, 11
	v_ashrrev_i32_e32 v3, 31, v2
	v_add_co_u32_e32 v0, vcc, s8, v2
	v_addc_co_u32_e32 v1, vcc, v1, v3, vcc
	s_cbranch_scc1 .LBB110_436
; %bb.406:
	s_and_b32 s16, 0xffff, s18
	s_mov_b64 s[6:7], -1
	s_cmp_gt_i32 s16, 25
	s_mov_b64 s[14:15], 0
	s_cbranch_scc0 .LBB110_446
; %bb.407:
	s_cmp_gt_i32 s16, 28
	s_cbranch_scc0 .LBB110_422
; %bb.408:
	s_cmp_gt_i32 s16, 43
	;; [unrolled: 3-line block ×3, first 2 shown]
	s_cbranch_scc0 .LBB110_412
; %bb.410:
	s_mov_b64 s[4:5], -1
	s_mov_b64 s[6:7], 0
	s_cmp_eq_u32 s16, 46
	s_cbranch_scc0 .LBB110_412
; %bb.411:
	s_and_b32 s4, 0xffff, s11
	v_mov_b32_e32 v3, s4
	global_store_dword v[0:1], v3, off
	s_mov_b64 s[4:5], 0
	s_mov_b64 s[14:15], -1
.LBB110_412:
	s_and_b64 vcc, exec, s[6:7]
	s_cbranch_vccz .LBB110_417
; %bb.413:
	s_cmp_eq_u32 s16, 44
	s_mov_b64 s[4:5], -1
	s_cbranch_scc0 .LBB110_417
; %bb.414:
	s_and_b32 s5, 0xffff, s11
	s_bfe_u32 s4, s5, 0x80007
	s_cmpk_eq_i32 s4, 0xff
	v_mov_b32_e32 v3, 0xff
	s_cbranch_scc1 .LBB110_416
; %bb.415:
	s_lshr_b32 s14, s5, 7
	s_lshl_b32 s15, s5, 16
	s_bitcmp1_b32 s5, 6
	s_cselect_b64 s[6:7], -1, 0
	s_and_b32 s5, s15, 0x3f0000
	s_or_b32 s4, s4, s5
	s_cmp_lg_u32 s4, 0
	s_cselect_b64 s[4:5], -1, 0
	s_and_b64 s[4:5], s[6:7], s[4:5]
	v_cndmask_b32_e64 v3, 0, 1, s[4:5]
	v_add_u32_e32 v3, s14, v3
.LBB110_416:
	s_mov_b64 s[4:5], 0
	s_mov_b64 s[14:15], -1
	global_store_byte v[0:1], v3, off
.LBB110_417:
	s_mov_b64 s[6:7], 0
.LBB110_418:
	s_and_b64 vcc, exec, s[6:7]
	s_cbranch_vccz .LBB110_421
; %bb.419:
	s_cmp_eq_u32 s16, 29
	s_mov_b64 s[4:5], -1
	s_cbranch_scc0 .LBB110_421
; %bb.420:
	s_lshl_b32 s4, s11, 16
	v_trunc_f32_e32 v3, s4
	v_mul_f32_e32 v4, 0x2f800000, v3
	v_floor_f32_e32 v5, v4
	v_fmac_f32_e32 v3, 0xcf800000, v5
	v_cvt_u32_f32_e32 v4, v5
	v_cvt_u32_f32_e32 v3, v3
	s_mov_b64 s[4:5], 0
	s_mov_b64 s[14:15], -1
	global_store_dwordx2 v[0:1], v[3:4], off
.LBB110_421:
	s_mov_b64 s[6:7], 0
.LBB110_422:
	s_and_b64 vcc, exec, s[6:7]
	s_cbranch_vccz .LBB110_445
; %bb.423:
	s_cmp_lt_i32 s16, 27
	s_mov_b64 s[6:7], -1
	s_cbranch_scc1 .LBB110_429
; %bb.424:
	s_cmp_gt_i32 s16, 27
	s_cbranch_scc0 .LBB110_426
; %bb.425:
	s_lshl_b32 s6, s11, 16
	v_cvt_u32_f32_e32 v3, s6
	s_mov_b64 s[6:7], 0
	global_store_dword v[0:1], v3, off
.LBB110_426:
	s_andn2_b64 vcc, exec, s[6:7]
	s_cbranch_vccnz .LBB110_428
; %bb.427:
	s_lshl_b32 s6, s11, 16
	v_cvt_u32_f32_e32 v3, s6
	global_store_short v[0:1], v3, off
.LBB110_428:
	s_mov_b64 s[6:7], 0
.LBB110_429:
	s_andn2_b64 vcc, exec, s[6:7]
	s_cbranch_vccnz .LBB110_444
; %bb.430:
	s_lshl_b32 s19, s11, 16
	s_and_b32 s6, s19, 0x7fffffff
	s_cmp_gt_u32 s6, 0x437fffff
	v_mov_b32_e32 v4, 0x80
	s_cbranch_scc1 .LBB110_443
; %bb.431:
	s_and_b32 s17, 0xffff, s11
	s_cmp_gt_u32 s6, 0x3bffffff
	s_cbranch_scc0 .LBB110_438
; %bb.432:
	s_bfe_u32 s6, s17, 0x10004
	s_add_i32 s6, s19, s6
	s_add_i32 s6, s6, 0x487ffff
	s_lshr_b32 s20, s6, 20
	s_mov_b64 s[14:15], 0
	s_mov_b64 s[6:7], -1
	s_branch .LBB110_439
.LBB110_433:
	s_or_b64 exec, exec, s[2:3]
	s_and_saveexec_b64 s[2:3], s[0:1]
	s_cbranch_execz .LBB110_834
.LBB110_434:
	; divergent unreachable
	s_or_b64 exec, exec, s[2:3]
	s_and_saveexec_b64 s[0:1], s[4:5]
	s_xor_b64 s[0:1], exec, s[0:1]
	s_cbranch_execnz .LBB110_835
.LBB110_435:
	s_or_b64 exec, exec, s[0:1]
	s_and_saveexec_b64 s[0:1], s[12:13]
	s_cbranch_execnz .LBB110_836
	s_branch .LBB110_873
.LBB110_436:
	s_mov_b64 s[14:15], 0
	s_mov_b64 s[6:7], s[0:1]
	s_cbranch_execnz .LBB110_496
.LBB110_437:
	s_andn2_b64 vcc, exec, s[14:15]
	s_cbranch_vccz .LBB110_534
	s_branch .LBB110_832
.LBB110_438:
	s_mov_b64 s[14:15], -1
	s_mov_b64 s[6:7], 0
                                        ; implicit-def: $sgpr20
.LBB110_439:
	s_andn2_b64 vcc, exec, s[14:15]
	v_mov_b32_e32 v3, s20
	s_cbranch_vccnz .LBB110_441
; %bb.440:
	v_mov_b32_e32 v3, 0x46000000
	v_add_f32_e64 v3, |s19|, v3
	v_and_b32_e32 v3, 0xff, v3
	v_cmp_ne_u32_e64 s[6:7], 0, v3
.LBB110_441:
	s_andn2_b64 vcc, exec, s[6:7]
	v_mov_b32_e32 v4, 0
	s_cbranch_vccnz .LBB110_443
; %bb.442:
	s_lshr_b32 s6, s17, 8
	s_and_b32 s6, s6, 0x80
	v_or_b32_e32 v4, s6, v3
.LBB110_443:
	global_store_byte v[0:1], v4, off
.LBB110_444:
	s_mov_b64 s[14:15], -1
.LBB110_445:
	s_mov_b64 s[6:7], 0
.LBB110_446:
	s_and_b64 vcc, exec, s[6:7]
	s_cbranch_vccz .LBB110_492
; %bb.447:
	s_cmp_gt_i32 s16, 22
	s_mov_b64 s[6:7], -1
	s_cbranch_scc0 .LBB110_485
; %bb.448:
	s_cmp_lt_i32 s16, 24
	s_cbranch_scc1 .LBB110_472
; %bb.449:
	s_cmp_gt_i32 s16, 24
	s_cbranch_scc0 .LBB110_459
; %bb.450:
	s_lshl_b32 s15, s11, 16
	s_and_b32 s6, s15, 0x7fffffff
	s_cmp_gt_u32 s6, 0x477fffff
	v_mov_b32_e32 v4, 0x80
	s_cbranch_scc1 .LBB110_458
; %bb.451:
	s_and_b32 s14, 0xffff, s11
	s_cmp_gt_u32 s6, 0x37ffffff
	s_cbranch_scc0 .LBB110_453
; %bb.452:
	s_bfe_u32 s6, s14, 0x10005
	s_add_i32 s6, s15, s6
	s_add_i32 s6, s6, 0x88fffff
	s_lshr_b32 s17, s6, 21
	s_mov_b64 s[6:7], -1
	s_branch .LBB110_454
.LBB110_453:
	s_mov_b64 s[12:13], -1
	s_mov_b64 s[6:7], 0
                                        ; implicit-def: $sgpr17
.LBB110_454:
	s_andn2_b64 vcc, exec, s[12:13]
	v_mov_b32_e32 v3, s17
	s_cbranch_vccnz .LBB110_456
; %bb.455:
	v_mov_b32_e32 v3, 0x42800000
	v_add_f32_e64 v3, |s15|, v3
	v_and_b32_e32 v3, 0xff, v3
	v_cmp_ne_u32_e64 s[6:7], 0, v3
.LBB110_456:
	s_andn2_b64 vcc, exec, s[6:7]
	v_mov_b32_e32 v4, 0
	s_cbranch_vccnz .LBB110_458
; %bb.457:
	s_lshr_b32 s6, s14, 8
	s_and_b32 s6, s6, 0x80
	v_or_b32_e32 v4, s6, v3
.LBB110_458:
	s_mov_b64 s[6:7], 0
	global_store_byte v[0:1], v4, off
.LBB110_459:
	s_and_b64 vcc, exec, s[6:7]
	s_cbranch_vccz .LBB110_471
; %bb.460:
	s_lshl_b32 s14, s11, 16
	s_and_b32 s12, 0xffff, s11
	s_and_b32 s13, s14, 0x7fffffff
	s_cmp_lt_u32 s13, 0x43f00000
	s_cbranch_scc0 .LBB110_463
; %bb.461:
	s_cmp_gt_u32 s13, 0x3c7fffff
	s_cbranch_scc0 .LBB110_464
; %bb.462:
	s_bfe_u32 s6, s12, 0x10004
	s_add_i32 s6, s14, s6
	s_add_i32 s6, s6, 0x407ffff
	s_lshr_b32 s7, s6, 20
	s_and_b32 s6, s6, 0xff00000
	s_cmp_lg_u32 s6, 0x7f00000
	s_cselect_b32 s15, s7, 0x7e
	s_mov_b64 s[6:7], 0
	s_branch .LBB110_465
.LBB110_463:
	s_mov_b64 s[6:7], -1
                                        ; implicit-def: $vgpr3
	s_branch .LBB110_468
.LBB110_464:
	s_mov_b64 s[6:7], -1
                                        ; implicit-def: $sgpr15
.LBB110_465:
	s_andn2_b64 vcc, exec, s[6:7]
	v_mov_b32_e32 v3, s15
	s_cbranch_vccnz .LBB110_467
; %bb.466:
	v_mov_b32_e32 v3, 0x46800000
	v_add_f32_e64 v3, |s14|, v3
.LBB110_467:
	s_mov_b64 s[6:7], 0
.LBB110_468:
	s_andn2_b64 vcc, exec, s[6:7]
	s_cbranch_vccnz .LBB110_470
; %bb.469:
	s_cmp_gt_u32 s13, 0x7f800000
	s_movk_i32 s6, 0x7f
	s_cselect_b32 s6, s6, 0x7e
	v_mov_b32_e32 v3, s6
.LBB110_470:
	s_lshr_b32 s6, s12, 8
	s_and_b32 s6, s6, 0x80
	v_or_b32_e32 v3, s6, v3
	global_store_byte v[0:1], v3, off
.LBB110_471:
	s_mov_b64 s[6:7], 0
.LBB110_472:
	s_andn2_b64 vcc, exec, s[6:7]
	s_cbranch_vccnz .LBB110_484
; %bb.473:
	s_lshl_b32 s14, s11, 16
	s_and_b32 s12, 0xffff, s11
	s_and_b32 s13, s14, 0x7fffffff
	s_cmp_lt_u32 s13, 0x47800000
	s_cbranch_scc0 .LBB110_476
; %bb.474:
	s_cmp_gt_u32 s13, 0x387fffff
	s_cbranch_scc0 .LBB110_477
; %bb.475:
	s_bfe_u32 s6, s12, 0x10005
	s_add_i32 s6, s14, s6
	s_add_i32 s6, s6, 0x80fffff
	s_lshr_b32 s15, s6, 21
	s_mov_b64 s[6:7], 0
	s_branch .LBB110_478
.LBB110_476:
	s_mov_b64 s[6:7], -1
                                        ; implicit-def: $vgpr3
	s_branch .LBB110_481
.LBB110_477:
	s_mov_b64 s[6:7], -1
                                        ; implicit-def: $sgpr15
.LBB110_478:
	s_andn2_b64 vcc, exec, s[6:7]
	v_mov_b32_e32 v3, s15
	s_cbranch_vccnz .LBB110_480
; %bb.479:
	v_mov_b32_e32 v3, 0x43000000
	v_add_f32_e64 v3, |s14|, v3
.LBB110_480:
	s_mov_b64 s[6:7], 0
.LBB110_481:
	s_andn2_b64 vcc, exec, s[6:7]
	s_cbranch_vccnz .LBB110_483
; %bb.482:
	s_cmp_gt_u32 s13, 0x7f800000
	s_movk_i32 s6, 0x7f
	s_cselect_b32 s6, s6, 0x7c
	v_mov_b32_e32 v3, s6
.LBB110_483:
	s_lshr_b32 s6, s12, 8
	s_and_b32 s6, s6, 0x80
	v_or_b32_e32 v3, s6, v3
	global_store_byte v[0:1], v3, off
.LBB110_484:
	s_mov_b64 s[6:7], 0
	s_mov_b64 s[14:15], -1
.LBB110_485:
	s_andn2_b64 vcc, exec, s[6:7]
	s_mov_b64 s[12:13], 0
	s_cbranch_vccnz .LBB110_492
; %bb.486:
	s_cmp_gt_i32 s16, 14
	s_mov_b64 s[6:7], -1
	s_cbranch_scc0 .LBB110_490
; %bb.487:
	s_cmp_eq_u32 s16, 15
	s_mov_b64 s[4:5], -1
	s_cbranch_scc0 .LBB110_489
; %bb.488:
	v_mov_b32_e32 v3, s11
	global_store_short v[0:1], v3, off
	s_mov_b64 s[4:5], 0
	s_mov_b64 s[14:15], -1
.LBB110_489:
	s_mov_b64 s[6:7], 0
.LBB110_490:
	s_and_b64 vcc, exec, s[6:7]
	s_cbranch_vccz .LBB110_492
; %bb.491:
	s_cmp_lg_u32 s16, 11
	s_mov_b64 s[12:13], -1
	s_cselect_b64 s[4:5], -1, 0
.LBB110_492:
	s_and_b64 vcc, exec, s[4:5]
	s_mov_b64 s[6:7], s[0:1]
	s_cbranch_vccnz .LBB110_564
; %bb.493:
	s_andn2_b64 vcc, exec, s[12:13]
	s_cbranch_vccnz .LBB110_495
.LBB110_494:
	s_and_b32 s4, s11, 0x7fff
	s_cmp_lg_u32 s4, 0
	s_cselect_b64 s[4:5], -1, 0
	v_cndmask_b32_e64 v3, 0, 1, s[4:5]
	s_mov_b64 s[14:15], -1
	global_store_byte v[0:1], v3, off
.LBB110_495:
	s_branch .LBB110_437
.LBB110_496:
	s_and_b32 s12, 0xffff, s18
	s_cmp_lt_i32 s12, 5
	s_mov_b64 s[4:5], -1
	s_cbranch_scc1 .LBB110_517
; %bb.497:
	s_cmp_lt_i32 s12, 8
	s_cbranch_scc1 .LBB110_507
; %bb.498:
	s_cmp_lt_i32 s12, 9
	s_cbranch_scc1 .LBB110_504
; %bb.499:
	s_cmp_gt_i32 s12, 9
	s_cbranch_scc0 .LBB110_501
; %bb.500:
	s_lshl_b32 s4, s11, 16
	v_cvt_f64_f32_e32 v[3:4], s4
	v_mov_b32_e32 v5, 0
	v_mov_b32_e32 v6, v5
	s_mov_b64 s[4:5], 0
	global_store_dwordx4 v[0:1], v[3:6], off
.LBB110_501:
	s_andn2_b64 vcc, exec, s[4:5]
	s_cbranch_vccnz .LBB110_503
; %bb.502:
	s_lshl_b32 s4, s11, 16
	v_mov_b32_e32 v3, s4
	v_mov_b32_e32 v4, 0
	global_store_dwordx2 v[0:1], v[3:4], off
.LBB110_503:
	s_mov_b64 s[4:5], 0
.LBB110_504:
	s_andn2_b64 vcc, exec, s[4:5]
	s_cbranch_vccnz .LBB110_506
; %bb.505:
	s_lshl_b32 s4, s11, 16
	v_cvt_f16_f32_e32 v3, s4
	global_store_dword v[0:1], v3, off
.LBB110_506:
	s_mov_b64 s[4:5], 0
.LBB110_507:
	s_andn2_b64 vcc, exec, s[4:5]
	s_cbranch_vccnz .LBB110_516
; %bb.508:
	s_cmp_lt_i32 s12, 6
	s_mov_b64 s[4:5], -1
	s_cbranch_scc1 .LBB110_514
; %bb.509:
	s_cmp_gt_i32 s12, 6
	s_cbranch_scc0 .LBB110_511
; %bb.510:
	s_lshl_b32 s4, s11, 16
	v_cvt_f64_f32_e32 v[3:4], s4
	s_mov_b64 s[4:5], 0
	global_store_dwordx2 v[0:1], v[3:4], off
.LBB110_511:
	s_andn2_b64 vcc, exec, s[4:5]
	s_cbranch_vccnz .LBB110_513
; %bb.512:
	s_lshl_b32 s4, s11, 16
	v_mov_b32_e32 v3, s4
	global_store_dword v[0:1], v3, off
.LBB110_513:
	s_mov_b64 s[4:5], 0
.LBB110_514:
	s_andn2_b64 vcc, exec, s[4:5]
	s_cbranch_vccnz .LBB110_516
; %bb.515:
	s_lshl_b32 s4, s11, 16
	v_cvt_f16_f32_e32 v3, s4
	global_store_short v[0:1], v3, off
.LBB110_516:
	s_mov_b64 s[4:5], 0
.LBB110_517:
	s_andn2_b64 vcc, exec, s[4:5]
	s_cbranch_vccnz .LBB110_533
; %bb.518:
	s_cmp_lt_i32 s12, 2
	s_mov_b64 s[4:5], -1
	s_cbranch_scc1 .LBB110_528
; %bb.519:
	s_cmp_lt_i32 s12, 3
	s_cbranch_scc1 .LBB110_525
; %bb.520:
	s_cmp_gt_i32 s12, 3
	s_cbranch_scc0 .LBB110_522
; %bb.521:
	s_lshl_b32 s4, s11, 16
	v_trunc_f32_e32 v3, s4
	s_mov_b32 s4, 0x2f800000
	v_mul_f32_e64 v4, |v3|, s4
	v_floor_f32_e32 v4, v4
	s_mov_b32 s4, 0xcf800000
	v_fma_f32 v5, v4, s4, |v3|
	v_cvt_u32_f32_e32 v5, v5
	v_cvt_u32_f32_e32 v4, v4
	v_ashrrev_i32_e32 v6, 31, v3
	s_mov_b64 s[4:5], 0
	v_xor_b32_e32 v3, v5, v6
	v_xor_b32_e32 v4, v4, v6
	v_sub_co_u32_e32 v3, vcc, v3, v6
	v_subb_co_u32_e32 v4, vcc, v4, v6, vcc
	global_store_dwordx2 v[0:1], v[3:4], off
.LBB110_522:
	s_andn2_b64 vcc, exec, s[4:5]
	s_cbranch_vccnz .LBB110_524
; %bb.523:
	s_lshl_b32 s4, s11, 16
	v_cvt_i32_f32_e32 v3, s4
	global_store_dword v[0:1], v3, off
.LBB110_524:
	s_mov_b64 s[4:5], 0
.LBB110_525:
	s_andn2_b64 vcc, exec, s[4:5]
	s_cbranch_vccnz .LBB110_527
; %bb.526:
	s_lshl_b32 s4, s11, 16
	v_cvt_i32_f32_e32 v3, s4
	global_store_short v[0:1], v3, off
.LBB110_527:
	s_mov_b64 s[4:5], 0
.LBB110_528:
	s_andn2_b64 vcc, exec, s[4:5]
	s_cbranch_vccnz .LBB110_533
; %bb.529:
	s_cmp_gt_i32 s12, 0
	s_mov_b64 s[4:5], -1
	s_cbranch_scc0 .LBB110_531
; %bb.530:
	s_lshl_b32 s4, s11, 16
	v_cvt_i32_f32_e32 v3, s4
	s_mov_b64 s[4:5], 0
	global_store_byte v[0:1], v3, off
.LBB110_531:
	s_andn2_b64 vcc, exec, s[4:5]
	s_cbranch_vccnz .LBB110_533
; %bb.532:
	s_lshl_b32 s4, s11, 16
	v_trunc_f32_e32 v3, s4
	s_mov_b32 s4, 0x2f800000
	v_mul_f32_e64 v4, |v3|, s4
	v_floor_f32_e32 v4, v4
	s_mov_b32 s4, 0xcf800000
	v_fma_f32 v4, v4, s4, |v3|
	v_cvt_u32_f32_e32 v4, v4
	v_ashrrev_i32_e32 v3, 31, v3
	v_xor_b32_e32 v4, v4, v3
	v_sub_u32_e32 v3, v4, v3
	global_store_byte v[0:1], v3, off
.LBB110_533:
.LBB110_534:
	s_lshl_b32 s10, s10, 7
	v_add_u32_e32 v2, s10, v2
	v_ashrrev_i32_e32 v1, 31, v2
	v_mov_b32_e32 v3, s9
	v_add_co_u32_e32 v0, vcc, s8, v2
	s_cmp_lt_i32 s18, 11
	v_addc_co_u32_e32 v1, vcc, v3, v1, vcc
	s_cbranch_scc1 .LBB110_562
; %bb.535:
	s_and_b32 s19, 0xffff, s18
	s_mov_b64 s[16:17], -1
	s_mov_b64 s[12:13], 0
	s_cmp_gt_i32 s19, 25
	s_mov_b64 s[14:15], 0
	s_mov_b64 s[4:5], 0
	s_cbranch_scc0 .LBB110_573
; %bb.536:
	s_cmp_gt_i32 s19, 28
	s_cbranch_scc0 .LBB110_551
; %bb.537:
	s_cmp_gt_i32 s19, 43
	;; [unrolled: 3-line block ×3, first 2 shown]
	s_cbranch_scc0 .LBB110_541
; %bb.539:
	s_mov_b64 s[4:5], -1
	s_mov_b64 s[16:17], 0
	s_cmp_eq_u32 s19, 46
	s_cbranch_scc0 .LBB110_541
; %bb.540:
	s_and_b32 s4, 0xffff, s11
	v_mov_b32_e32 v3, s4
	global_store_dword v[0:1], v3, off
	s_mov_b64 s[4:5], 0
	s_mov_b64 s[14:15], -1
.LBB110_541:
	s_and_b64 vcc, exec, s[16:17]
	s_cbranch_vccz .LBB110_546
; %bb.542:
	s_cmp_eq_u32 s19, 44
	s_mov_b64 s[4:5], -1
	s_cbranch_scc0 .LBB110_546
; %bb.543:
	s_and_b32 s5, 0xffff, s11
	s_bfe_u32 s4, s5, 0x80007
	s_cmpk_eq_i32 s4, 0xff
	v_mov_b32_e32 v3, 0xff
	s_cbranch_scc1 .LBB110_545
; %bb.544:
	s_lshr_b32 s16, s5, 7
	s_lshl_b32 s17, s5, 16
	s_bitcmp1_b32 s5, 6
	s_cselect_b64 s[14:15], -1, 0
	s_and_b32 s5, s17, 0x3f0000
	s_or_b32 s4, s4, s5
	s_cmp_lg_u32 s4, 0
	s_cselect_b64 s[4:5], -1, 0
	s_and_b64 s[4:5], s[14:15], s[4:5]
	v_cndmask_b32_e64 v3, 0, 1, s[4:5]
	v_add_u32_e32 v3, s16, v3
.LBB110_545:
	s_mov_b64 s[4:5], 0
	s_mov_b64 s[14:15], -1
	global_store_byte v[0:1], v3, off
.LBB110_546:
	s_mov_b64 s[16:17], 0
.LBB110_547:
	s_and_b64 vcc, exec, s[16:17]
	s_cbranch_vccz .LBB110_550
; %bb.548:
	s_cmp_eq_u32 s19, 29
	s_mov_b64 s[4:5], -1
	s_cbranch_scc0 .LBB110_550
; %bb.549:
	s_lshl_b32 s4, s11, 16
	v_trunc_f32_e32 v3, s4
	v_mul_f32_e32 v4, 0x2f800000, v3
	v_floor_f32_e32 v5, v4
	v_fmac_f32_e32 v3, 0xcf800000, v5
	v_cvt_u32_f32_e32 v4, v5
	v_cvt_u32_f32_e32 v3, v3
	s_mov_b64 s[4:5], 0
	s_mov_b64 s[14:15], -1
	global_store_dwordx2 v[0:1], v[3:4], off
.LBB110_550:
	s_mov_b64 s[16:17], 0
.LBB110_551:
	s_and_b64 vcc, exec, s[16:17]
	s_cbranch_vccz .LBB110_572
; %bb.552:
	s_cmp_lt_i32 s19, 27
	s_mov_b64 s[14:15], -1
	s_cbranch_scc1 .LBB110_558
; %bb.553:
	s_cmp_gt_i32 s19, 27
	s_cbranch_scc0 .LBB110_555
; %bb.554:
	s_lshl_b32 s14, s11, 16
	v_cvt_u32_f32_e32 v3, s14
	s_mov_b64 s[14:15], 0
	global_store_dword v[0:1], v3, off
.LBB110_555:
	s_andn2_b64 vcc, exec, s[14:15]
	s_cbranch_vccnz .LBB110_557
; %bb.556:
	s_lshl_b32 s14, s11, 16
	v_cvt_u32_f32_e32 v3, s14
	global_store_short v[0:1], v3, off
.LBB110_557:
	s_mov_b64 s[14:15], 0
.LBB110_558:
	s_andn2_b64 vcc, exec, s[14:15]
	s_cbranch_vccnz .LBB110_571
; %bb.559:
	s_lshl_b32 s21, s11, 16
	s_and_b32 s14, s21, 0x7fffffff
	s_cmp_gt_u32 s14, 0x437fffff
	v_mov_b32_e32 v4, 0x80
	s_cbranch_scc1 .LBB110_570
; %bb.560:
	s_and_b32 s20, 0xffff, s11
	s_cmp_gt_u32 s14, 0x3bffffff
	s_cbranch_scc0 .LBB110_565
; %bb.561:
	s_bfe_u32 s14, s20, 0x10004
	s_add_i32 s14, s21, s14
	s_add_i32 s14, s14, 0x487ffff
	s_lshr_b32 s22, s14, 20
	s_mov_b64 s[16:17], 0
	s_mov_b64 s[14:15], -1
	s_branch .LBB110_566
.LBB110_562:
	s_mov_b64 s[14:15], 0
	s_cbranch_execnz .LBB110_623
.LBB110_563:
	s_andn2_b64 vcc, exec, s[14:15]
	s_cbranch_vccz .LBB110_661
	s_branch .LBB110_832
.LBB110_564:
	s_or_b64 s[6:7], s[0:1], exec
	s_trap 2
	s_cbranch_execz .LBB110_494
	s_branch .LBB110_495
.LBB110_565:
	s_mov_b64 s[16:17], -1
	s_mov_b64 s[14:15], 0
                                        ; implicit-def: $sgpr22
.LBB110_566:
	s_andn2_b64 vcc, exec, s[16:17]
	v_mov_b32_e32 v3, s22
	s_cbranch_vccnz .LBB110_568
; %bb.567:
	v_mov_b32_e32 v3, 0x46000000
	v_add_f32_e64 v3, |s21|, v3
	v_and_b32_e32 v3, 0xff, v3
	v_cmp_ne_u32_e64 s[14:15], 0, v3
.LBB110_568:
	s_andn2_b64 vcc, exec, s[14:15]
	v_mov_b32_e32 v4, 0
	s_cbranch_vccnz .LBB110_570
; %bb.569:
	s_lshr_b32 s14, s20, 8
	s_and_b32 s14, s14, 0x80
	v_or_b32_e32 v4, s14, v3
.LBB110_570:
	global_store_byte v[0:1], v4, off
.LBB110_571:
	s_mov_b64 s[14:15], -1
.LBB110_572:
	s_mov_b64 s[16:17], 0
.LBB110_573:
	s_and_b64 vcc, exec, s[16:17]
	s_cbranch_vccz .LBB110_619
; %bb.574:
	s_cmp_gt_i32 s19, 22
	s_mov_b64 s[12:13], -1
	s_cbranch_scc0 .LBB110_612
; %bb.575:
	s_cmp_lt_i32 s19, 24
	s_cbranch_scc1 .LBB110_599
; %bb.576:
	s_cmp_gt_i32 s19, 24
	s_cbranch_scc0 .LBB110_586
; %bb.577:
	s_lshl_b32 s17, s11, 16
	s_and_b32 s12, s17, 0x7fffffff
	s_cmp_gt_u32 s12, 0x477fffff
	v_mov_b32_e32 v4, 0x80
	s_cbranch_scc1 .LBB110_585
; %bb.578:
	s_and_b32 s16, 0xffff, s11
	s_cmp_gt_u32 s12, 0x37ffffff
	s_cbranch_scc0 .LBB110_580
; %bb.579:
	s_bfe_u32 s12, s16, 0x10005
	s_add_i32 s12, s17, s12
	s_add_i32 s12, s12, 0x88fffff
	s_lshr_b32 s20, s12, 21
	s_mov_b64 s[14:15], 0
	s_mov_b64 s[12:13], -1
	s_branch .LBB110_581
.LBB110_580:
	s_mov_b64 s[14:15], -1
	s_mov_b64 s[12:13], 0
                                        ; implicit-def: $sgpr20
.LBB110_581:
	s_andn2_b64 vcc, exec, s[14:15]
	v_mov_b32_e32 v3, s20
	s_cbranch_vccnz .LBB110_583
; %bb.582:
	v_mov_b32_e32 v3, 0x42800000
	v_add_f32_e64 v3, |s17|, v3
	v_and_b32_e32 v3, 0xff, v3
	v_cmp_ne_u32_e64 s[12:13], 0, v3
.LBB110_583:
	s_andn2_b64 vcc, exec, s[12:13]
	v_mov_b32_e32 v4, 0
	s_cbranch_vccnz .LBB110_585
; %bb.584:
	s_lshr_b32 s12, s16, 8
	s_and_b32 s12, s12, 0x80
	v_or_b32_e32 v4, s12, v3
.LBB110_585:
	s_mov_b64 s[12:13], 0
	global_store_byte v[0:1], v4, off
.LBB110_586:
	s_and_b64 vcc, exec, s[12:13]
	s_cbranch_vccz .LBB110_598
; %bb.587:
	s_lshl_b32 s16, s11, 16
	s_and_b32 s14, 0xffff, s11
	s_and_b32 s15, s16, 0x7fffffff
	s_cmp_lt_u32 s15, 0x43f00000
	s_cbranch_scc0 .LBB110_590
; %bb.588:
	s_cmp_gt_u32 s15, 0x3c7fffff
	s_cbranch_scc0 .LBB110_591
; %bb.589:
	s_bfe_u32 s12, s14, 0x10004
	s_add_i32 s12, s16, s12
	s_add_i32 s12, s12, 0x407ffff
	s_lshr_b32 s13, s12, 20
	s_and_b32 s12, s12, 0xff00000
	s_cmp_lg_u32 s12, 0x7f00000
	s_cselect_b32 s17, s13, 0x7e
	s_mov_b64 s[12:13], 0
	s_branch .LBB110_592
.LBB110_590:
	s_mov_b64 s[12:13], -1
                                        ; implicit-def: $vgpr3
	s_branch .LBB110_595
.LBB110_591:
	s_mov_b64 s[12:13], -1
                                        ; implicit-def: $sgpr17
.LBB110_592:
	s_andn2_b64 vcc, exec, s[12:13]
	v_mov_b32_e32 v3, s17
	s_cbranch_vccnz .LBB110_594
; %bb.593:
	v_mov_b32_e32 v3, 0x46800000
	v_add_f32_e64 v3, |s16|, v3
.LBB110_594:
	s_mov_b64 s[12:13], 0
.LBB110_595:
	s_andn2_b64 vcc, exec, s[12:13]
	s_cbranch_vccnz .LBB110_597
; %bb.596:
	s_cmp_gt_u32 s15, 0x7f800000
	s_movk_i32 s12, 0x7f
	s_cselect_b32 s12, s12, 0x7e
	v_mov_b32_e32 v3, s12
.LBB110_597:
	s_lshr_b32 s12, s14, 8
	s_and_b32 s12, s12, 0x80
	v_or_b32_e32 v3, s12, v3
	global_store_byte v[0:1], v3, off
.LBB110_598:
	s_mov_b64 s[12:13], 0
.LBB110_599:
	s_andn2_b64 vcc, exec, s[12:13]
	s_cbranch_vccnz .LBB110_611
; %bb.600:
	s_lshl_b32 s16, s11, 16
	s_and_b32 s14, 0xffff, s11
	s_and_b32 s15, s16, 0x7fffffff
	s_cmp_lt_u32 s15, 0x47800000
	s_cbranch_scc0 .LBB110_603
; %bb.601:
	s_cmp_gt_u32 s15, 0x387fffff
	s_cbranch_scc0 .LBB110_604
; %bb.602:
	s_bfe_u32 s12, s14, 0x10005
	s_add_i32 s12, s16, s12
	s_add_i32 s12, s12, 0x80fffff
	s_lshr_b32 s17, s12, 21
	s_mov_b64 s[12:13], 0
	s_branch .LBB110_605
.LBB110_603:
	s_mov_b64 s[12:13], -1
                                        ; implicit-def: $vgpr3
	s_branch .LBB110_608
.LBB110_604:
	s_mov_b64 s[12:13], -1
                                        ; implicit-def: $sgpr17
.LBB110_605:
	s_andn2_b64 vcc, exec, s[12:13]
	v_mov_b32_e32 v3, s17
	s_cbranch_vccnz .LBB110_607
; %bb.606:
	v_mov_b32_e32 v3, 0x43000000
	v_add_f32_e64 v3, |s16|, v3
.LBB110_607:
	s_mov_b64 s[12:13], 0
.LBB110_608:
	s_andn2_b64 vcc, exec, s[12:13]
	s_cbranch_vccnz .LBB110_610
; %bb.609:
	s_cmp_gt_u32 s15, 0x7f800000
	s_movk_i32 s12, 0x7f
	s_cselect_b32 s12, s12, 0x7c
	v_mov_b32_e32 v3, s12
.LBB110_610:
	s_lshr_b32 s12, s14, 8
	s_and_b32 s12, s12, 0x80
	v_or_b32_e32 v3, s12, v3
	global_store_byte v[0:1], v3, off
.LBB110_611:
	s_mov_b64 s[12:13], 0
	s_mov_b64 s[14:15], -1
.LBB110_612:
	s_andn2_b64 vcc, exec, s[12:13]
	s_mov_b64 s[12:13], 0
	s_cbranch_vccnz .LBB110_619
; %bb.613:
	s_cmp_gt_i32 s19, 14
	s_mov_b64 s[16:17], -1
	s_cbranch_scc0 .LBB110_617
; %bb.614:
	s_cmp_eq_u32 s19, 15
	s_mov_b64 s[4:5], -1
	s_cbranch_scc0 .LBB110_616
; %bb.615:
	v_mov_b32_e32 v3, s11
	global_store_short v[0:1], v3, off
	s_mov_b64 s[4:5], 0
	s_mov_b64 s[14:15], -1
.LBB110_616:
	s_mov_b64 s[16:17], 0
.LBB110_617:
	s_and_b64 vcc, exec, s[16:17]
	s_cbranch_vccz .LBB110_619
; %bb.618:
	s_cmp_lg_u32 s19, 11
	s_mov_b64 s[12:13], -1
	s_cselect_b64 s[4:5], -1, 0
.LBB110_619:
	s_and_b64 vcc, exec, s[4:5]
	s_cbranch_vccnz .LBB110_721
; %bb.620:
	s_andn2_b64 vcc, exec, s[12:13]
	s_cbranch_vccnz .LBB110_622
.LBB110_621:
	s_and_b32 s4, s11, 0x7fff
	s_cmp_lg_u32 s4, 0
	s_cselect_b64 s[4:5], -1, 0
	v_cndmask_b32_e64 v3, 0, 1, s[4:5]
	s_mov_b64 s[14:15], -1
	global_store_byte v[0:1], v3, off
.LBB110_622:
	s_branch .LBB110_563
.LBB110_623:
	s_and_b32 s12, 0xffff, s18
	s_cmp_lt_i32 s12, 5
	s_mov_b64 s[4:5], -1
	s_cbranch_scc1 .LBB110_644
; %bb.624:
	s_cmp_lt_i32 s12, 8
	s_cbranch_scc1 .LBB110_634
; %bb.625:
	s_cmp_lt_i32 s12, 9
	s_cbranch_scc1 .LBB110_631
; %bb.626:
	s_cmp_gt_i32 s12, 9
	s_cbranch_scc0 .LBB110_628
; %bb.627:
	s_lshl_b32 s4, s11, 16
	v_cvt_f64_f32_e32 v[3:4], s4
	v_mov_b32_e32 v5, 0
	v_mov_b32_e32 v6, v5
	s_mov_b64 s[4:5], 0
	global_store_dwordx4 v[0:1], v[3:6], off
.LBB110_628:
	s_andn2_b64 vcc, exec, s[4:5]
	s_cbranch_vccnz .LBB110_630
; %bb.629:
	s_lshl_b32 s4, s11, 16
	v_mov_b32_e32 v3, s4
	v_mov_b32_e32 v4, 0
	global_store_dwordx2 v[0:1], v[3:4], off
.LBB110_630:
	s_mov_b64 s[4:5], 0
.LBB110_631:
	s_andn2_b64 vcc, exec, s[4:5]
	s_cbranch_vccnz .LBB110_633
; %bb.632:
	s_lshl_b32 s4, s11, 16
	v_cvt_f16_f32_e32 v3, s4
	global_store_dword v[0:1], v3, off
.LBB110_633:
	s_mov_b64 s[4:5], 0
.LBB110_634:
	s_andn2_b64 vcc, exec, s[4:5]
	s_cbranch_vccnz .LBB110_643
; %bb.635:
	s_cmp_lt_i32 s12, 6
	s_mov_b64 s[4:5], -1
	s_cbranch_scc1 .LBB110_641
; %bb.636:
	s_cmp_gt_i32 s12, 6
	s_cbranch_scc0 .LBB110_638
; %bb.637:
	s_lshl_b32 s4, s11, 16
	v_cvt_f64_f32_e32 v[3:4], s4
	s_mov_b64 s[4:5], 0
	global_store_dwordx2 v[0:1], v[3:4], off
.LBB110_638:
	s_andn2_b64 vcc, exec, s[4:5]
	s_cbranch_vccnz .LBB110_640
; %bb.639:
	s_lshl_b32 s4, s11, 16
	v_mov_b32_e32 v3, s4
	global_store_dword v[0:1], v3, off
.LBB110_640:
	s_mov_b64 s[4:5], 0
.LBB110_641:
	s_andn2_b64 vcc, exec, s[4:5]
	s_cbranch_vccnz .LBB110_643
; %bb.642:
	s_lshl_b32 s4, s11, 16
	v_cvt_f16_f32_e32 v3, s4
	global_store_short v[0:1], v3, off
.LBB110_643:
	s_mov_b64 s[4:5], 0
.LBB110_644:
	s_andn2_b64 vcc, exec, s[4:5]
	s_cbranch_vccnz .LBB110_660
; %bb.645:
	s_cmp_lt_i32 s12, 2
	s_mov_b64 s[4:5], -1
	s_cbranch_scc1 .LBB110_655
; %bb.646:
	s_cmp_lt_i32 s12, 3
	s_cbranch_scc1 .LBB110_652
; %bb.647:
	s_cmp_gt_i32 s12, 3
	s_cbranch_scc0 .LBB110_649
; %bb.648:
	s_lshl_b32 s4, s11, 16
	v_trunc_f32_e32 v3, s4
	s_mov_b32 s4, 0x2f800000
	v_mul_f32_e64 v4, |v3|, s4
	v_floor_f32_e32 v4, v4
	s_mov_b32 s4, 0xcf800000
	v_fma_f32 v5, v4, s4, |v3|
	v_cvt_u32_f32_e32 v5, v5
	v_cvt_u32_f32_e32 v4, v4
	v_ashrrev_i32_e32 v6, 31, v3
	s_mov_b64 s[4:5], 0
	v_xor_b32_e32 v3, v5, v6
	v_xor_b32_e32 v4, v4, v6
	v_sub_co_u32_e32 v3, vcc, v3, v6
	v_subb_co_u32_e32 v4, vcc, v4, v6, vcc
	global_store_dwordx2 v[0:1], v[3:4], off
.LBB110_649:
	s_andn2_b64 vcc, exec, s[4:5]
	s_cbranch_vccnz .LBB110_651
; %bb.650:
	s_lshl_b32 s4, s11, 16
	v_cvt_i32_f32_e32 v3, s4
	global_store_dword v[0:1], v3, off
.LBB110_651:
	s_mov_b64 s[4:5], 0
.LBB110_652:
	s_andn2_b64 vcc, exec, s[4:5]
	s_cbranch_vccnz .LBB110_654
; %bb.653:
	s_lshl_b32 s4, s11, 16
	v_cvt_i32_f32_e32 v3, s4
	global_store_short v[0:1], v3, off
.LBB110_654:
	s_mov_b64 s[4:5], 0
.LBB110_655:
	s_andn2_b64 vcc, exec, s[4:5]
	s_cbranch_vccnz .LBB110_660
; %bb.656:
	s_cmp_gt_i32 s12, 0
	s_mov_b64 s[4:5], -1
	s_cbranch_scc0 .LBB110_658
; %bb.657:
	s_lshl_b32 s4, s11, 16
	v_cvt_i32_f32_e32 v3, s4
	s_mov_b64 s[4:5], 0
	global_store_byte v[0:1], v3, off
.LBB110_658:
	s_andn2_b64 vcc, exec, s[4:5]
	s_cbranch_vccnz .LBB110_660
; %bb.659:
	s_lshl_b32 s4, s11, 16
	v_trunc_f32_e32 v3, s4
	s_mov_b32 s4, 0x2f800000
	v_mul_f32_e64 v4, |v3|, s4
	v_floor_f32_e32 v4, v4
	s_mov_b32 s4, 0xcf800000
	v_fma_f32 v4, v4, s4, |v3|
	v_cvt_u32_f32_e32 v4, v4
	v_ashrrev_i32_e32 v3, 31, v3
	v_xor_b32_e32 v4, v4, v3
	v_sub_u32_e32 v3, v4, v3
	global_store_byte v[0:1], v3, off
.LBB110_660:
.LBB110_661:
	v_add_u32_e32 v2, s10, v2
	v_ashrrev_i32_e32 v1, 31, v2
	v_mov_b32_e32 v3, s9
	v_add_co_u32_e32 v0, vcc, s8, v2
	s_cmp_lt_i32 s18, 11
	v_addc_co_u32_e32 v1, vcc, v3, v1, vcc
	s_cbranch_scc1 .LBB110_689
; %bb.662:
	s_and_b32 s19, 0xffff, s18
	s_mov_b64 s[16:17], -1
	s_mov_b64 s[12:13], 0
	s_cmp_gt_i32 s19, 25
	s_mov_b64 s[14:15], 0
	s_mov_b64 s[4:5], 0
	s_cbranch_scc0 .LBB110_730
; %bb.663:
	s_cmp_gt_i32 s19, 28
	s_cbranch_scc0 .LBB110_678
; %bb.664:
	s_cmp_gt_i32 s19, 43
	;; [unrolled: 3-line block ×3, first 2 shown]
	s_cbranch_scc0 .LBB110_668
; %bb.666:
	s_mov_b64 s[4:5], -1
	s_mov_b64 s[16:17], 0
	s_cmp_eq_u32 s19, 46
	s_cbranch_scc0 .LBB110_668
; %bb.667:
	s_and_b32 s4, 0xffff, s11
	v_mov_b32_e32 v3, s4
	global_store_dword v[0:1], v3, off
	s_mov_b64 s[4:5], 0
	s_mov_b64 s[14:15], -1
.LBB110_668:
	s_and_b64 vcc, exec, s[16:17]
	s_cbranch_vccz .LBB110_673
; %bb.669:
	s_cmp_eq_u32 s19, 44
	s_mov_b64 s[4:5], -1
	s_cbranch_scc0 .LBB110_673
; %bb.670:
	s_and_b32 s5, 0xffff, s11
	s_bfe_u32 s4, s5, 0x80007
	s_cmpk_eq_i32 s4, 0xff
	v_mov_b32_e32 v3, 0xff
	s_cbranch_scc1 .LBB110_672
; %bb.671:
	s_lshr_b32 s16, s5, 7
	s_lshl_b32 s17, s5, 16
	s_bitcmp1_b32 s5, 6
	s_cselect_b64 s[14:15], -1, 0
	s_and_b32 s5, s17, 0x3f0000
	s_or_b32 s4, s4, s5
	s_cmp_lg_u32 s4, 0
	s_cselect_b64 s[4:5], -1, 0
	s_and_b64 s[4:5], s[14:15], s[4:5]
	v_cndmask_b32_e64 v3, 0, 1, s[4:5]
	v_add_u32_e32 v3, s16, v3
.LBB110_672:
	s_mov_b64 s[4:5], 0
	s_mov_b64 s[14:15], -1
	global_store_byte v[0:1], v3, off
.LBB110_673:
	s_mov_b64 s[16:17], 0
.LBB110_674:
	s_and_b64 vcc, exec, s[16:17]
	s_cbranch_vccz .LBB110_677
; %bb.675:
	s_cmp_eq_u32 s19, 29
	s_mov_b64 s[4:5], -1
	s_cbranch_scc0 .LBB110_677
; %bb.676:
	s_lshl_b32 s4, s11, 16
	v_trunc_f32_e32 v3, s4
	v_mul_f32_e32 v4, 0x2f800000, v3
	v_floor_f32_e32 v5, v4
	v_fmac_f32_e32 v3, 0xcf800000, v5
	v_cvt_u32_f32_e32 v4, v5
	v_cvt_u32_f32_e32 v3, v3
	s_mov_b64 s[4:5], 0
	s_mov_b64 s[14:15], -1
	global_store_dwordx2 v[0:1], v[3:4], off
.LBB110_677:
	s_mov_b64 s[16:17], 0
.LBB110_678:
	s_and_b64 vcc, exec, s[16:17]
	s_cbranch_vccz .LBB110_729
; %bb.679:
	s_cmp_lt_i32 s19, 27
	s_mov_b64 s[14:15], -1
	s_cbranch_scc1 .LBB110_685
; %bb.680:
	s_cmp_gt_i32 s19, 27
	s_cbranch_scc0 .LBB110_682
; %bb.681:
	s_lshl_b32 s14, s11, 16
	v_cvt_u32_f32_e32 v3, s14
	s_mov_b64 s[14:15], 0
	global_store_dword v[0:1], v3, off
.LBB110_682:
	s_andn2_b64 vcc, exec, s[14:15]
	s_cbranch_vccnz .LBB110_684
; %bb.683:
	s_lshl_b32 s14, s11, 16
	v_cvt_u32_f32_e32 v3, s14
	global_store_short v[0:1], v3, off
.LBB110_684:
	s_mov_b64 s[14:15], 0
.LBB110_685:
	s_andn2_b64 vcc, exec, s[14:15]
	s_cbranch_vccnz .LBB110_728
; %bb.686:
	s_lshl_b32 s21, s11, 16
	s_and_b32 s14, s21, 0x7fffffff
	s_cmp_gt_u32 s14, 0x437fffff
	v_mov_b32_e32 v4, 0x80
	s_cbranch_scc1 .LBB110_727
; %bb.687:
	s_and_b32 s20, 0xffff, s11
	s_cmp_gt_u32 s14, 0x3bffffff
	s_cbranch_scc0 .LBB110_722
; %bb.688:
	s_bfe_u32 s14, s20, 0x10004
	s_add_i32 s14, s21, s14
	s_add_i32 s14, s14, 0x487ffff
	s_lshr_b32 s22, s14, 20
	s_mov_b64 s[16:17], 0
	s_mov_b64 s[14:15], -1
	s_branch .LBB110_723
.LBB110_689:
	s_mov_b64 s[14:15], 0
	s_cbranch_execnz .LBB110_794
.LBB110_690:
	s_andn2_b64 vcc, exec, s[14:15]
	s_cbranch_vccnz .LBB110_832
.LBB110_691:
	v_add_u32_e32 v0, s10, v2
	v_ashrrev_i32_e32 v1, 31, v0
	v_mov_b32_e32 v2, s9
	v_add_co_u32_e32 v0, vcc, s8, v0
	s_cmp_lt_i32 s18, 11
	v_addc_co_u32_e32 v1, vcc, v2, v1, vcc
	s_cbranch_scc1 .LBB110_720
; %bb.692:
	s_and_b32 s10, 0xffff, s18
	s_mov_b64 s[12:13], -1
	s_mov_b64 s[8:9], 0
	s_cmp_gt_i32 s10, 25
	s_mov_b64 s[4:5], 0
	s_cbranch_scc0 .LBB110_744
; %bb.693:
	s_cmp_gt_i32 s10, 28
	s_cbranch_scc0 .LBB110_709
; %bb.694:
	s_cmp_gt_i32 s10, 43
	;; [unrolled: 3-line block ×3, first 2 shown]
	s_cbranch_scc0 .LBB110_699
; %bb.696:
	s_cmp_eq_u32 s10, 46
	s_mov_b64 s[4:5], -1
	s_cbranch_scc0 .LBB110_698
; %bb.697:
	s_and_b32 s4, 0xffff, s11
	v_mov_b32_e32 v2, s4
	global_store_dword v[0:1], v2, off
	s_mov_b64 s[4:5], 0
.LBB110_698:
	s_mov_b64 s[12:13], 0
.LBB110_699:
	s_and_b64 vcc, exec, s[12:13]
	s_cbranch_vccz .LBB110_704
; %bb.700:
	s_cmp_eq_u32 s10, 44
	s_mov_b64 s[4:5], -1
	s_cbranch_scc0 .LBB110_704
; %bb.701:
	s_and_b32 s5, 0xffff, s11
	s_bfe_u32 s4, s5, 0x80007
	s_cmpk_eq_i32 s4, 0xff
	v_mov_b32_e32 v2, 0xff
	s_cbranch_scc1 .LBB110_703
; %bb.702:
	s_lshr_b32 s14, s5, 7
	s_lshl_b32 s15, s5, 16
	s_bitcmp1_b32 s5, 6
	s_cselect_b64 s[12:13], -1, 0
	s_and_b32 s5, s15, 0x3f0000
	s_or_b32 s4, s4, s5
	s_cmp_lg_u32 s4, 0
	s_cselect_b64 s[4:5], -1, 0
	s_and_b64 s[4:5], s[12:13], s[4:5]
	v_cndmask_b32_e64 v2, 0, 1, s[4:5]
	v_add_u32_e32 v2, s14, v2
.LBB110_703:
	s_mov_b64 s[4:5], 0
	global_store_byte v[0:1], v2, off
.LBB110_704:
	s_mov_b64 s[12:13], 0
.LBB110_705:
	s_and_b64 vcc, exec, s[12:13]
	s_cbranch_vccz .LBB110_708
; %bb.706:
	s_cmp_eq_u32 s10, 29
	s_mov_b64 s[4:5], -1
	s_cbranch_scc0 .LBB110_708
; %bb.707:
	s_lshl_b32 s4, s11, 16
	v_trunc_f32_e32 v2, s4
	v_mul_f32_e32 v3, 0x2f800000, v2
	v_floor_f32_e32 v4, v3
	v_fmac_f32_e32 v2, 0xcf800000, v4
	v_cvt_u32_f32_e32 v3, v4
	v_cvt_u32_f32_e32 v2, v2
	s_mov_b64 s[4:5], 0
	global_store_dwordx2 v[0:1], v[2:3], off
.LBB110_708:
	s_mov_b64 s[12:13], 0
.LBB110_709:
	s_and_b64 vcc, exec, s[12:13]
	s_cbranch_vccz .LBB110_743
; %bb.710:
	s_cmp_lt_i32 s10, 27
	s_mov_b64 s[12:13], -1
	s_cbranch_scc1 .LBB110_716
; %bb.711:
	s_cmp_gt_i32 s10, 27
	s_cbranch_scc0 .LBB110_713
; %bb.712:
	s_lshl_b32 s12, s11, 16
	v_cvt_u32_f32_e32 v2, s12
	s_mov_b64 s[12:13], 0
	global_store_dword v[0:1], v2, off
.LBB110_713:
	s_andn2_b64 vcc, exec, s[12:13]
	s_cbranch_vccnz .LBB110_715
; %bb.714:
	s_lshl_b32 s12, s11, 16
	v_cvt_u32_f32_e32 v2, s12
	global_store_short v[0:1], v2, off
.LBB110_715:
	s_mov_b64 s[12:13], 0
.LBB110_716:
	s_andn2_b64 vcc, exec, s[12:13]
	s_cbranch_vccnz .LBB110_743
; %bb.717:
	s_lshl_b32 s17, s11, 16
	s_and_b32 s12, s17, 0x7fffffff
	s_cmp_gt_u32 s12, 0x437fffff
	v_mov_b32_e32 v3, 0x80
	s_cbranch_scc1 .LBB110_742
; %bb.718:
	s_and_b32 s16, 0xffff, s11
	s_cmp_gt_u32 s12, 0x3bffffff
	s_cbranch_scc0 .LBB110_737
; %bb.719:
	s_bfe_u32 s12, s16, 0x10004
	s_add_i32 s12, s17, s12
	s_add_i32 s12, s12, 0x487ffff
	s_lshr_b32 s19, s12, 20
	s_mov_b64 s[14:15], 0
	s_mov_b64 s[12:13], -1
	s_branch .LBB110_738
.LBB110_720:
	s_mov_b64 s[8:9], 0
	s_mov_b64 s[4:5], -1
	s_branch .LBB110_833
.LBB110_721:
	s_trap 2
	s_or_b64 s[6:7], s[6:7], exec
	s_cbranch_execz .LBB110_621
	s_branch .LBB110_622
.LBB110_722:
	s_mov_b64 s[16:17], -1
	s_mov_b64 s[14:15], 0
                                        ; implicit-def: $sgpr22
.LBB110_723:
	s_andn2_b64 vcc, exec, s[16:17]
	v_mov_b32_e32 v3, s22
	s_cbranch_vccnz .LBB110_725
; %bb.724:
	v_mov_b32_e32 v3, 0x46000000
	v_add_f32_e64 v3, |s21|, v3
	v_and_b32_e32 v3, 0xff, v3
	v_cmp_ne_u32_e64 s[14:15], 0, v3
.LBB110_725:
	s_andn2_b64 vcc, exec, s[14:15]
	v_mov_b32_e32 v4, 0
	s_cbranch_vccnz .LBB110_727
; %bb.726:
	s_lshr_b32 s14, s20, 8
	s_and_b32 s14, s14, 0x80
	v_or_b32_e32 v4, s14, v3
.LBB110_727:
	global_store_byte v[0:1], v4, off
.LBB110_728:
	s_mov_b64 s[14:15], -1
.LBB110_729:
	s_mov_b64 s[16:17], 0
.LBB110_730:
	s_and_b64 vcc, exec, s[16:17]
	s_cbranch_vccz .LBB110_790
; %bb.731:
	s_cmp_gt_i32 s19, 22
	s_mov_b64 s[12:13], -1
	s_cbranch_scc0 .LBB110_783
; %bb.732:
	s_cmp_lt_i32 s19, 24
	s_cbranch_scc1 .LBB110_770
; %bb.733:
	s_cmp_gt_i32 s19, 24
	s_cbranch_scc0 .LBB110_757
; %bb.734:
	s_lshl_b32 s17, s11, 16
	s_and_b32 s12, s17, 0x7fffffff
	s_cmp_gt_u32 s12, 0x477fffff
	v_mov_b32_e32 v4, 0x80
	s_cbranch_scc1 .LBB110_756
; %bb.735:
	s_and_b32 s16, 0xffff, s11
	s_cmp_gt_u32 s12, 0x37ffffff
	s_cbranch_scc0 .LBB110_751
; %bb.736:
	s_bfe_u32 s12, s16, 0x10005
	s_add_i32 s12, s17, s12
	s_add_i32 s12, s12, 0x88fffff
	s_lshr_b32 s20, s12, 21
	s_mov_b64 s[14:15], 0
	s_mov_b64 s[12:13], -1
	s_branch .LBB110_752
.LBB110_737:
	s_mov_b64 s[14:15], -1
	s_mov_b64 s[12:13], 0
                                        ; implicit-def: $sgpr19
.LBB110_738:
	s_andn2_b64 vcc, exec, s[14:15]
	v_mov_b32_e32 v2, s19
	s_cbranch_vccnz .LBB110_740
; %bb.739:
	v_mov_b32_e32 v2, 0x46000000
	v_add_f32_e64 v2, |s17|, v2
	v_and_b32_e32 v2, 0xff, v2
	v_cmp_ne_u32_e64 s[12:13], 0, v2
.LBB110_740:
	s_andn2_b64 vcc, exec, s[12:13]
	v_mov_b32_e32 v3, 0
	s_cbranch_vccnz .LBB110_742
; %bb.741:
	s_lshr_b32 s12, s16, 8
	s_and_b32 s12, s12, 0x80
	v_or_b32_e32 v3, s12, v2
.LBB110_742:
	global_store_byte v[0:1], v3, off
.LBB110_743:
	s_mov_b64 s[12:13], 0
.LBB110_744:
	s_and_b64 vcc, exec, s[12:13]
	s_cbranch_vccz .LBB110_914
; %bb.745:
	s_cmp_gt_i32 s10, 22
	s_mov_b64 s[8:9], -1
	s_cbranch_scc0 .LBB110_907
; %bb.746:
	s_cmp_lt_i32 s10, 24
	s_cbranch_scc1 .LBB110_894
; %bb.747:
	s_cmp_gt_i32 s10, 24
	s_cbranch_scc0 .LBB110_881
; %bb.748:
	s_lshl_b32 s15, s11, 16
	s_and_b32 s8, s15, 0x7fffffff
	s_cmp_gt_u32 s8, 0x477fffff
	v_mov_b32_e32 v3, 0x80
	s_cbranch_scc1 .LBB110_880
; %bb.749:
	s_and_b32 s14, 0xffff, s11
	s_cmp_gt_u32 s8, 0x37ffffff
	s_cbranch_scc0 .LBB110_875
; %bb.750:
	s_bfe_u32 s8, s14, 0x10005
	s_add_i32 s8, s15, s8
	s_add_i32 s8, s8, 0x88fffff
	s_lshr_b32 s16, s8, 21
	s_mov_b64 s[12:13], 0
	s_mov_b64 s[8:9], -1
	s_branch .LBB110_876
.LBB110_751:
	s_mov_b64 s[14:15], -1
	s_mov_b64 s[12:13], 0
                                        ; implicit-def: $sgpr20
.LBB110_752:
	s_andn2_b64 vcc, exec, s[14:15]
	v_mov_b32_e32 v3, s20
	s_cbranch_vccnz .LBB110_754
; %bb.753:
	v_mov_b32_e32 v3, 0x42800000
	v_add_f32_e64 v3, |s17|, v3
	v_and_b32_e32 v3, 0xff, v3
	v_cmp_ne_u32_e64 s[12:13], 0, v3
.LBB110_754:
	s_andn2_b64 vcc, exec, s[12:13]
	v_mov_b32_e32 v4, 0
	s_cbranch_vccnz .LBB110_756
; %bb.755:
	s_lshr_b32 s12, s16, 8
	s_and_b32 s12, s12, 0x80
	v_or_b32_e32 v4, s12, v3
.LBB110_756:
	s_mov_b64 s[12:13], 0
	global_store_byte v[0:1], v4, off
.LBB110_757:
	s_and_b64 vcc, exec, s[12:13]
	s_cbranch_vccz .LBB110_769
; %bb.758:
	s_lshl_b32 s16, s11, 16
	s_and_b32 s14, 0xffff, s11
	s_and_b32 s15, s16, 0x7fffffff
	s_cmp_lt_u32 s15, 0x43f00000
	s_cbranch_scc0 .LBB110_761
; %bb.759:
	s_cmp_gt_u32 s15, 0x3c7fffff
	s_cbranch_scc0 .LBB110_762
; %bb.760:
	s_bfe_u32 s12, s14, 0x10004
	s_add_i32 s12, s16, s12
	s_add_i32 s12, s12, 0x407ffff
	s_lshr_b32 s13, s12, 20
	s_and_b32 s12, s12, 0xff00000
	s_cmp_lg_u32 s12, 0x7f00000
	s_cselect_b32 s17, s13, 0x7e
	s_mov_b64 s[12:13], 0
	s_branch .LBB110_763
.LBB110_761:
	s_mov_b64 s[12:13], -1
                                        ; implicit-def: $vgpr3
	s_branch .LBB110_766
.LBB110_762:
	s_mov_b64 s[12:13], -1
                                        ; implicit-def: $sgpr17
.LBB110_763:
	s_andn2_b64 vcc, exec, s[12:13]
	v_mov_b32_e32 v3, s17
	s_cbranch_vccnz .LBB110_765
; %bb.764:
	v_mov_b32_e32 v3, 0x46800000
	v_add_f32_e64 v3, |s16|, v3
.LBB110_765:
	s_mov_b64 s[12:13], 0
.LBB110_766:
	s_andn2_b64 vcc, exec, s[12:13]
	s_cbranch_vccnz .LBB110_768
; %bb.767:
	s_cmp_gt_u32 s15, 0x7f800000
	s_movk_i32 s12, 0x7f
	s_cselect_b32 s12, s12, 0x7e
	v_mov_b32_e32 v3, s12
.LBB110_768:
	s_lshr_b32 s12, s14, 8
	s_and_b32 s12, s12, 0x80
	v_or_b32_e32 v3, s12, v3
	global_store_byte v[0:1], v3, off
.LBB110_769:
	s_mov_b64 s[12:13], 0
.LBB110_770:
	s_andn2_b64 vcc, exec, s[12:13]
	s_cbranch_vccnz .LBB110_782
; %bb.771:
	s_lshl_b32 s16, s11, 16
	s_and_b32 s14, 0xffff, s11
	s_and_b32 s15, s16, 0x7fffffff
	s_cmp_lt_u32 s15, 0x47800000
	s_cbranch_scc0 .LBB110_774
; %bb.772:
	s_cmp_gt_u32 s15, 0x387fffff
	s_cbranch_scc0 .LBB110_775
; %bb.773:
	s_bfe_u32 s12, s14, 0x10005
	s_add_i32 s12, s16, s12
	s_add_i32 s12, s12, 0x80fffff
	s_lshr_b32 s17, s12, 21
	s_mov_b64 s[12:13], 0
	s_branch .LBB110_776
.LBB110_774:
	s_mov_b64 s[12:13], -1
                                        ; implicit-def: $vgpr3
	s_branch .LBB110_779
.LBB110_775:
	s_mov_b64 s[12:13], -1
                                        ; implicit-def: $sgpr17
.LBB110_776:
	s_andn2_b64 vcc, exec, s[12:13]
	v_mov_b32_e32 v3, s17
	s_cbranch_vccnz .LBB110_778
; %bb.777:
	v_mov_b32_e32 v3, 0x43000000
	v_add_f32_e64 v3, |s16|, v3
.LBB110_778:
	s_mov_b64 s[12:13], 0
.LBB110_779:
	s_andn2_b64 vcc, exec, s[12:13]
	s_cbranch_vccnz .LBB110_781
; %bb.780:
	s_cmp_gt_u32 s15, 0x7f800000
	s_movk_i32 s12, 0x7f
	s_cselect_b32 s12, s12, 0x7c
	v_mov_b32_e32 v3, s12
.LBB110_781:
	s_lshr_b32 s12, s14, 8
	s_and_b32 s12, s12, 0x80
	v_or_b32_e32 v3, s12, v3
	global_store_byte v[0:1], v3, off
.LBB110_782:
	s_mov_b64 s[12:13], 0
	s_mov_b64 s[14:15], -1
.LBB110_783:
	s_andn2_b64 vcc, exec, s[12:13]
	s_mov_b64 s[12:13], 0
	s_cbranch_vccnz .LBB110_790
; %bb.784:
	s_cmp_gt_i32 s19, 14
	s_mov_b64 s[16:17], -1
	s_cbranch_scc0 .LBB110_788
; %bb.785:
	s_cmp_eq_u32 s19, 15
	s_mov_b64 s[4:5], -1
	s_cbranch_scc0 .LBB110_787
; %bb.786:
	v_mov_b32_e32 v3, s11
	global_store_short v[0:1], v3, off
	s_mov_b64 s[4:5], 0
	s_mov_b64 s[14:15], -1
.LBB110_787:
	s_mov_b64 s[16:17], 0
.LBB110_788:
	s_and_b64 vcc, exec, s[16:17]
	s_cbranch_vccz .LBB110_790
; %bb.789:
	s_cmp_lg_u32 s19, 11
	s_mov_b64 s[12:13], -1
	s_cselect_b64 s[4:5], -1, 0
.LBB110_790:
	s_and_b64 vcc, exec, s[4:5]
	s_cbranch_vccnz .LBB110_874
; %bb.791:
	s_andn2_b64 vcc, exec, s[12:13]
	s_cbranch_vccnz .LBB110_793
.LBB110_792:
	s_and_b32 s4, s11, 0x7fff
	s_cmp_lg_u32 s4, 0
	s_cselect_b64 s[4:5], -1, 0
	v_cndmask_b32_e64 v3, 0, 1, s[4:5]
	s_mov_b64 s[14:15], -1
	global_store_byte v[0:1], v3, off
.LBB110_793:
	s_branch .LBB110_690
.LBB110_794:
	s_and_b32 s12, 0xffff, s18
	s_cmp_lt_i32 s12, 5
	s_mov_b64 s[4:5], -1
	s_cbranch_scc1 .LBB110_815
; %bb.795:
	s_cmp_lt_i32 s12, 8
	s_cbranch_scc1 .LBB110_805
; %bb.796:
	s_cmp_lt_i32 s12, 9
	s_cbranch_scc1 .LBB110_802
; %bb.797:
	s_cmp_gt_i32 s12, 9
	s_cbranch_scc0 .LBB110_799
; %bb.798:
	s_lshl_b32 s4, s11, 16
	v_cvt_f64_f32_e32 v[3:4], s4
	v_mov_b32_e32 v5, 0
	v_mov_b32_e32 v6, v5
	s_mov_b64 s[4:5], 0
	global_store_dwordx4 v[0:1], v[3:6], off
.LBB110_799:
	s_andn2_b64 vcc, exec, s[4:5]
	s_cbranch_vccnz .LBB110_801
; %bb.800:
	s_lshl_b32 s4, s11, 16
	v_mov_b32_e32 v3, s4
	v_mov_b32_e32 v4, 0
	global_store_dwordx2 v[0:1], v[3:4], off
.LBB110_801:
	s_mov_b64 s[4:5], 0
.LBB110_802:
	s_andn2_b64 vcc, exec, s[4:5]
	s_cbranch_vccnz .LBB110_804
; %bb.803:
	s_lshl_b32 s4, s11, 16
	v_cvt_f16_f32_e32 v3, s4
	global_store_dword v[0:1], v3, off
.LBB110_804:
	s_mov_b64 s[4:5], 0
.LBB110_805:
	s_andn2_b64 vcc, exec, s[4:5]
	s_cbranch_vccnz .LBB110_814
; %bb.806:
	s_cmp_lt_i32 s12, 6
	s_mov_b64 s[4:5], -1
	s_cbranch_scc1 .LBB110_812
; %bb.807:
	s_cmp_gt_i32 s12, 6
	s_cbranch_scc0 .LBB110_809
; %bb.808:
	s_lshl_b32 s4, s11, 16
	v_cvt_f64_f32_e32 v[3:4], s4
	s_mov_b64 s[4:5], 0
	global_store_dwordx2 v[0:1], v[3:4], off
.LBB110_809:
	s_andn2_b64 vcc, exec, s[4:5]
	s_cbranch_vccnz .LBB110_811
; %bb.810:
	s_lshl_b32 s4, s11, 16
	v_mov_b32_e32 v3, s4
	global_store_dword v[0:1], v3, off
.LBB110_811:
	s_mov_b64 s[4:5], 0
.LBB110_812:
	s_andn2_b64 vcc, exec, s[4:5]
	s_cbranch_vccnz .LBB110_814
; %bb.813:
	s_lshl_b32 s4, s11, 16
	v_cvt_f16_f32_e32 v3, s4
	global_store_short v[0:1], v3, off
.LBB110_814:
	s_mov_b64 s[4:5], 0
.LBB110_815:
	s_andn2_b64 vcc, exec, s[4:5]
	s_cbranch_vccnz .LBB110_831
; %bb.816:
	s_cmp_lt_i32 s12, 2
	s_mov_b64 s[4:5], -1
	s_cbranch_scc1 .LBB110_826
; %bb.817:
	s_cmp_lt_i32 s12, 3
	s_cbranch_scc1 .LBB110_823
; %bb.818:
	s_cmp_gt_i32 s12, 3
	s_cbranch_scc0 .LBB110_820
; %bb.819:
	s_lshl_b32 s4, s11, 16
	v_trunc_f32_e32 v3, s4
	s_mov_b32 s4, 0x2f800000
	v_mul_f32_e64 v4, |v3|, s4
	v_floor_f32_e32 v4, v4
	s_mov_b32 s4, 0xcf800000
	v_fma_f32 v5, v4, s4, |v3|
	v_cvt_u32_f32_e32 v5, v5
	v_cvt_u32_f32_e32 v4, v4
	v_ashrrev_i32_e32 v6, 31, v3
	s_mov_b64 s[4:5], 0
	v_xor_b32_e32 v3, v5, v6
	v_xor_b32_e32 v4, v4, v6
	v_sub_co_u32_e32 v3, vcc, v3, v6
	v_subb_co_u32_e32 v4, vcc, v4, v6, vcc
	global_store_dwordx2 v[0:1], v[3:4], off
.LBB110_820:
	s_andn2_b64 vcc, exec, s[4:5]
	s_cbranch_vccnz .LBB110_822
; %bb.821:
	s_lshl_b32 s4, s11, 16
	v_cvt_i32_f32_e32 v3, s4
	global_store_dword v[0:1], v3, off
.LBB110_822:
	s_mov_b64 s[4:5], 0
.LBB110_823:
	s_andn2_b64 vcc, exec, s[4:5]
	s_cbranch_vccnz .LBB110_825
; %bb.824:
	s_lshl_b32 s4, s11, 16
	v_cvt_i32_f32_e32 v3, s4
	global_store_short v[0:1], v3, off
.LBB110_825:
	s_mov_b64 s[4:5], 0
.LBB110_826:
	s_andn2_b64 vcc, exec, s[4:5]
	s_cbranch_vccnz .LBB110_831
; %bb.827:
	s_cmp_gt_i32 s12, 0
	s_mov_b64 s[4:5], -1
	s_cbranch_scc0 .LBB110_829
; %bb.828:
	s_lshl_b32 s4, s11, 16
	v_cvt_i32_f32_e32 v3, s4
	s_mov_b64 s[4:5], 0
	global_store_byte v[0:1], v3, off
.LBB110_829:
	s_andn2_b64 vcc, exec, s[4:5]
	s_cbranch_vccnz .LBB110_831
; %bb.830:
	s_lshl_b32 s4, s11, 16
	v_trunc_f32_e32 v3, s4
	s_mov_b32 s4, 0x2f800000
	v_mul_f32_e64 v4, |v3|, s4
	v_floor_f32_e32 v4, v4
	s_mov_b32 s4, 0xcf800000
	v_fma_f32 v4, v4, s4, |v3|
	v_cvt_u32_f32_e32 v4, v4
	v_ashrrev_i32_e32 v3, 31, v3
	v_xor_b32_e32 v4, v4, v3
	v_sub_u32_e32 v3, v4, v3
	global_store_byte v[0:1], v3, off
.LBB110_831:
	s_branch .LBB110_691
.LBB110_832:
	s_mov_b64 s[4:5], 0
	s_mov_b64 s[8:9], 0
                                        ; implicit-def: $sgpr18
                                        ; implicit-def: $vgpr0_vgpr1
.LBB110_833:
	s_andn2_b64 s[0:1], s[0:1], exec
	s_and_b64 s[6:7], s[6:7], exec
	s_and_b64 s[12:13], s[4:5], exec
	;; [unrolled: 1-line block ×3, first 2 shown]
	s_or_b64 s[0:1], s[0:1], s[6:7]
	s_or_b64 exec, exec, s[2:3]
	s_and_saveexec_b64 s[2:3], s[0:1]
	s_cbranch_execnz .LBB110_434
.LBB110_834:
	s_or_b64 exec, exec, s[2:3]
	s_and_saveexec_b64 s[0:1], s[4:5]
	s_xor_b64 s[0:1], exec, s[0:1]
	s_cbranch_execz .LBB110_435
.LBB110_835:
	s_and_b32 s2, s11, 0x7fff
	s_cmp_lg_u32 s2, 0
	s_cselect_b64 s[2:3], -1, 0
	v_cndmask_b32_e64 v2, 0, 1, s[2:3]
	global_store_byte v[0:1], v2, off
	s_or_b64 exec, exec, s[0:1]
	s_and_saveexec_b64 s[0:1], s[12:13]
	s_cbranch_execz .LBB110_873
.LBB110_836:
	s_sext_i32_i16 s2, s18
	s_cmp_lt_i32 s2, 5
	s_mov_b64 s[0:1], -1
	s_cbranch_scc1 .LBB110_857
; %bb.837:
	s_cmp_lt_i32 s2, 8
	s_cbranch_scc1 .LBB110_847
; %bb.838:
	s_cmp_lt_i32 s2, 9
	s_cbranch_scc1 .LBB110_844
; %bb.839:
	s_cmp_gt_i32 s2, 9
	s_cbranch_scc0 .LBB110_841
; %bb.840:
	s_lshl_b32 s0, s11, 16
	v_cvt_f64_f32_e32 v[2:3], s0
	v_mov_b32_e32 v4, 0
	v_mov_b32_e32 v5, v4
	s_mov_b64 s[0:1], 0
	global_store_dwordx4 v[0:1], v[2:5], off
.LBB110_841:
	s_andn2_b64 vcc, exec, s[0:1]
	s_cbranch_vccnz .LBB110_843
; %bb.842:
	s_lshl_b32 s0, s11, 16
	v_mov_b32_e32 v2, s0
	v_mov_b32_e32 v3, 0
	global_store_dwordx2 v[0:1], v[2:3], off
.LBB110_843:
	s_mov_b64 s[0:1], 0
.LBB110_844:
	s_andn2_b64 vcc, exec, s[0:1]
	s_cbranch_vccnz .LBB110_846
; %bb.845:
	s_lshl_b32 s0, s11, 16
	v_cvt_f16_f32_e32 v2, s0
	global_store_dword v[0:1], v2, off
.LBB110_846:
	s_mov_b64 s[0:1], 0
.LBB110_847:
	s_andn2_b64 vcc, exec, s[0:1]
	s_cbranch_vccnz .LBB110_856
; %bb.848:
	s_sext_i32_i16 s2, s18
	s_cmp_lt_i32 s2, 6
	s_mov_b64 s[0:1], -1
	s_cbranch_scc1 .LBB110_854
; %bb.849:
	s_cmp_gt_i32 s2, 6
	s_cbranch_scc0 .LBB110_851
; %bb.850:
	s_lshl_b32 s0, s11, 16
	v_cvt_f64_f32_e32 v[2:3], s0
	s_mov_b64 s[0:1], 0
	global_store_dwordx2 v[0:1], v[2:3], off
.LBB110_851:
	s_andn2_b64 vcc, exec, s[0:1]
	s_cbranch_vccnz .LBB110_853
; %bb.852:
	s_lshl_b32 s0, s11, 16
	v_mov_b32_e32 v2, s0
	global_store_dword v[0:1], v2, off
.LBB110_853:
	s_mov_b64 s[0:1], 0
.LBB110_854:
	s_andn2_b64 vcc, exec, s[0:1]
	s_cbranch_vccnz .LBB110_856
; %bb.855:
	s_lshl_b32 s0, s11, 16
	v_cvt_f16_f32_e32 v2, s0
	global_store_short v[0:1], v2, off
.LBB110_856:
	s_mov_b64 s[0:1], 0
.LBB110_857:
	s_andn2_b64 vcc, exec, s[0:1]
	s_cbranch_vccnz .LBB110_873
; %bb.858:
	s_sext_i32_i16 s2, s18
	s_cmp_lt_i32 s2, 2
	s_mov_b64 s[0:1], -1
	s_cbranch_scc1 .LBB110_868
; %bb.859:
	s_cmp_lt_i32 s2, 3
	s_cbranch_scc1 .LBB110_865
; %bb.860:
	s_cmp_gt_i32 s2, 3
	s_cbranch_scc0 .LBB110_862
; %bb.861:
	s_lshl_b32 s0, s11, 16
	v_trunc_f32_e32 v2, s0
	s_mov_b32 s0, 0x2f800000
	v_mul_f32_e64 v3, |v2|, s0
	v_floor_f32_e32 v3, v3
	s_mov_b32 s0, 0xcf800000
	v_fma_f32 v4, v3, s0, |v2|
	v_cvt_u32_f32_e32 v4, v4
	v_cvt_u32_f32_e32 v3, v3
	v_ashrrev_i32_e32 v5, 31, v2
	s_mov_b64 s[0:1], 0
	v_xor_b32_e32 v2, v4, v5
	v_xor_b32_e32 v3, v3, v5
	v_sub_co_u32_e32 v2, vcc, v2, v5
	v_subb_co_u32_e32 v3, vcc, v3, v5, vcc
	global_store_dwordx2 v[0:1], v[2:3], off
.LBB110_862:
	s_andn2_b64 vcc, exec, s[0:1]
	s_cbranch_vccnz .LBB110_864
; %bb.863:
	s_lshl_b32 s0, s11, 16
	v_cvt_i32_f32_e32 v2, s0
	global_store_dword v[0:1], v2, off
.LBB110_864:
	s_mov_b64 s[0:1], 0
.LBB110_865:
	s_andn2_b64 vcc, exec, s[0:1]
	s_cbranch_vccnz .LBB110_867
; %bb.866:
	s_lshl_b32 s0, s11, 16
	v_cvt_i32_f32_e32 v2, s0
	global_store_short v[0:1], v2, off
.LBB110_867:
	s_mov_b64 s[0:1], 0
.LBB110_868:
	s_andn2_b64 vcc, exec, s[0:1]
	s_cbranch_vccnz .LBB110_873
; %bb.869:
	s_sext_i32_i16 s0, s18
	s_cmp_gt_i32 s0, 0
	s_mov_b64 s[0:1], -1
	s_cbranch_scc0 .LBB110_871
; %bb.870:
	s_lshl_b32 s0, s11, 16
	v_cvt_i32_f32_e32 v2, s0
	s_mov_b64 s[0:1], 0
	global_store_byte v[0:1], v2, off
.LBB110_871:
	s_andn2_b64 vcc, exec, s[0:1]
	s_cbranch_vccnz .LBB110_873
; %bb.872:
	s_lshl_b32 s0, s11, 16
	v_trunc_f32_e32 v2, s0
	s_mov_b32 s0, 0x2f800000
	v_mul_f32_e64 v3, |v2|, s0
	v_floor_f32_e32 v3, v3
	s_mov_b32 s0, 0xcf800000
	v_fma_f32 v3, v3, s0, |v2|
	v_cvt_u32_f32_e32 v3, v3
	v_ashrrev_i32_e32 v2, 31, v2
	v_xor_b32_e32 v3, v3, v2
	v_sub_u32_e32 v2, v3, v2
	global_store_byte v[0:1], v2, off
	s_endpgm
.LBB110_873:
	s_endpgm
.LBB110_874:
	s_trap 2
	s_or_b64 s[6:7], s[6:7], exec
	s_cbranch_execz .LBB110_792
	s_branch .LBB110_793
.LBB110_875:
	s_mov_b64 s[12:13], -1
	s_mov_b64 s[8:9], 0
                                        ; implicit-def: $sgpr16
.LBB110_876:
	s_andn2_b64 vcc, exec, s[12:13]
	v_mov_b32_e32 v2, s16
	s_cbranch_vccnz .LBB110_878
; %bb.877:
	v_mov_b32_e32 v2, 0x42800000
	v_add_f32_e64 v2, |s15|, v2
	v_and_b32_e32 v2, 0xff, v2
	v_cmp_ne_u32_e64 s[8:9], 0, v2
.LBB110_878:
	s_andn2_b64 vcc, exec, s[8:9]
	v_mov_b32_e32 v3, 0
	s_cbranch_vccnz .LBB110_880
; %bb.879:
	s_lshr_b32 s8, s14, 8
	s_and_b32 s8, s8, 0x80
	v_or_b32_e32 v3, s8, v2
.LBB110_880:
	s_mov_b64 s[8:9], 0
	global_store_byte v[0:1], v3, off
.LBB110_881:
	s_and_b64 vcc, exec, s[8:9]
	s_cbranch_vccz .LBB110_893
; %bb.882:
	s_lshl_b32 s14, s11, 16
	s_and_b32 s12, 0xffff, s11
	s_and_b32 s13, s14, 0x7fffffff
	s_cmp_lt_u32 s13, 0x43f00000
	s_cbranch_scc0 .LBB110_885
; %bb.883:
	s_cmp_gt_u32 s13, 0x3c7fffff
	s_cbranch_scc0 .LBB110_886
; %bb.884:
	s_bfe_u32 s8, s12, 0x10004
	s_add_i32 s8, s14, s8
	s_add_i32 s8, s8, 0x407ffff
	s_lshr_b32 s9, s8, 20
	s_and_b32 s8, s8, 0xff00000
	s_cmp_lg_u32 s8, 0x7f00000
	s_cselect_b32 s15, s9, 0x7e
	s_mov_b64 s[8:9], 0
	s_branch .LBB110_887
.LBB110_885:
	s_mov_b64 s[8:9], -1
                                        ; implicit-def: $vgpr2
	s_branch .LBB110_890
.LBB110_886:
	s_mov_b64 s[8:9], -1
                                        ; implicit-def: $sgpr15
.LBB110_887:
	s_andn2_b64 vcc, exec, s[8:9]
	v_mov_b32_e32 v2, s15
	s_cbranch_vccnz .LBB110_889
; %bb.888:
	v_mov_b32_e32 v2, 0x46800000
	v_add_f32_e64 v2, |s14|, v2
.LBB110_889:
	s_mov_b64 s[8:9], 0
.LBB110_890:
	s_andn2_b64 vcc, exec, s[8:9]
	s_cbranch_vccnz .LBB110_892
; %bb.891:
	s_cmp_gt_u32 s13, 0x7f800000
	s_movk_i32 s8, 0x7f
	s_cselect_b32 s8, s8, 0x7e
	v_mov_b32_e32 v2, s8
.LBB110_892:
	s_lshr_b32 s8, s12, 8
	s_and_b32 s8, s8, 0x80
	v_or_b32_e32 v2, s8, v2
	global_store_byte v[0:1], v2, off
.LBB110_893:
	s_mov_b64 s[8:9], 0
.LBB110_894:
	s_andn2_b64 vcc, exec, s[8:9]
	s_cbranch_vccnz .LBB110_906
; %bb.895:
	s_lshl_b32 s14, s11, 16
	s_and_b32 s12, 0xffff, s11
	s_and_b32 s13, s14, 0x7fffffff
	s_cmp_lt_u32 s13, 0x47800000
	s_cbranch_scc0 .LBB110_898
; %bb.896:
	s_cmp_gt_u32 s13, 0x387fffff
	s_cbranch_scc0 .LBB110_899
; %bb.897:
	s_bfe_u32 s8, s12, 0x10005
	s_add_i32 s8, s14, s8
	s_add_i32 s8, s8, 0x80fffff
	s_lshr_b32 s15, s8, 21
	s_mov_b64 s[8:9], 0
	s_branch .LBB110_900
.LBB110_898:
	s_mov_b64 s[8:9], -1
                                        ; implicit-def: $vgpr2
	s_branch .LBB110_903
.LBB110_899:
	s_mov_b64 s[8:9], -1
                                        ; implicit-def: $sgpr15
.LBB110_900:
	s_andn2_b64 vcc, exec, s[8:9]
	v_mov_b32_e32 v2, s15
	s_cbranch_vccnz .LBB110_902
; %bb.901:
	v_mov_b32_e32 v2, 0x43000000
	v_add_f32_e64 v2, |s14|, v2
.LBB110_902:
	s_mov_b64 s[8:9], 0
.LBB110_903:
	s_andn2_b64 vcc, exec, s[8:9]
	s_cbranch_vccnz .LBB110_905
; %bb.904:
	s_cmp_gt_u32 s13, 0x7f800000
	s_movk_i32 s8, 0x7f
	s_cselect_b32 s8, s8, 0x7c
	v_mov_b32_e32 v2, s8
.LBB110_905:
	s_lshr_b32 s8, s12, 8
	s_and_b32 s8, s8, 0x80
	v_or_b32_e32 v2, s8, v2
	global_store_byte v[0:1], v2, off
.LBB110_906:
	s_mov_b64 s[8:9], 0
.LBB110_907:
	s_andn2_b64 vcc, exec, s[8:9]
	s_mov_b64 s[8:9], 0
	s_cbranch_vccnz .LBB110_914
; %bb.908:
	s_cmp_gt_i32 s10, 14
	s_mov_b64 s[12:13], -1
	s_cbranch_scc0 .LBB110_912
; %bb.909:
	s_cmp_eq_u32 s10, 15
	s_mov_b64 s[4:5], -1
	s_cbranch_scc0 .LBB110_911
; %bb.910:
	v_mov_b32_e32 v2, s11
	global_store_short v[0:1], v2, off
	s_mov_b64 s[4:5], 0
.LBB110_911:
	s_mov_b64 s[12:13], 0
.LBB110_912:
	s_and_b64 vcc, exec, s[12:13]
	s_cbranch_vccz .LBB110_914
; %bb.913:
	s_cmp_lg_u32 s10, 11
	s_mov_b64 s[8:9], -1
	s_cselect_b64 s[4:5], -1, 0
.LBB110_914:
	s_and_b64 vcc, exec, s[4:5]
	s_cbranch_vccnz .LBB110_916
.LBB110_915:
	s_mov_b64 s[4:5], 0
	s_branch .LBB110_833
.LBB110_916:
	s_mov_b64 s[8:9], 0
	s_or_b64 s[6:7], s[6:7], exec
	s_trap 2
	s_branch .LBB110_915
	.section	.rodata,"a",@progbits
	.p2align	6, 0x0
	.amdhsa_kernel _ZN2at6native32elementwise_kernel_manual_unrollILi128ELi4EZNS0_15gpu_kernel_implINS0_11FillFunctorIN3c108BFloat16EEEEEvRNS_18TensorIteratorBaseERKT_EUlibE_EEviT1_
		.amdhsa_group_segment_fixed_size 0
		.amdhsa_private_segment_fixed_size 0
		.amdhsa_kernarg_size 24
		.amdhsa_user_sgpr_count 6
		.amdhsa_user_sgpr_private_segment_buffer 1
		.amdhsa_user_sgpr_dispatch_ptr 0
		.amdhsa_user_sgpr_queue_ptr 0
		.amdhsa_user_sgpr_kernarg_segment_ptr 1
		.amdhsa_user_sgpr_dispatch_id 0
		.amdhsa_user_sgpr_flat_scratch_init 0
		.amdhsa_user_sgpr_private_segment_size 0
		.amdhsa_uses_dynamic_stack 0
		.amdhsa_system_sgpr_private_segment_wavefront_offset 0
		.amdhsa_system_sgpr_workgroup_id_x 1
		.amdhsa_system_sgpr_workgroup_id_y 0
		.amdhsa_system_sgpr_workgroup_id_z 0
		.amdhsa_system_sgpr_workgroup_info 0
		.amdhsa_system_vgpr_workitem_id 0
		.amdhsa_next_free_vgpr 16
		.amdhsa_next_free_sgpr 66
		.amdhsa_reserve_vcc 1
		.amdhsa_reserve_flat_scratch 0
		.amdhsa_float_round_mode_32 0
		.amdhsa_float_round_mode_16_64 0
		.amdhsa_float_denorm_mode_32 3
		.amdhsa_float_denorm_mode_16_64 3
		.amdhsa_dx10_clamp 1
		.amdhsa_ieee_mode 1
		.amdhsa_fp16_overflow 0
		.amdhsa_exception_fp_ieee_invalid_op 0
		.amdhsa_exception_fp_denorm_src 0
		.amdhsa_exception_fp_ieee_div_zero 0
		.amdhsa_exception_fp_ieee_overflow 0
		.amdhsa_exception_fp_ieee_underflow 0
		.amdhsa_exception_fp_ieee_inexact 0
		.amdhsa_exception_int_div_zero 0
	.end_amdhsa_kernel
	.section	.text._ZN2at6native32elementwise_kernel_manual_unrollILi128ELi4EZNS0_15gpu_kernel_implINS0_11FillFunctorIN3c108BFloat16EEEEEvRNS_18TensorIteratorBaseERKT_EUlibE_EEviT1_,"axG",@progbits,_ZN2at6native32elementwise_kernel_manual_unrollILi128ELi4EZNS0_15gpu_kernel_implINS0_11FillFunctorIN3c108BFloat16EEEEEvRNS_18TensorIteratorBaseERKT_EUlibE_EEviT1_,comdat
.Lfunc_end110:
	.size	_ZN2at6native32elementwise_kernel_manual_unrollILi128ELi4EZNS0_15gpu_kernel_implINS0_11FillFunctorIN3c108BFloat16EEEEEvRNS_18TensorIteratorBaseERKT_EUlibE_EEviT1_, .Lfunc_end110-_ZN2at6native32elementwise_kernel_manual_unrollILi128ELi4EZNS0_15gpu_kernel_implINS0_11FillFunctorIN3c108BFloat16EEEEEvRNS_18TensorIteratorBaseERKT_EUlibE_EEviT1_
                                        ; -- End function
	.set _ZN2at6native32elementwise_kernel_manual_unrollILi128ELi4EZNS0_15gpu_kernel_implINS0_11FillFunctorIN3c108BFloat16EEEEEvRNS_18TensorIteratorBaseERKT_EUlibE_EEviT1_.num_vgpr, 16
	.set _ZN2at6native32elementwise_kernel_manual_unrollILi128ELi4EZNS0_15gpu_kernel_implINS0_11FillFunctorIN3c108BFloat16EEEEEvRNS_18TensorIteratorBaseERKT_EUlibE_EEviT1_.num_agpr, 0
	.set _ZN2at6native32elementwise_kernel_manual_unrollILi128ELi4EZNS0_15gpu_kernel_implINS0_11FillFunctorIN3c108BFloat16EEEEEvRNS_18TensorIteratorBaseERKT_EUlibE_EEviT1_.numbered_sgpr, 66
	.set _ZN2at6native32elementwise_kernel_manual_unrollILi128ELi4EZNS0_15gpu_kernel_implINS0_11FillFunctorIN3c108BFloat16EEEEEvRNS_18TensorIteratorBaseERKT_EUlibE_EEviT1_.num_named_barrier, 0
	.set _ZN2at6native32elementwise_kernel_manual_unrollILi128ELi4EZNS0_15gpu_kernel_implINS0_11FillFunctorIN3c108BFloat16EEEEEvRNS_18TensorIteratorBaseERKT_EUlibE_EEviT1_.private_seg_size, 0
	.set _ZN2at6native32elementwise_kernel_manual_unrollILi128ELi4EZNS0_15gpu_kernel_implINS0_11FillFunctorIN3c108BFloat16EEEEEvRNS_18TensorIteratorBaseERKT_EUlibE_EEviT1_.uses_vcc, 1
	.set _ZN2at6native32elementwise_kernel_manual_unrollILi128ELi4EZNS0_15gpu_kernel_implINS0_11FillFunctorIN3c108BFloat16EEEEEvRNS_18TensorIteratorBaseERKT_EUlibE_EEviT1_.uses_flat_scratch, 0
	.set _ZN2at6native32elementwise_kernel_manual_unrollILi128ELi4EZNS0_15gpu_kernel_implINS0_11FillFunctorIN3c108BFloat16EEEEEvRNS_18TensorIteratorBaseERKT_EUlibE_EEviT1_.has_dyn_sized_stack, 0
	.set _ZN2at6native32elementwise_kernel_manual_unrollILi128ELi4EZNS0_15gpu_kernel_implINS0_11FillFunctorIN3c108BFloat16EEEEEvRNS_18TensorIteratorBaseERKT_EUlibE_EEviT1_.has_recursion, 0
	.set _ZN2at6native32elementwise_kernel_manual_unrollILi128ELi4EZNS0_15gpu_kernel_implINS0_11FillFunctorIN3c108BFloat16EEEEEvRNS_18TensorIteratorBaseERKT_EUlibE_EEviT1_.has_indirect_call, 0
	.section	.AMDGPU.csdata,"",@progbits
; Kernel info:
; codeLenInByte = 12900
; TotalNumSgprs: 70
; NumVgprs: 16
; ScratchSize: 0
; MemoryBound: 0
; FloatMode: 240
; IeeeMode: 1
; LDSByteSize: 0 bytes/workgroup (compile time only)
; SGPRBlocks: 8
; VGPRBlocks: 3
; NumSGPRsForWavesPerEU: 70
; NumVGPRsForWavesPerEU: 16
; Occupancy: 10
; WaveLimiterHint : 0
; COMPUTE_PGM_RSRC2:SCRATCH_EN: 0
; COMPUTE_PGM_RSRC2:USER_SGPR: 6
; COMPUTE_PGM_RSRC2:TRAP_HANDLER: 0
; COMPUTE_PGM_RSRC2:TGID_X_EN: 1
; COMPUTE_PGM_RSRC2:TGID_Y_EN: 0
; COMPUTE_PGM_RSRC2:TGID_Z_EN: 0
; COMPUTE_PGM_RSRC2:TIDIG_COMP_CNT: 0
	.section	.text._ZN2at6native32elementwise_kernel_manual_unrollILi128ELi4EZNS0_15gpu_kernel_implINS0_11FillFunctorIN3c108BFloat16EEEEEvRNS_18TensorIteratorBaseERKT_EUlibE0_EEviT1_,"axG",@progbits,_ZN2at6native32elementwise_kernel_manual_unrollILi128ELi4EZNS0_15gpu_kernel_implINS0_11FillFunctorIN3c108BFloat16EEEEEvRNS_18TensorIteratorBaseERKT_EUlibE0_EEviT1_,comdat
	.protected	_ZN2at6native32elementwise_kernel_manual_unrollILi128ELi4EZNS0_15gpu_kernel_implINS0_11FillFunctorIN3c108BFloat16EEEEEvRNS_18TensorIteratorBaseERKT_EUlibE0_EEviT1_ ; -- Begin function _ZN2at6native32elementwise_kernel_manual_unrollILi128ELi4EZNS0_15gpu_kernel_implINS0_11FillFunctorIN3c108BFloat16EEEEEvRNS_18TensorIteratorBaseERKT_EUlibE0_EEviT1_
	.globl	_ZN2at6native32elementwise_kernel_manual_unrollILi128ELi4EZNS0_15gpu_kernel_implINS0_11FillFunctorIN3c108BFloat16EEEEEvRNS_18TensorIteratorBaseERKT_EUlibE0_EEviT1_
	.p2align	8
	.type	_ZN2at6native32elementwise_kernel_manual_unrollILi128ELi4EZNS0_15gpu_kernel_implINS0_11FillFunctorIN3c108BFloat16EEEEEvRNS_18TensorIteratorBaseERKT_EUlibE0_EEviT1_,@function
_ZN2at6native32elementwise_kernel_manual_unrollILi128ELi4EZNS0_15gpu_kernel_implINS0_11FillFunctorIN3c108BFloat16EEEEEvRNS_18TensorIteratorBaseERKT_EUlibE0_EEviT1_: ; @_ZN2at6native32elementwise_kernel_manual_unrollILi128ELi4EZNS0_15gpu_kernel_implINS0_11FillFunctorIN3c108BFloat16EEEEEvRNS_18TensorIteratorBaseERKT_EUlibE0_EEviT1_
; %bb.0:
	s_load_dword s60, s[4:5], 0x0
	s_load_dword s33, s[4:5], 0x8
	s_add_u32 s28, s4, 8
	s_addc_u32 s29, s5, 0
	v_lshl_or_b32 v12, s6, 9, v0
	v_or_b32_e32 v8, 0x180, v12
	s_waitcnt lgkmcnt(0)
	s_add_i32 s80, s33, -1
	s_cmp_gt_u32 s80, 1
	v_cmp_le_i32_e32 vcc, s60, v8
	s_cselect_b64 s[30:31], -1, 0
	s_mov_b64 s[2:3], 0
	s_mov_b64 s[6:7], 0
	s_and_saveexec_b64 s[0:1], vcc
	s_xor_b64 s[34:35], exec, s[0:1]
	s_cbranch_execz .LBB111_467
; %bb.1:
	s_cmp_lg_u32 s33, 0
	s_load_dwordx2 s[78:79], s[28:29], 0xc4
	s_load_dwordx2 s[54:55], s[28:29], 0x108
	s_load_dword s82, s[28:29], 0x110
	s_load_dword s0, s[4:5], 0x118
	s_cselect_b64 s[64:65], -1, 0
	s_add_u32 s62, s28, 0xc4
	s_addc_u32 s63, s29, 0
	s_min_u32 s61, s80, 15
	s_cmp_gt_u32 s33, 1
	s_cselect_b64 s[58:59], -1, 0
	s_waitcnt lgkmcnt(0)
	s_and_b32 s94, s82, 0xffff
	s_lshl_b32 s81, s82, 16
	s_bfe_u32 s12, s82, 0x90007
	s_lshr_b32 s95, s0, 16
	s_or_b32 s8, s12, s81
	s_bfe_u32 s0, s94, 0x80007
	s_cmpk_eq_i32 s0, 0xff
	s_cselect_b64 s[40:41], -1, 0
	s_bitcmp1_b32 s82, 6
	s_cselect_b64 s[6:7], -1, 0
	s_and_b32 s8, s8, 0x3f00ff
	s_cmp_lg_u32 s8, 0
	v_trunc_f32_e32 v2, s81
	s_cselect_b64 s[8:9], -1, 0
	v_mul_f32_e32 v0, 0x2f800000, v2
	s_and_b64 s[6:7], s[6:7], s[8:9]
	s_and_b32 s8, s81, 0x7fffffff
	v_floor_f32_e32 v0, v0
	v_mov_b32_e32 v1, v2
	s_cmp_lt_u32 s8, 0x43800000
	v_cvt_u32_f32_e32 v7, v0
	v_fmac_f32_e32 v1, 0xcf800000, v0
	v_cndmask_b32_e64 v0, 0, 1, s[6:7]
	s_cselect_b64 s[48:49], -1, 0
	s_cmp_gt_u32 s8, 0x3bffffff
	v_add_u32_e32 v15, s12, v0
	s_cselect_b64 s[50:51], -1, 0
	s_bfe_u32 s6, s82, 0x10004
	v_mov_b32_e32 v0, 0x46000000
	s_or_b32 s9, s81, s6
	v_add_f32_e64 v0, |s81|, v0
	s_add_i32 s6, s9, 0x487ffff
	v_readfirstlane_b32 s93, v0
	s_lshr_b32 s92, s6, 20
	s_and_b32 s6, s93, 0xff
	s_cmp_lg_u32 s6, 0
	s_cselect_b64 s[52:53], -1, 0
	s_lshr_b32 s6, s82, 8
	s_and_b32 s83, s6, 0x80
	s_cmp_gt_u32 s8, 0x477fffff
	s_cselect_b64 s[6:7], -1, 0
	s_cmp_lt_u32 s8, 0x47800000
	s_cselect_b64 s[44:45], -1, 0
	s_cmp_gt_u32 s8, 0x37ffffff
	s_cselect_b64 s[24:25], -1, 0
	s_bfe_u32 s12, s82, 0x10005
	v_mov_b32_e32 v0, 0x42800000
	s_or_b32 s12, s81, s12
	v_add_f32_e64 v0, |s81|, v0
	s_add_i32 s13, s12, 0x88fffff
	v_readfirstlane_b32 s91, v0
	s_lshr_b32 s89, s13, 21
	s_and_b32 s13, s91, 0xff
	s_cmp_lg_u32 s13, 0
	s_cselect_b64 s[46:47], -1, 0
	s_cmp_gt_u32 s8, 0x43efffff
	s_cselect_b64 s[26:27], -1, 0
	s_cmp_lt_u32 s8, 0x3c800000
	s_mov_b32 s10, 0x2f800000
	s_cselect_b64 s[38:39], -1, 0
	s_add_i32 s9, s9, 0x407ffff
	s_lshr_b32 s13, s9, 20
	s_and_b32 s9, s9, 0xff00000
	v_mul_f32_e64 v3, |v2|, s10
	s_mov_b32 s11, 0xcf800000
	s_cmp_lg_u32 s9, 0x7f00000
	v_floor_f32_e32 v3, v3
	s_cselect_b32 s88, s13, 0x7e
	s_cmp_lt_u32 s8, 0x38800000
	v_fma_f32 v4, v3, s11, |v2|
	v_mov_b32_e32 v0, 0x46800000
	s_cselect_b64 s[36:37], -1, 0
	s_add_i32 s12, s12, 0x80fffff
	v_cvt_u32_f32_e32 v4, v4
	v_add_f32_e64 v0, |s81|, v0
	s_lshr_b32 s86, s12, 21
	v_cvt_u32_f32_e32 v3, v3
	v_readfirstlane_b32 s87, v0
	s_cmp_gt_u32 s8, 0x7f800000
	s_movk_i32 s8, 0x7f
	v_mov_b32_e32 v0, 0x43000000
	s_cselect_b32 s90, s8, 0x7e
	v_add_f32_e64 v0, |s81|, v0
	s_movk_i32 s8, 0x7c
	v_ashrrev_i32_e32 v2, 31, v2
	s_load_dwordx2 s[22:23], s[28:29], 0x14
	s_load_dwordx4 s[16:19], s[28:29], 0x4
	v_cvt_u32_f32_e32 v6, v1
	v_cvt_u32_f32_e32 v14, s81
	v_readfirstlane_b32 s85, v0
	s_cselect_b32 s1, 0x7f, s8
	s_and_b32 s8, s82, 0x7fff
	v_cvt_f64_f32_e32 v[0:1], s81
	v_cvt_f16_f32_e32 v11, s81
	v_xor_b32_e32 v4, v4, v2
	v_cvt_i32_f32_e32 v10, s81
	s_cmp_lg_u32 s8, 0
	v_xor_b32_e32 v3, v3, v2
	v_sub_co_u32_e32 v4, vcc, v4, v2
	s_cselect_b64 s[8:9], -1, 0
	v_subb_co_u32_e32 v5, vcc, v3, v2, vcc
	v_cndmask_b32_e64 v13, 0, 1, s[8:9]
	v_cmp_gt_i32_e32 vcc, s60, v12
	s_mov_b64 s[10:11], -1
	s_mov_b64 s[72:73], 0
	s_mov_b64 s[66:67], 0
	s_and_saveexec_b64 s[68:69], vcc
	s_cbranch_execz .LBB111_115
; %bb.2:
	s_andn2_b64 vcc, exec, s[30:31]
	s_cbranch_vccnz .LBB111_8
; %bb.3:
	s_andn2_b64 vcc, exec, s[64:65]
	s_cbranch_vccnz .LBB111_9
; %bb.4:
	s_add_i32 s56, s61, 1
	s_cmp_eq_u32 s80, 2
	s_cbranch_scc1 .LBB111_10
; %bb.5:
	s_mov_b64 vcc, s[48:49]
	s_mov_b64 s[48:49], s[40:41]
	s_mov_b64 s[76:77], s[38:39]
	;; [unrolled: 1-line block ×4, first 2 shown]
	s_waitcnt lgkmcnt(0)
	s_mov_b64 s[42:43], s[22:23]
	s_and_b32 s74, s56, 28
	s_mov_b32 s57, 0
	v_mov_b32_e32 v2, 0
	s_mov_b64 s[66:67], s[28:29]
	s_mov_b64 s[70:71], s[62:63]
	v_mov_b32_e32 v3, v12
.LBB111_6:                              ; =>This Inner Loop Header: Depth=1
	s_load_dwordx8 s[8:15], s[66:67], 0x4
	s_load_dwordx4 s[20:23], s[66:67], 0x24
	s_load_dwordx4 s[24:27], s[70:71], 0x0
	s_add_u32 s66, s66, 48
	s_addc_u32 s67, s67, 0
	s_waitcnt lgkmcnt(0)
	v_mul_hi_u32 v8, s9, v3
	s_add_i32 s57, s57, 4
	s_add_u32 s70, s70, 16
	s_addc_u32 s71, s71, 0
	v_add_u32_e32 v8, v3, v8
	v_lshrrev_b32_e32 v8, s10, v8
	v_mul_lo_u32 v9, v8, s8
	v_mul_hi_u32 v16, s12, v8
	s_cmp_lg_u32 s74, s57
	v_sub_u32_e32 v3, v3, v9
	v_add_u32_e32 v9, v8, v16
	v_lshrrev_b32_e32 v9, s13, v9
	v_mul_lo_u32 v16, v3, s24
	v_mul_hi_u32 v3, s15, v9
	v_mul_lo_u32 v18, v9, s11
	v_add_u32_e32 v3, v9, v3
	v_lshrrev_b32_e32 v17, s20, v3
	v_mul_hi_u32 v3, s22, v17
	v_sub_u32_e32 v8, v8, v18
	v_mul_lo_u32 v18, v17, s14
	v_mul_lo_u32 v8, v8, s25
	v_add_u32_e32 v3, v17, v3
	v_lshrrev_b32_e32 v3, s23, v3
	v_mul_lo_u32 v19, v3, s21
	v_sub_u32_e32 v9, v9, v18
	v_mul_lo_u32 v9, v9, s26
	v_add3_u32 v2, v16, v2, v8
	v_sub_u32_e32 v17, v17, v19
	v_mul_lo_u32 v17, v17, s27
	v_add3_u32 v2, v9, v2, v17
	s_cbranch_scc1 .LBB111_6
; %bb.7:
	s_mov_b64 s[22:23], s[42:43]
	s_mov_b64 s[24:25], s[38:39]
	;; [unrolled: 1-line block ×5, first 2 shown]
	s_mov_b64 s[48:49], vcc
	s_branch .LBB111_11
.LBB111_8:
                                        ; implicit-def: $vgpr2
	s_branch .LBB111_15
.LBB111_9:
	v_mov_b32_e32 v2, 0
	s_branch .LBB111_14
.LBB111_10:
	v_mov_b32_e32 v2, 0
	s_mov_b32 s74, 0
	v_mov_b32_e32 v3, v12
.LBB111_11:
	s_and_b32 s12, s56, 3
	s_cmp_eq_u32 s12, 0
	s_cbranch_scc1 .LBB111_14
; %bb.12:
	s_lshl_b32 s8, s74, 2
	s_add_u32 s8, s28, s8
	s_addc_u32 s9, s29, 0
	s_add_u32 s8, s8, 0xc4
	s_addc_u32 s9, s9, 0
	s_mul_i32 s10, s74, 12
	s_add_u32 s10, s28, s10
	s_addc_u32 s11, s29, 0
.LBB111_13:                             ; =>This Inner Loop Header: Depth=1
	s_load_dwordx2 s[14:15], s[10:11], 0x4
	s_load_dword s13, s[10:11], 0xc
	s_add_u32 s10, s10, 12
	s_addc_u32 s11, s11, 0
	s_waitcnt lgkmcnt(0)
	v_mul_hi_u32 v8, s15, v3
	s_load_dword s15, s[8:9], 0x0
	s_add_u32 s8, s8, 4
	s_addc_u32 s9, s9, 0
	v_add_u32_e32 v8, v3, v8
	v_lshrrev_b32_e32 v8, s13, v8
	v_mul_lo_u32 v9, v8, s14
	s_add_i32 s12, s12, -1
	s_cmp_lg_u32 s12, 0
	v_sub_u32_e32 v3, v3, v9
	s_waitcnt lgkmcnt(0)
	v_mad_u64_u32 v[2:3], s[14:15], v3, s15, v[2:3]
	v_mov_b32_e32 v3, v8
	s_cbranch_scc1 .LBB111_13
.LBB111_14:
	s_cbranch_execnz .LBB111_17
.LBB111_15:
	s_waitcnt lgkmcnt(0)
	v_mul_hi_u32 v2, s17, v12
	s_andn2_b64 vcc, exec, s[58:59]
	v_add_u32_e32 v2, v12, v2
	v_lshrrev_b32_e32 v3, s18, v2
	v_mul_lo_u32 v2, v3, s16
	v_sub_u32_e32 v2, v12, v2
	v_mul_lo_u32 v2, v2, s78
	s_cbranch_vccnz .LBB111_17
; %bb.16:
	v_mul_hi_u32 v8, s22, v3
	v_add_u32_e32 v8, v3, v8
	v_lshrrev_b32_e32 v8, s23, v8
	v_mul_lo_u32 v8, v8, s19
	v_sub_u32_e32 v3, v3, v8
	v_mad_u64_u32 v[2:3], s[8:9], v3, s79, v[2:3]
.LBB111_17:
	v_mov_b32_e32 v3, s55
	s_and_b32 s14, s95, 0xff
	v_add_co_u32_e32 v8, vcc, s54, v2
	s_cmp_lt_i32 s14, 11
	v_addc_co_u32_e32 v9, vcc, 0, v3, vcc
	s_cbranch_scc1 .LBB111_24
; %bb.18:
	s_and_b32 s15, 0xffff, s14
	s_cmp_gt_i32 s15, 25
	s_cbranch_scc0 .LBB111_27
; %bb.19:
	s_cmp_gt_i32 s15, 28
	s_cbranch_scc0 .LBB111_28
; %bb.20:
	;; [unrolled: 3-line block ×4, first 2 shown]
	s_mov_b64 s[12:13], 0
	s_mov_b64 s[8:9], -1
	s_cmp_eq_u32 s15, 46
	s_mov_b64 s[10:11], 0
	s_cbranch_scc0 .LBB111_31
; %bb.23:
	v_mov_b32_e32 v2, s94
	global_store_dword v[8:9], v2, off
	s_mov_b64 s[10:11], -1
	s_mov_b64 s[8:9], 0
	s_branch .LBB111_31
.LBB111_24:
	s_mov_b64 s[8:9], 0
	s_mov_b64 s[10:11], 0
	s_cbranch_execnz .LBB111_75
.LBB111_25:
	s_andn2_b64 vcc, exec, s[10:11]
	s_cbranch_vccnz .LBB111_113
.LBB111_26:
	v_add_u32_e32 v12, 0x80, v12
	s_mov_b64 s[10:11], -1
	s_branch .LBB111_114
.LBB111_27:
	s_mov_b64 s[8:9], 0
	s_mov_b64 s[10:11], 0
	s_cbranch_execnz .LBB111_53
	s_branch .LBB111_74
.LBB111_28:
	s_mov_b64 s[12:13], -1
	s_mov_b64 s[8:9], 0
	s_mov_b64 s[10:11], 0
	s_branch .LBB111_39
.LBB111_29:
	s_mov_b64 s[12:13], -1
	s_mov_b64 s[8:9], 0
	s_mov_b64 s[10:11], 0
	s_branch .LBB111_35
.LBB111_30:
	s_mov_b64 s[12:13], -1
	s_mov_b64 s[8:9], 0
	s_mov_b64 s[10:11], 0
.LBB111_31:
	s_and_b64 vcc, exec, s[12:13]
	s_cbranch_vccz .LBB111_34
; %bb.32:
	s_cmp_eq_u32 s15, 44
	s_mov_b64 s[8:9], -1
	s_cbranch_scc0 .LBB111_34
; %bb.33:
	v_mov_b32_e32 v2, 0xffff
	v_cndmask_b32_e64 v2, v15, v2, s[40:41]
	global_store_byte v[8:9], v2, off
	s_mov_b64 s[10:11], -1
	s_mov_b64 s[8:9], 0
.LBB111_34:
	s_mov_b64 s[12:13], 0
.LBB111_35:
	s_and_b64 vcc, exec, s[12:13]
	s_cbranch_vccz .LBB111_38
; %bb.36:
	s_cmp_eq_u32 s15, 29
	s_mov_b64 s[8:9], -1
	s_cbranch_scc0 .LBB111_38
; %bb.37:
	global_store_dwordx2 v[8:9], v[6:7], off
	s_mov_b64 s[10:11], -1
	s_mov_b64 s[8:9], 0
.LBB111_38:
	s_mov_b64 s[12:13], 0
.LBB111_39:
	s_and_b64 vcc, exec, s[12:13]
	s_cbranch_vccz .LBB111_52
; %bb.40:
	s_cmp_lt_i32 s15, 27
	s_mov_b64 s[10:11], -1
	s_cbranch_scc1 .LBB111_46
; %bb.41:
	s_cmp_gt_i32 s15, 27
	s_cbranch_scc0 .LBB111_43
; %bb.42:
	s_mov_b64 s[10:11], 0
	global_store_dword v[8:9], v14, off
.LBB111_43:
	s_andn2_b64 vcc, exec, s[10:11]
	s_cbranch_vccnz .LBB111_45
; %bb.44:
	global_store_short v[8:9], v14, off
.LBB111_45:
	s_mov_b64 s[10:11], 0
.LBB111_46:
	s_andn2_b64 vcc, exec, s[10:11]
	s_cbranch_vccnz .LBB111_51
; %bb.47:
	s_andn2_b64 vcc, exec, s[48:49]
	s_movk_i32 s10, 0x80
	s_cbranch_vccnz .LBB111_50
; %bb.48:
	s_or_b64 s[10:11], s[50:51], s[52:53]
	s_andn2_b64 vcc, exec, s[10:11]
	s_mov_b32 s10, 0
	s_cbranch_vccnz .LBB111_50
; %bb.49:
	s_and_b64 s[10:11], s[50:51], exec
	s_cselect_b32 s10, s92, s93
	s_or_b32 s10, s10, s83
.LBB111_50:
	v_mov_b32_e32 v2, s10
	global_store_byte v[8:9], v2, off
.LBB111_51:
	s_mov_b64 s[10:11], -1
.LBB111_52:
	s_branch .LBB111_74
.LBB111_53:
	s_cmp_gt_i32 s15, 22
	s_mov_b64 s[12:13], -1
	s_cbranch_scc0 .LBB111_66
; %bb.54:
	s_cmp_lt_i32 s15, 24
	s_mov_b64 s[10:11], -1
	s_cbranch_scc1 .LBB111_63
; %bb.55:
	s_cmp_gt_i32 s15, 24
	s_cbranch_scc0 .LBB111_60
; %bb.56:
	s_andn2_b64 vcc, exec, s[44:45]
	s_movk_i32 s10, 0x80
	s_cbranch_vccnz .LBB111_59
; %bb.57:
	s_or_b64 s[10:11], s[24:25], s[46:47]
	s_andn2_b64 vcc, exec, s[10:11]
	s_mov_b32 s10, 0
	s_cbranch_vccnz .LBB111_59
; %bb.58:
	s_and_b64 s[10:11], s[24:25], exec
	s_cselect_b32 s10, s89, s91
	s_or_b32 s10, s10, s83
.LBB111_59:
	v_mov_b32_e32 v2, s10
	s_mov_b64 s[10:11], 0
	global_store_byte v[8:9], v2, off
.LBB111_60:
	s_and_b64 vcc, exec, s[10:11]
	s_cbranch_vccz .LBB111_62
; %bb.61:
	s_and_b64 s[10:11], s[38:39], exec
	s_cselect_b32 s12, s87, s88
	s_and_b64 s[10:11], s[26:27], exec
	s_cselect_b32 s10, s90, s12
	s_or_b32 s10, s10, s83
	v_mov_b32_e32 v2, s10
	global_store_byte v[8:9], v2, off
.LBB111_62:
	s_mov_b64 s[10:11], 0
.LBB111_63:
	s_andn2_b64 vcc, exec, s[10:11]
	s_cbranch_vccnz .LBB111_65
; %bb.64:
	s_and_b64 s[10:11], s[36:37], exec
	s_cselect_b32 s12, s85, s86
	s_and_b64 s[10:11], s[6:7], exec
	s_cselect_b32 s10, s1, s12
	s_or_b32 s10, s10, s83
	v_mov_b32_e32 v2, s10
	global_store_byte v[8:9], v2, off
.LBB111_65:
	s_mov_b64 s[12:13], 0
	s_mov_b64 s[10:11], -1
.LBB111_66:
	s_andn2_b64 vcc, exec, s[12:13]
	s_cbranch_vccnz .LBB111_74
; %bb.67:
	s_cmp_gt_i32 s15, 14
	s_mov_b64 s[12:13], -1
	s_cbranch_scc0 .LBB111_71
; %bb.68:
	s_cmp_eq_u32 s15, 15
	s_mov_b64 s[8:9], -1
	s_cbranch_scc0 .LBB111_70
; %bb.69:
	v_mov_b32_e32 v2, s82
	global_store_short v[8:9], v2, off
	s_mov_b64 s[10:11], -1
	s_mov_b64 s[8:9], 0
.LBB111_70:
	s_mov_b64 s[12:13], 0
.LBB111_71:
	s_and_b64 vcc, exec, s[12:13]
	s_cbranch_vccz .LBB111_74
; %bb.72:
	s_cmp_eq_u32 s15, 11
	s_mov_b64 s[8:9], -1
	s_cbranch_scc0 .LBB111_74
; %bb.73:
	s_mov_b64 s[10:11], -1
	s_mov_b64 s[8:9], 0
	global_store_byte v[8:9], v13, off
.LBB111_74:
	s_branch .LBB111_25
.LBB111_75:
	s_and_b32 s12, 0xffff, s14
	s_cmp_lt_i32 s12, 5
	s_mov_b64 s[10:11], -1
	s_cbranch_scc1 .LBB111_96
; %bb.76:
	s_cmp_lt_i32 s12, 8
	s_cbranch_scc1 .LBB111_86
; %bb.77:
	s_cmp_lt_i32 s12, 9
	s_cbranch_scc1 .LBB111_83
; %bb.78:
	s_cmp_gt_i32 s12, 9
	s_cbranch_scc0 .LBB111_80
; %bb.79:
	v_mov_b32_e32 v2, 0
	v_mov_b32_e32 v3, v2
	global_store_dwordx4 v[8:9], v[0:3], off
	s_mov_b64 s[10:11], 0
.LBB111_80:
	s_andn2_b64 vcc, exec, s[10:11]
	s_cbranch_vccnz .LBB111_82
; %bb.81:
	v_mov_b32_e32 v2, s81
	v_mov_b32_e32 v3, 0
	global_store_dwordx2 v[8:9], v[2:3], off
.LBB111_82:
	s_mov_b64 s[10:11], 0
.LBB111_83:
	s_andn2_b64 vcc, exec, s[10:11]
	s_cbranch_vccnz .LBB111_85
; %bb.84:
	global_store_dword v[8:9], v11, off
.LBB111_85:
	s_mov_b64 s[10:11], 0
.LBB111_86:
	s_andn2_b64 vcc, exec, s[10:11]
	s_cbranch_vccnz .LBB111_95
; %bb.87:
	s_cmp_lt_i32 s12, 6
	s_mov_b64 s[10:11], -1
	s_cbranch_scc1 .LBB111_93
; %bb.88:
	s_cmp_gt_i32 s12, 6
	s_cbranch_scc0 .LBB111_90
; %bb.89:
	global_store_dwordx2 v[8:9], v[0:1], off
	s_mov_b64 s[10:11], 0
.LBB111_90:
	s_andn2_b64 vcc, exec, s[10:11]
	s_cbranch_vccnz .LBB111_92
; %bb.91:
	v_mov_b32_e32 v2, s81
	global_store_dword v[8:9], v2, off
.LBB111_92:
	s_mov_b64 s[10:11], 0
.LBB111_93:
	s_andn2_b64 vcc, exec, s[10:11]
	s_cbranch_vccnz .LBB111_95
; %bb.94:
	global_store_short v[8:9], v11, off
.LBB111_95:
	s_mov_b64 s[10:11], 0
.LBB111_96:
	s_andn2_b64 vcc, exec, s[10:11]
	s_cbranch_vccnz .LBB111_112
; %bb.97:
	s_cmp_lt_i32 s12, 2
	s_mov_b64 s[10:11], -1
	s_cbranch_scc1 .LBB111_107
; %bb.98:
	s_cmp_lt_i32 s12, 3
	s_cbranch_scc1 .LBB111_104
; %bb.99:
	s_cmp_gt_i32 s12, 3
	s_cbranch_scc0 .LBB111_101
; %bb.100:
	global_store_dwordx2 v[8:9], v[4:5], off
	s_mov_b64 s[10:11], 0
.LBB111_101:
	s_andn2_b64 vcc, exec, s[10:11]
	s_cbranch_vccnz .LBB111_103
; %bb.102:
	global_store_dword v[8:9], v10, off
.LBB111_103:
	s_mov_b64 s[10:11], 0
.LBB111_104:
	s_andn2_b64 vcc, exec, s[10:11]
	s_cbranch_vccnz .LBB111_106
; %bb.105:
	global_store_short v[8:9], v10, off
.LBB111_106:
	s_mov_b64 s[10:11], 0
.LBB111_107:
	s_andn2_b64 vcc, exec, s[10:11]
	s_cbranch_vccnz .LBB111_112
; %bb.108:
	s_cmp_gt_i32 s12, 0
	s_mov_b64 s[10:11], -1
	s_cbranch_scc0 .LBB111_110
; %bb.109:
	global_store_byte v[8:9], v10, off
	s_mov_b64 s[10:11], 0
.LBB111_110:
	s_andn2_b64 vcc, exec, s[10:11]
	s_cbranch_vccnz .LBB111_112
; %bb.111:
	global_store_byte v[8:9], v4, off
.LBB111_112:
	s_branch .LBB111_26
.LBB111_113:
	s_mov_b64 s[10:11], 0
                                        ; implicit-def: $vgpr12
.LBB111_114:
	s_and_b64 s[66:67], s[8:9], exec
	s_orn2_b64 s[10:11], s[10:11], exec
.LBB111_115:
	s_or_b64 exec, exec, s[68:69]
	s_mov_b64 s[8:9], 0
                                        ; implicit-def: $sgpr20
                                        ; implicit-def: $vgpr8_vgpr9
	s_and_saveexec_b64 s[68:69], s[10:11]
	s_cbranch_execz .LBB111_123
; %bb.116:
	v_cmp_gt_i32_e32 vcc, s60, v12
	s_mov_b64 s[8:9], -1
	s_mov_b64 s[70:71], s[66:67]
	s_and_saveexec_b64 s[72:73], vcc
	s_cbranch_execz .LBB111_234
; %bb.117:
	s_andn2_b64 vcc, exec, s[30:31]
	s_cbranch_vccnz .LBB111_126
; %bb.118:
	s_andn2_b64 vcc, exec, s[64:65]
	s_cbranch_vccnz .LBB111_127
; %bb.119:
	s_add_i32 s56, s61, 1
	s_cmp_eq_u32 s80, 2
	s_cbranch_scc1 .LBB111_128
; %bb.120:
	s_mov_b64 vcc, s[48:49]
	s_mov_b64 s[48:49], s[40:41]
	s_mov_b32 s0, s85
	s_mov_b64 s[84:85], s[36:37]
	s_mov_b64 s[36:37], s[52:53]
	s_mov_b64 s[52:53], s[6:7]
	s_mov_b64 s[6:7], s[44:45]
	s_mov_b32 s44, s90
	s_mov_b32 s90, s92
	s_mov_b32 s92, s87
	s_mov_b32 s87, s89
	s_mov_b32 s77, s88
	s_mov_b64 s[88:89], s[38:39]
	s_mov_b64 s[40:41], s[26:27]
	;; [unrolled: 1-line block ×3, first 2 shown]
	s_waitcnt lgkmcnt(0)
	s_mov_b64 s[42:43], s[22:23]
	s_and_b32 s76, s56, 28
	s_mov_b32 s57, 0
	v_mov_b32_e32 v2, 0
	s_mov_b64 s[70:71], s[28:29]
	s_mov_b64 s[74:75], s[62:63]
	v_mov_b32_e32 v3, v12
.LBB111_121:                            ; =>This Inner Loop Header: Depth=1
	s_load_dwordx8 s[8:15], s[70:71], 0x4
	s_load_dwordx4 s[20:23], s[70:71], 0x24
	s_load_dwordx4 s[24:27], s[74:75], 0x0
	s_add_u32 s70, s70, 48
	s_addc_u32 s71, s71, 0
	s_waitcnt lgkmcnt(0)
	v_mul_hi_u32 v8, s9, v3
	s_add_i32 s57, s57, 4
	s_add_u32 s74, s74, 16
	s_addc_u32 s75, s75, 0
	v_add_u32_e32 v8, v3, v8
	v_lshrrev_b32_e32 v8, s10, v8
	v_mul_lo_u32 v9, v8, s8
	v_mul_hi_u32 v16, s12, v8
	s_cmp_eq_u32 s76, s57
	v_sub_u32_e32 v3, v3, v9
	v_add_u32_e32 v9, v8, v16
	v_lshrrev_b32_e32 v9, s13, v9
	v_mul_lo_u32 v16, v3, s24
	v_mul_hi_u32 v3, s15, v9
	v_mul_lo_u32 v18, v9, s11
	v_add_u32_e32 v3, v9, v3
	v_lshrrev_b32_e32 v17, s20, v3
	v_mul_hi_u32 v3, s22, v17
	v_sub_u32_e32 v8, v8, v18
	v_mul_lo_u32 v18, v17, s14
	v_mul_lo_u32 v8, v8, s25
	v_add_u32_e32 v3, v17, v3
	v_lshrrev_b32_e32 v3, s23, v3
	v_mul_lo_u32 v19, v3, s21
	v_sub_u32_e32 v9, v9, v18
	v_mul_lo_u32 v9, v9, s26
	v_add3_u32 v2, v16, v2, v8
	v_sub_u32_e32 v17, v17, v19
	v_mul_lo_u32 v17, v17, s27
	v_add3_u32 v2, v9, v2, v17
	s_cbranch_scc0 .LBB111_121
; %bb.122:
	s_mov_b64 s[22:23], s[42:43]
	s_mov_b64 s[24:25], s[38:39]
	;; [unrolled: 1-line block ×4, first 2 shown]
	s_mov_b32 s88, s77
	s_mov_b32 s89, s87
	;; [unrolled: 1-line block ×5, first 2 shown]
	s_mov_b64 s[44:45], s[6:7]
	s_mov_b64 s[6:7], s[52:53]
	;; [unrolled: 1-line block ×4, first 2 shown]
	s_mov_b32 s85, s0
	s_mov_b64 s[40:41], s[48:49]
	s_mov_b64 s[48:49], vcc
	s_branch .LBB111_129
.LBB111_123:
	s_or_b64 exec, exec, s[68:69]
	s_mov_b64 s[0:1], 0
	s_and_saveexec_b64 s[6:7], s[66:67]
	s_cbranch_execnz .LBB111_427
.LBB111_124:
	s_or_b64 exec, exec, s[6:7]
	s_and_saveexec_b64 s[6:7], s[72:73]
	s_xor_b64 s[6:7], exec, s[6:7]
	s_cbranch_execz .LBB111_428
.LBB111_125:
	global_store_byte v[8:9], v13, off
	s_or_b64 exec, exec, s[6:7]
	s_and_saveexec_b64 s[6:7], s[8:9]
	s_xor_b64 s[6:7], exec, s[6:7]
	s_cbranch_execz .LBB111_466
	s_branch .LBB111_429
.LBB111_126:
                                        ; implicit-def: $vgpr2
	s_andn2_b64 vcc, exec, s[8:9]
	s_cbranch_vccz .LBB111_133
	s_branch .LBB111_135
.LBB111_127:
	v_mov_b32_e32 v2, 0
	s_branch .LBB111_132
.LBB111_128:
	v_mov_b32_e32 v2, 0
	s_mov_b32 s76, 0
	v_mov_b32_e32 v3, v12
.LBB111_129:
	s_and_b32 s12, s56, 3
	s_cmp_eq_u32 s12, 0
	s_cbranch_scc1 .LBB111_132
; %bb.130:
	s_lshl_b32 s8, s76, 2
	s_add_u32 s8, s28, s8
	s_addc_u32 s9, s29, 0
	s_add_u32 s8, s8, 0xc4
	s_addc_u32 s9, s9, 0
	s_mul_i32 s10, s76, 12
	s_add_u32 s10, s28, s10
	s_addc_u32 s11, s29, 0
.LBB111_131:                            ; =>This Inner Loop Header: Depth=1
	s_load_dwordx2 s[14:15], s[10:11], 0x4
	s_load_dword s13, s[10:11], 0xc
	s_add_u32 s10, s10, 12
	s_addc_u32 s11, s11, 0
	s_waitcnt lgkmcnt(0)
	v_mul_hi_u32 v8, s15, v3
	s_load_dword s15, s[8:9], 0x0
	s_add_u32 s8, s8, 4
	s_addc_u32 s9, s9, 0
	v_add_u32_e32 v8, v3, v8
	v_lshrrev_b32_e32 v8, s13, v8
	v_mul_lo_u32 v9, v8, s14
	s_add_i32 s12, s12, -1
	s_cmp_lg_u32 s12, 0
	v_sub_u32_e32 v3, v3, v9
	s_waitcnt lgkmcnt(0)
	v_mad_u64_u32 v[2:3], s[14:15], v3, s15, v[2:3]
	v_mov_b32_e32 v3, v8
	s_cbranch_scc1 .LBB111_131
.LBB111_132:
	s_cbranch_execnz .LBB111_135
.LBB111_133:
	s_waitcnt lgkmcnt(0)
	v_mul_hi_u32 v2, s17, v12
	s_andn2_b64 vcc, exec, s[58:59]
	v_add_u32_e32 v2, v12, v2
	v_lshrrev_b32_e32 v3, s18, v2
	v_mul_lo_u32 v2, v3, s16
	v_sub_u32_e32 v2, v12, v2
	v_mul_lo_u32 v2, v2, s78
	s_cbranch_vccnz .LBB111_135
; %bb.134:
	v_mul_hi_u32 v8, s22, v3
	v_add_u32_e32 v8, v3, v8
	v_lshrrev_b32_e32 v8, s23, v8
	v_mul_lo_u32 v8, v8, s19
	v_sub_u32_e32 v3, v3, v8
	v_mad_u64_u32 v[2:3], s[8:9], v3, s79, v[2:3]
.LBB111_135:
	v_mov_b32_e32 v3, s55
	s_and_b32 s14, s95, 0xff
	v_add_co_u32_e32 v8, vcc, s54, v2
	s_cmp_lt_i32 s14, 11
	v_addc_co_u32_e32 v9, vcc, 0, v3, vcc
	s_cbranch_scc1 .LBB111_142
; %bb.136:
	s_and_b32 s15, 0xffff, s14
	s_cmp_gt_i32 s15, 25
	s_cbranch_scc0 .LBB111_145
; %bb.137:
	s_cmp_gt_i32 s15, 28
	s_cbranch_scc0 .LBB111_146
; %bb.138:
	s_cmp_gt_i32 s15, 43
	s_cbranch_scc0 .LBB111_147
; %bb.139:
	s_cmp_gt_i32 s15, 45
	s_cbranch_scc0 .LBB111_148
; %bb.140:
	s_mov_b64 s[12:13], 0
	s_mov_b64 s[8:9], -1
	s_cmp_eq_u32 s15, 46
	s_mov_b64 s[10:11], 0
	s_cbranch_scc0 .LBB111_149
; %bb.141:
	v_mov_b32_e32 v2, s94
	global_store_dword v[8:9], v2, off
	s_mov_b64 s[10:11], -1
	s_mov_b64 s[8:9], 0
	s_branch .LBB111_149
.LBB111_142:
	s_mov_b64 s[10:11], 0
	s_mov_b64 s[8:9], s[66:67]
	s_cbranch_execnz .LBB111_194
.LBB111_143:
	s_andn2_b64 vcc, exec, s[10:11]
	s_cbranch_vccnz .LBB111_232
.LBB111_144:
	v_add_u32_e32 v12, 0x80, v12
	s_mov_b64 s[10:11], -1
	s_branch .LBB111_233
.LBB111_145:
	s_mov_b64 s[12:13], -1
	s_mov_b64 s[10:11], 0
	s_mov_b64 s[8:9], s[66:67]
	s_branch .LBB111_171
.LBB111_146:
	s_mov_b64 s[12:13], -1
	s_mov_b64 s[10:11], 0
	s_mov_b64 s[8:9], s[66:67]
	s_branch .LBB111_157
.LBB111_147:
	s_mov_b64 s[12:13], -1
	s_mov_b64 s[10:11], 0
	s_mov_b64 s[8:9], s[66:67]
	s_branch .LBB111_153
.LBB111_148:
	s_mov_b64 s[12:13], -1
	s_mov_b64 s[10:11], 0
	s_mov_b64 s[8:9], s[66:67]
.LBB111_149:
	s_and_b64 vcc, exec, s[12:13]
	s_cbranch_vccz .LBB111_152
; %bb.150:
	s_cmp_eq_u32 s15, 44
	s_mov_b64 s[8:9], -1
	s_cbranch_scc0 .LBB111_152
; %bb.151:
	v_mov_b32_e32 v2, 0xffff
	v_cndmask_b32_e64 v2, v15, v2, s[40:41]
	s_mov_b64 s[10:11], -1
	s_mov_b64 s[8:9], 0
	global_store_byte v[8:9], v2, off
.LBB111_152:
	s_mov_b64 s[12:13], 0
.LBB111_153:
	s_and_b64 vcc, exec, s[12:13]
	s_cbranch_vccz .LBB111_156
; %bb.154:
	s_cmp_eq_u32 s15, 29
	s_mov_b64 s[8:9], -1
	s_cbranch_scc0 .LBB111_156
; %bb.155:
	global_store_dwordx2 v[8:9], v[6:7], off
	s_mov_b64 s[10:11], -1
	s_mov_b64 s[8:9], 0
.LBB111_156:
	s_mov_b64 s[12:13], 0
.LBB111_157:
	s_and_b64 vcc, exec, s[12:13]
	s_cbranch_vccz .LBB111_170
; %bb.158:
	s_cmp_lt_i32 s15, 27
	s_mov_b64 s[10:11], -1
	s_cbranch_scc1 .LBB111_164
; %bb.159:
	s_cmp_gt_i32 s15, 27
	s_cbranch_scc0 .LBB111_161
; %bb.160:
	s_mov_b64 s[10:11], 0
	global_store_dword v[8:9], v14, off
.LBB111_161:
	s_andn2_b64 vcc, exec, s[10:11]
	s_cbranch_vccnz .LBB111_163
; %bb.162:
	global_store_short v[8:9], v14, off
.LBB111_163:
	s_mov_b64 s[10:11], 0
.LBB111_164:
	s_andn2_b64 vcc, exec, s[10:11]
	s_cbranch_vccnz .LBB111_169
; %bb.165:
	s_andn2_b64 vcc, exec, s[48:49]
	s_movk_i32 s10, 0x80
	s_cbranch_vccnz .LBB111_168
; %bb.166:
	s_or_b64 s[10:11], s[50:51], s[52:53]
	s_andn2_b64 vcc, exec, s[10:11]
	s_mov_b32 s10, 0
	s_cbranch_vccnz .LBB111_168
; %bb.167:
	s_and_b64 s[10:11], s[50:51], exec
	s_cselect_b32 s10, s92, s93
	s_or_b32 s10, s10, s83
.LBB111_168:
	v_mov_b32_e32 v2, s10
	global_store_byte v[8:9], v2, off
.LBB111_169:
	s_mov_b64 s[10:11], -1
.LBB111_170:
	s_mov_b64 s[12:13], 0
.LBB111_171:
	s_and_b64 vcc, exec, s[12:13]
	s_cbranch_vccz .LBB111_193
; %bb.172:
	s_cmp_gt_i32 s15, 22
	s_mov_b64 s[12:13], -1
	s_cbranch_scc0 .LBB111_185
; %bb.173:
	s_cmp_lt_i32 s15, 24
	s_mov_b64 s[10:11], -1
	s_cbranch_scc1 .LBB111_182
; %bb.174:
	s_cmp_gt_i32 s15, 24
	s_cbranch_scc0 .LBB111_179
; %bb.175:
	s_andn2_b64 vcc, exec, s[44:45]
	s_movk_i32 s10, 0x80
	s_cbranch_vccnz .LBB111_178
; %bb.176:
	s_or_b64 s[10:11], s[24:25], s[46:47]
	s_andn2_b64 vcc, exec, s[10:11]
	s_mov_b32 s10, 0
	s_cbranch_vccnz .LBB111_178
; %bb.177:
	s_and_b64 s[10:11], s[24:25], exec
	s_cselect_b32 s10, s89, s91
	s_or_b32 s10, s10, s83
.LBB111_178:
	v_mov_b32_e32 v2, s10
	s_mov_b64 s[10:11], 0
	global_store_byte v[8:9], v2, off
.LBB111_179:
	s_and_b64 vcc, exec, s[10:11]
	s_cbranch_vccz .LBB111_181
; %bb.180:
	s_and_b64 s[10:11], s[38:39], exec
	s_cselect_b32 s12, s87, s88
	s_and_b64 s[10:11], s[26:27], exec
	s_cselect_b32 s10, s90, s12
	s_or_b32 s10, s10, s83
	v_mov_b32_e32 v2, s10
	global_store_byte v[8:9], v2, off
.LBB111_181:
	s_mov_b64 s[10:11], 0
.LBB111_182:
	s_andn2_b64 vcc, exec, s[10:11]
	s_cbranch_vccnz .LBB111_184
; %bb.183:
	s_and_b64 s[10:11], s[36:37], exec
	s_cselect_b32 s12, s85, s86
	s_and_b64 s[10:11], s[6:7], exec
	s_cselect_b32 s10, s1, s12
	s_or_b32 s10, s10, s83
	v_mov_b32_e32 v2, s10
	global_store_byte v[8:9], v2, off
.LBB111_184:
	s_mov_b64 s[12:13], 0
	s_mov_b64 s[10:11], -1
.LBB111_185:
	s_andn2_b64 vcc, exec, s[12:13]
	s_cbranch_vccnz .LBB111_193
; %bb.186:
	s_cmp_gt_i32 s15, 14
	s_mov_b64 s[12:13], -1
	s_cbranch_scc0 .LBB111_190
; %bb.187:
	s_cmp_eq_u32 s15, 15
	s_mov_b64 s[8:9], -1
	s_cbranch_scc0 .LBB111_189
; %bb.188:
	v_mov_b32_e32 v2, s82
	global_store_short v[8:9], v2, off
	s_mov_b64 s[10:11], -1
	s_mov_b64 s[8:9], 0
.LBB111_189:
	s_mov_b64 s[12:13], 0
.LBB111_190:
	s_and_b64 vcc, exec, s[12:13]
	s_cbranch_vccz .LBB111_193
; %bb.191:
	s_cmp_eq_u32 s15, 11
	s_mov_b64 s[8:9], -1
	s_cbranch_scc0 .LBB111_193
; %bb.192:
	s_mov_b64 s[10:11], -1
	s_mov_b64 s[8:9], 0
	global_store_byte v[8:9], v13, off
.LBB111_193:
	s_branch .LBB111_143
.LBB111_194:
	s_and_b32 s12, 0xffff, s14
	s_cmp_lt_i32 s12, 5
	s_mov_b64 s[10:11], -1
	s_cbranch_scc1 .LBB111_215
; %bb.195:
	s_cmp_lt_i32 s12, 8
	s_cbranch_scc1 .LBB111_205
; %bb.196:
	s_cmp_lt_i32 s12, 9
	s_cbranch_scc1 .LBB111_202
; %bb.197:
	s_cmp_gt_i32 s12, 9
	s_cbranch_scc0 .LBB111_199
; %bb.198:
	v_mov_b32_e32 v2, 0
	v_mov_b32_e32 v3, v2
	s_mov_b64 s[10:11], 0
	global_store_dwordx4 v[8:9], v[0:3], off
.LBB111_199:
	s_andn2_b64 vcc, exec, s[10:11]
	s_cbranch_vccnz .LBB111_201
; %bb.200:
	v_mov_b32_e32 v2, s81
	v_mov_b32_e32 v3, 0
	global_store_dwordx2 v[8:9], v[2:3], off
.LBB111_201:
	s_mov_b64 s[10:11], 0
.LBB111_202:
	s_andn2_b64 vcc, exec, s[10:11]
	s_cbranch_vccnz .LBB111_204
; %bb.203:
	global_store_dword v[8:9], v11, off
.LBB111_204:
	s_mov_b64 s[10:11], 0
.LBB111_205:
	s_andn2_b64 vcc, exec, s[10:11]
	s_cbranch_vccnz .LBB111_214
; %bb.206:
	s_cmp_lt_i32 s12, 6
	s_mov_b64 s[10:11], -1
	s_cbranch_scc1 .LBB111_212
; %bb.207:
	s_cmp_gt_i32 s12, 6
	s_cbranch_scc0 .LBB111_209
; %bb.208:
	s_mov_b64 s[10:11], 0
	global_store_dwordx2 v[8:9], v[0:1], off
.LBB111_209:
	s_andn2_b64 vcc, exec, s[10:11]
	s_cbranch_vccnz .LBB111_211
; %bb.210:
	v_mov_b32_e32 v2, s81
	global_store_dword v[8:9], v2, off
.LBB111_211:
	s_mov_b64 s[10:11], 0
.LBB111_212:
	s_andn2_b64 vcc, exec, s[10:11]
	s_cbranch_vccnz .LBB111_214
; %bb.213:
	global_store_short v[8:9], v11, off
.LBB111_214:
	s_mov_b64 s[10:11], 0
.LBB111_215:
	s_andn2_b64 vcc, exec, s[10:11]
	s_cbranch_vccnz .LBB111_231
; %bb.216:
	s_cmp_lt_i32 s12, 2
	s_mov_b64 s[10:11], -1
	s_cbranch_scc1 .LBB111_226
; %bb.217:
	s_cmp_lt_i32 s12, 3
	s_cbranch_scc1 .LBB111_223
; %bb.218:
	s_cmp_gt_i32 s12, 3
	s_cbranch_scc0 .LBB111_220
; %bb.219:
	s_mov_b64 s[10:11], 0
	global_store_dwordx2 v[8:9], v[4:5], off
.LBB111_220:
	s_andn2_b64 vcc, exec, s[10:11]
	s_cbranch_vccnz .LBB111_222
; %bb.221:
	global_store_dword v[8:9], v10, off
.LBB111_222:
	s_mov_b64 s[10:11], 0
.LBB111_223:
	s_andn2_b64 vcc, exec, s[10:11]
	s_cbranch_vccnz .LBB111_225
; %bb.224:
	global_store_short v[8:9], v10, off
.LBB111_225:
	s_mov_b64 s[10:11], 0
.LBB111_226:
	s_andn2_b64 vcc, exec, s[10:11]
	s_cbranch_vccnz .LBB111_231
; %bb.227:
	s_cmp_gt_i32 s12, 0
	s_mov_b64 s[10:11], -1
	s_cbranch_scc0 .LBB111_229
; %bb.228:
	s_mov_b64 s[10:11], 0
	global_store_byte v[8:9], v10, off
.LBB111_229:
	s_andn2_b64 vcc, exec, s[10:11]
	s_cbranch_vccnz .LBB111_231
; %bb.230:
	global_store_byte v[8:9], v4, off
.LBB111_231:
	s_branch .LBB111_144
.LBB111_232:
	s_mov_b64 s[10:11], 0
                                        ; implicit-def: $vgpr12
.LBB111_233:
	s_andn2_b64 s[12:13], s[66:67], exec
	s_and_b64 s[8:9], s[8:9], exec
	s_or_b64 s[70:71], s[12:13], s[8:9]
	s_orn2_b64 s[8:9], s[10:11], exec
.LBB111_234:
	s_or_b64 exec, exec, s[72:73]
	s_mov_b64 s[10:11], 0
	s_mov_b64 s[12:13], 0
                                        ; implicit-def: $sgpr20
                                        ; implicit-def: $vgpr8_vgpr9
	s_and_saveexec_b64 s[72:73], s[8:9]
	s_cbranch_execz .LBB111_426
; %bb.235:
	v_cmp_gt_i32_e32 vcc, s60, v12
	s_mov_b64 s[10:11], -1
	s_mov_b64 s[76:77], s[70:71]
	s_and_saveexec_b64 s[74:75], vcc
                                        ; implicit-def: $vgpr20 : SGPR spill to VGPR lane
	s_cbranch_execz .LBB111_352
; %bb.236:
	s_andn2_b64 vcc, exec, s[30:31]
	s_cbranch_vccnz .LBB111_242
; %bb.237:
	s_andn2_b64 vcc, exec, s[64:65]
	s_cbranch_vccnz .LBB111_243
; %bb.238:
	s_add_i32 s57, s61, 1
	s_cmp_eq_u32 s80, 2
	s_cbranch_scc1 .LBB111_244
; %bb.239:
	v_writelane_b32 v20, s48, 0
	v_writelane_b32 v20, s49, 1
	s_mov_b64 s[48:49], s[40:41]
	s_mov_b32 s0, s85
	s_mov_b64 s[84:85], s[36:37]
	s_mov_b64 s[36:37], s[52:53]
	;; [unrolled: 1-line block ×4, first 2 shown]
	s_mov_b32 s44, s90
	s_mov_b32 s90, s92
	;; [unrolled: 1-line block ×4, first 2 shown]
	s_mov_b32 vcc_hi, s88
	s_mov_b64 s[88:89], s[38:39]
	s_mov_b64 s[40:41], s[26:27]
	;; [unrolled: 1-line block ×3, first 2 shown]
	s_waitcnt lgkmcnt(0)
	s_mov_b64 s[42:43], s[22:23]
	s_and_b32 s56, s57, 28
	s_mov_b32 vcc_lo, 0
	v_mov_b32_e32 v2, 0
	s_mov_b64 s[76:77], s[28:29]
	s_mov_b64 s[78:79], s[62:63]
	v_mov_b32_e32 v3, v12
.LBB111_240:                            ; =>This Inner Loop Header: Depth=1
	s_load_dwordx8 s[8:15], s[76:77], 0x4
	s_load_dwordx4 s[20:23], s[76:77], 0x24
	s_load_dwordx4 s[24:27], s[78:79], 0x0
	s_add_u32 s76, s76, 48
	s_addc_u32 s77, s77, 0
	s_waitcnt lgkmcnt(0)
	v_mul_hi_u32 v8, s9, v3
	s_add_i32 vcc_lo, vcc_lo, 4
	s_add_u32 s78, s78, 16
	s_addc_u32 s79, s79, 0
	v_add_u32_e32 v8, v3, v8
	v_lshrrev_b32_e32 v8, s10, v8
	v_mul_lo_u32 v9, v8, s8
	v_mul_hi_u32 v16, s12, v8
	s_cmp_eq_u32 s56, vcc_lo
	v_sub_u32_e32 v3, v3, v9
	v_add_u32_e32 v9, v8, v16
	v_lshrrev_b32_e32 v9, s13, v9
	v_mul_lo_u32 v16, v3, s24
	v_mul_hi_u32 v3, s15, v9
	v_mul_lo_u32 v18, v9, s11
	v_add_u32_e32 v3, v9, v3
	v_lshrrev_b32_e32 v17, s20, v3
	v_mul_hi_u32 v3, s22, v17
	v_sub_u32_e32 v8, v8, v18
	v_mul_lo_u32 v18, v17, s14
	v_mul_lo_u32 v8, v8, s25
	v_add_u32_e32 v3, v17, v3
	v_lshrrev_b32_e32 v3, s23, v3
	v_mul_lo_u32 v19, v3, s21
	v_sub_u32_e32 v9, v9, v18
	v_mul_lo_u32 v9, v9, s26
	v_add3_u32 v2, v16, v2, v8
	v_sub_u32_e32 v17, v17, v19
	v_mul_lo_u32 v17, v17, s27
	v_add3_u32 v2, v9, v2, v17
	s_cbranch_scc0 .LBB111_240
; %bb.241:
	s_load_dwordx2 s[78:79], s[28:29], 0xc4
	s_mov_b64 s[26:27], s[40:41]
	s_mov_b64 s[40:41], s[48:49]
	v_readlane_b32 s48, v20, 0
	s_mov_b64 s[22:23], s[42:43]
	s_mov_b64 s[24:25], s[38:39]
	;; [unrolled: 1-line block ×3, first 2 shown]
	s_mov_b32 s88, vcc_hi
	s_mov_b32 s89, s87
	s_mov_b32 s87, s92
	;; [unrolled: 1-line block ×4, first 2 shown]
	s_mov_b64 s[44:45], s[6:7]
	s_mov_b64 s[6:7], s[52:53]
	;; [unrolled: 1-line block ×4, first 2 shown]
	s_mov_b32 s85, s0
	v_readlane_b32 s49, v20, 1
	s_branch .LBB111_245
.LBB111_242:
	s_mov_b64 s[8:9], -1
                                        ; implicit-def: $vgpr2
	s_branch .LBB111_249
.LBB111_243:
	v_mov_b32_e32 v2, 0
	s_branch .LBB111_248
.LBB111_244:
	v_mov_b32_e32 v2, 0
	s_mov_b32 s56, 0
	v_mov_b32_e32 v3, v12
.LBB111_245:
	s_and_b32 s12, s57, 3
	s_cmp_eq_u32 s12, 0
	s_cbranch_scc1 .LBB111_248
; %bb.246:
	s_lshl_b32 s8, s56, 2
	s_add_u32 s8, s28, s8
	s_addc_u32 s9, s29, 0
	s_add_u32 s8, s8, 0xc4
	s_addc_u32 s9, s9, 0
	s_mul_i32 s10, s56, 12
	s_add_u32 s10, s28, s10
	s_addc_u32 s11, s29, 0
.LBB111_247:                            ; =>This Inner Loop Header: Depth=1
	s_load_dwordx2 s[14:15], s[10:11], 0x4
	s_load_dword s13, s[10:11], 0xc
	s_add_u32 s10, s10, 12
	s_addc_u32 s11, s11, 0
	s_waitcnt lgkmcnt(0)
	v_mul_hi_u32 v8, s15, v3
	s_load_dword s15, s[8:9], 0x0
	s_add_u32 s8, s8, 4
	s_addc_u32 s9, s9, 0
	v_add_u32_e32 v8, v3, v8
	v_lshrrev_b32_e32 v8, s13, v8
	v_mul_lo_u32 v9, v8, s14
	s_add_i32 s12, s12, -1
	s_cmp_lg_u32 s12, 0
	v_sub_u32_e32 v3, v3, v9
	s_waitcnt lgkmcnt(0)
	v_mad_u64_u32 v[2:3], s[14:15], v3, s15, v[2:3]
	v_mov_b32_e32 v3, v8
	s_cbranch_scc1 .LBB111_247
.LBB111_248:
	s_mov_b64 s[8:9], 0
.LBB111_249:
	s_andn2_b64 vcc, exec, s[8:9]
	s_cbranch_vccnz .LBB111_252
; %bb.250:
	s_waitcnt lgkmcnt(0)
	v_mul_hi_u32 v2, s17, v12
	s_andn2_b64 vcc, exec, s[58:59]
	v_add_u32_e32 v2, v12, v2
	v_lshrrev_b32_e32 v3, s18, v2
	v_mul_lo_u32 v2, v3, s16
	v_sub_u32_e32 v2, v12, v2
	v_mul_lo_u32 v2, v2, s78
	s_cbranch_vccnz .LBB111_252
; %bb.251:
	v_mul_hi_u32 v8, s22, v3
	v_add_u32_e32 v8, v3, v8
	v_lshrrev_b32_e32 v8, s23, v8
	v_mul_lo_u32 v8, v8, s19
	v_sub_u32_e32 v3, v3, v8
	v_mad_u64_u32 v[2:3], s[8:9], v3, s79, v[2:3]
.LBB111_252:
	v_mov_b32_e32 v3, s55
	s_and_b32 s14, s95, 0xff
	v_add_co_u32_e32 v8, vcc, s54, v2
	s_cmp_lt_i32 s14, 11
	v_addc_co_u32_e32 v9, vcc, 0, v3, vcc
	s_cbranch_scc1 .LBB111_259
; %bb.253:
	s_and_b32 s15, 0xffff, s14
	s_cmp_gt_i32 s15, 25
	s_cbranch_scc0 .LBB111_260
; %bb.254:
	s_cmp_gt_i32 s15, 28
	s_cbranch_scc0 .LBB111_261
; %bb.255:
	;; [unrolled: 3-line block ×4, first 2 shown]
	s_mov_b64 s[12:13], 0
	s_mov_b64 s[8:9], -1
	s_cmp_eq_u32 s15, 46
	s_mov_b64 s[10:11], 0
	s_cbranch_scc0 .LBB111_264
; %bb.258:
	v_mov_b32_e32 v2, s94
	global_store_dword v[8:9], v2, off
	s_mov_b64 s[10:11], -1
	s_mov_b64 s[8:9], 0
	s_branch .LBB111_264
.LBB111_259:
	s_mov_b64 s[12:13], -1
	s_mov_b64 s[10:11], 0
	s_mov_b64 s[8:9], s[70:71]
	s_branch .LBB111_309
.LBB111_260:
	s_mov_b64 s[12:13], -1
	s_mov_b64 s[10:11], 0
	s_mov_b64 s[8:9], s[70:71]
	s_branch .LBB111_286
.LBB111_261:
	s_mov_b64 s[12:13], -1
	s_mov_b64 s[10:11], 0
	s_mov_b64 s[8:9], s[70:71]
	s_branch .LBB111_272
.LBB111_262:
	s_mov_b64 s[12:13], -1
	s_mov_b64 s[10:11], 0
	s_mov_b64 s[8:9], s[70:71]
	s_branch .LBB111_268
.LBB111_263:
	s_mov_b64 s[12:13], -1
	s_mov_b64 s[10:11], 0
	s_mov_b64 s[8:9], s[70:71]
.LBB111_264:
	s_and_b64 vcc, exec, s[12:13]
	s_cbranch_vccz .LBB111_267
; %bb.265:
	s_cmp_eq_u32 s15, 44
	s_mov_b64 s[8:9], -1
	s_cbranch_scc0 .LBB111_267
; %bb.266:
	v_mov_b32_e32 v2, 0xffff
	v_cndmask_b32_e64 v2, v15, v2, s[40:41]
	s_mov_b64 s[10:11], -1
	s_mov_b64 s[8:9], 0
	global_store_byte v[8:9], v2, off
.LBB111_267:
	s_mov_b64 s[12:13], 0
.LBB111_268:
	s_and_b64 vcc, exec, s[12:13]
	s_cbranch_vccz .LBB111_271
; %bb.269:
	s_cmp_eq_u32 s15, 29
	s_mov_b64 s[8:9], -1
	s_cbranch_scc0 .LBB111_271
; %bb.270:
	global_store_dwordx2 v[8:9], v[6:7], off
	s_mov_b64 s[10:11], -1
	s_mov_b64 s[8:9], 0
.LBB111_271:
	s_mov_b64 s[12:13], 0
.LBB111_272:
	s_and_b64 vcc, exec, s[12:13]
	s_cbranch_vccz .LBB111_285
; %bb.273:
	s_cmp_lt_i32 s15, 27
	s_mov_b64 s[10:11], -1
	s_cbranch_scc1 .LBB111_279
; %bb.274:
	s_cmp_gt_i32 s15, 27
	s_cbranch_scc0 .LBB111_276
; %bb.275:
	s_mov_b64 s[10:11], 0
	global_store_dword v[8:9], v14, off
.LBB111_276:
	s_andn2_b64 vcc, exec, s[10:11]
	s_cbranch_vccnz .LBB111_278
; %bb.277:
	global_store_short v[8:9], v14, off
.LBB111_278:
	s_mov_b64 s[10:11], 0
.LBB111_279:
	s_andn2_b64 vcc, exec, s[10:11]
	s_cbranch_vccnz .LBB111_284
; %bb.280:
	s_andn2_b64 vcc, exec, s[48:49]
	s_movk_i32 s10, 0x80
	s_cbranch_vccnz .LBB111_283
; %bb.281:
	s_or_b64 s[10:11], s[50:51], s[52:53]
	s_andn2_b64 vcc, exec, s[10:11]
	s_mov_b32 s10, 0
	s_cbranch_vccnz .LBB111_283
; %bb.282:
	s_and_b64 s[10:11], s[50:51], exec
	s_cselect_b32 s10, s92, s93
	s_or_b32 s10, s10, s83
.LBB111_283:
	v_mov_b32_e32 v2, s10
	global_store_byte v[8:9], v2, off
.LBB111_284:
	s_mov_b64 s[10:11], -1
.LBB111_285:
	s_mov_b64 s[12:13], 0
.LBB111_286:
	s_and_b64 vcc, exec, s[12:13]
	s_cbranch_vccz .LBB111_308
; %bb.287:
	s_cmp_gt_i32 s15, 22
	s_mov_b64 s[12:13], -1
	s_cbranch_scc0 .LBB111_300
; %bb.288:
	s_cmp_lt_i32 s15, 24
	s_mov_b64 s[10:11], -1
	s_cbranch_scc1 .LBB111_297
; %bb.289:
	s_cmp_gt_i32 s15, 24
	s_cbranch_scc0 .LBB111_294
; %bb.290:
	s_andn2_b64 vcc, exec, s[44:45]
	s_movk_i32 s10, 0x80
	s_cbranch_vccnz .LBB111_293
; %bb.291:
	s_or_b64 s[10:11], s[24:25], s[46:47]
	s_andn2_b64 vcc, exec, s[10:11]
	s_mov_b32 s10, 0
	s_cbranch_vccnz .LBB111_293
; %bb.292:
	s_and_b64 s[10:11], s[24:25], exec
	s_cselect_b32 s10, s89, s91
	s_or_b32 s10, s10, s83
.LBB111_293:
	v_mov_b32_e32 v2, s10
	s_mov_b64 s[10:11], 0
	global_store_byte v[8:9], v2, off
.LBB111_294:
	s_and_b64 vcc, exec, s[10:11]
	s_cbranch_vccz .LBB111_296
; %bb.295:
	s_and_b64 s[10:11], s[38:39], exec
	s_cselect_b32 s12, s87, s88
	s_and_b64 s[10:11], s[26:27], exec
	s_cselect_b32 s10, s90, s12
	s_or_b32 s10, s10, s83
	v_mov_b32_e32 v2, s10
	global_store_byte v[8:9], v2, off
.LBB111_296:
	s_mov_b64 s[10:11], 0
.LBB111_297:
	s_andn2_b64 vcc, exec, s[10:11]
	s_cbranch_vccnz .LBB111_299
; %bb.298:
	s_and_b64 s[10:11], s[36:37], exec
	s_cselect_b32 s12, s85, s86
	s_and_b64 s[10:11], s[6:7], exec
	s_cselect_b32 s10, s1, s12
	s_or_b32 s10, s10, s83
	v_mov_b32_e32 v2, s10
	global_store_byte v[8:9], v2, off
.LBB111_299:
	s_mov_b64 s[12:13], 0
	s_mov_b64 s[10:11], -1
.LBB111_300:
	s_andn2_b64 vcc, exec, s[12:13]
	s_cbranch_vccnz .LBB111_308
; %bb.301:
	s_cmp_gt_i32 s15, 14
	s_mov_b64 s[12:13], -1
	s_cbranch_scc0 .LBB111_305
; %bb.302:
	s_cmp_eq_u32 s15, 15
	s_mov_b64 s[8:9], -1
	s_cbranch_scc0 .LBB111_304
; %bb.303:
	v_mov_b32_e32 v2, s82
	global_store_short v[8:9], v2, off
	s_mov_b64 s[10:11], -1
	s_mov_b64 s[8:9], 0
.LBB111_304:
	s_mov_b64 s[12:13], 0
.LBB111_305:
	s_and_b64 vcc, exec, s[12:13]
	s_cbranch_vccz .LBB111_308
; %bb.306:
	s_cmp_eq_u32 s15, 11
	s_mov_b64 s[8:9], -1
	s_cbranch_scc0 .LBB111_308
; %bb.307:
	s_mov_b64 s[10:11], -1
	s_mov_b64 s[8:9], 0
	global_store_byte v[8:9], v13, off
.LBB111_308:
	s_mov_b64 s[12:13], 0
.LBB111_309:
	s_and_b64 vcc, exec, s[12:13]
	s_cbranch_vccz .LBB111_348
; %bb.310:
	s_and_b32 s12, 0xffff, s14
	s_cmp_lt_i32 s12, 5
	s_mov_b64 s[10:11], -1
	s_cbranch_scc1 .LBB111_331
; %bb.311:
	s_cmp_lt_i32 s12, 8
	s_cbranch_scc1 .LBB111_321
; %bb.312:
	s_cmp_lt_i32 s12, 9
	s_cbranch_scc1 .LBB111_318
; %bb.313:
	s_cmp_gt_i32 s12, 9
	s_cbranch_scc0 .LBB111_315
; %bb.314:
	v_mov_b32_e32 v2, 0
	v_mov_b32_e32 v3, v2
	s_mov_b64 s[10:11], 0
	global_store_dwordx4 v[8:9], v[0:3], off
.LBB111_315:
	s_andn2_b64 vcc, exec, s[10:11]
	s_cbranch_vccnz .LBB111_317
; %bb.316:
	v_mov_b32_e32 v2, s81
	v_mov_b32_e32 v3, 0
	global_store_dwordx2 v[8:9], v[2:3], off
.LBB111_317:
	s_mov_b64 s[10:11], 0
.LBB111_318:
	s_andn2_b64 vcc, exec, s[10:11]
	s_cbranch_vccnz .LBB111_320
; %bb.319:
	global_store_dword v[8:9], v11, off
.LBB111_320:
	s_mov_b64 s[10:11], 0
.LBB111_321:
	s_andn2_b64 vcc, exec, s[10:11]
	s_cbranch_vccnz .LBB111_330
; %bb.322:
	s_cmp_lt_i32 s12, 6
	s_mov_b64 s[10:11], -1
	s_cbranch_scc1 .LBB111_328
; %bb.323:
	s_cmp_gt_i32 s12, 6
	s_cbranch_scc0 .LBB111_325
; %bb.324:
	s_mov_b64 s[10:11], 0
	global_store_dwordx2 v[8:9], v[0:1], off
.LBB111_325:
	s_andn2_b64 vcc, exec, s[10:11]
	s_cbranch_vccnz .LBB111_327
; %bb.326:
	v_mov_b32_e32 v2, s81
	global_store_dword v[8:9], v2, off
.LBB111_327:
	s_mov_b64 s[10:11], 0
.LBB111_328:
	s_andn2_b64 vcc, exec, s[10:11]
	s_cbranch_vccnz .LBB111_330
; %bb.329:
	global_store_short v[8:9], v11, off
.LBB111_330:
	s_mov_b64 s[10:11], 0
.LBB111_331:
	s_andn2_b64 vcc, exec, s[10:11]
	s_cbranch_vccnz .LBB111_347
; %bb.332:
	s_cmp_lt_i32 s12, 2
	s_mov_b64 s[10:11], -1
	s_cbranch_scc1 .LBB111_342
; %bb.333:
	s_cmp_lt_i32 s12, 3
	s_cbranch_scc1 .LBB111_339
; %bb.334:
	s_cmp_gt_i32 s12, 3
	s_cbranch_scc0 .LBB111_336
; %bb.335:
	s_mov_b64 s[10:11], 0
	global_store_dwordx2 v[8:9], v[4:5], off
.LBB111_336:
	s_andn2_b64 vcc, exec, s[10:11]
	s_cbranch_vccnz .LBB111_338
; %bb.337:
	global_store_dword v[8:9], v10, off
.LBB111_338:
	s_mov_b64 s[10:11], 0
.LBB111_339:
	s_andn2_b64 vcc, exec, s[10:11]
	s_cbranch_vccnz .LBB111_341
; %bb.340:
	global_store_short v[8:9], v10, off
.LBB111_341:
	s_mov_b64 s[10:11], 0
.LBB111_342:
	s_andn2_b64 vcc, exec, s[10:11]
	s_cbranch_vccnz .LBB111_347
; %bb.343:
	s_cmp_gt_i32 s12, 0
	s_mov_b64 s[10:11], -1
	s_cbranch_scc0 .LBB111_345
; %bb.344:
	s_mov_b64 s[10:11], 0
	global_store_byte v[8:9], v10, off
.LBB111_345:
	s_andn2_b64 vcc, exec, s[10:11]
	s_cbranch_vccnz .LBB111_347
; %bb.346:
	global_store_byte v[8:9], v4, off
.LBB111_347:
	s_mov_b64 s[10:11], -1
.LBB111_348:
	s_andn2_b64 vcc, exec, s[10:11]
	s_cbranch_vccnz .LBB111_350
; %bb.349:
	v_add_u32_e32 v12, 0x80, v12
	s_mov_b64 s[10:11], -1
	s_branch .LBB111_351
.LBB111_350:
	s_mov_b64 s[10:11], 0
                                        ; implicit-def: $vgpr12
.LBB111_351:
	s_andn2_b64 s[12:13], s[70:71], exec
	s_and_b64 s[8:9], s[8:9], exec
	s_or_b64 s[76:77], s[12:13], s[8:9]
	s_orn2_b64 s[10:11], s[10:11], exec
.LBB111_352:
	s_or_b64 exec, exec, s[74:75]
	s_mov_b64 s[8:9], 0
	s_mov_b64 s[14:15], 0
                                        ; implicit-def: $sgpr20
                                        ; implicit-def: $vgpr8_vgpr9
	s_and_saveexec_b64 s[74:75], s[10:11]
	s_cbranch_execz .LBB111_425
; %bb.353:
	v_writelane_b32 v20, s46, 0
	v_cmp_gt_i32_e32 vcc, s60, v12
	s_mov_b64 s[10:11], 0
	s_mov_b64 s[12:13], s[76:77]
	v_writelane_b32 v20, s47, 1
                                        ; implicit-def: $sgpr20
                                        ; implicit-def: $vgpr8_vgpr9
	s_and_saveexec_b64 s[46:47], vcc
	s_cbranch_execz .LBB111_424
; %bb.354:
	s_andn2_b64 vcc, exec, s[30:31]
	s_cbranch_vccnz .LBB111_360
; %bb.355:
	s_andn2_b64 vcc, exec, s[64:65]
	s_cbranch_vccnz .LBB111_361
; %bb.356:
	s_add_i32 s61, s61, 1
	s_cmp_eq_u32 s80, 2
	s_cbranch_scc1 .LBB111_362
; %bb.357:
	s_mov_b64 vcc, s[48:49]
	s_mov_b64 s[48:49], s[40:41]
	s_mov_b32 s0, s85
	s_mov_b64 s[84:85], s[36:37]
	s_mov_b64 s[36:37], s[52:53]
	;; [unrolled: 1-line block ×4, first 2 shown]
	s_mov_b32 s44, s90
	s_mov_b32 s90, s92
	;; [unrolled: 1-line block ×5, first 2 shown]
	s_mov_b64 s[88:89], s[38:39]
	s_mov_b64 s[40:41], s[26:27]
	;; [unrolled: 1-line block ×3, first 2 shown]
	s_waitcnt lgkmcnt(0)
	s_mov_b64 s[42:43], s[22:23]
	s_and_b32 s56, s61, 28
	s_mov_b32 s57, 0
	v_mov_b32_e32 v2, 0
	s_mov_b64 s[64:65], s[28:29]
	v_mov_b32_e32 v3, v12
.LBB111_358:                            ; =>This Inner Loop Header: Depth=1
	s_load_dwordx8 s[8:15], s[64:65], 0x4
	s_load_dwordx4 s[20:23], s[64:65], 0x24
	s_load_dwordx4 s[24:27], s[62:63], 0x0
	s_add_u32 s64, s64, 48
	s_addc_u32 s65, s65, 0
	s_waitcnt lgkmcnt(0)
	v_mul_hi_u32 v8, s9, v3
	s_add_i32 s57, s57, 4
	s_add_u32 s62, s62, 16
	s_addc_u32 s63, s63, 0
	v_add_u32_e32 v8, v3, v8
	v_lshrrev_b32_e32 v8, s10, v8
	v_mul_lo_u32 v9, v8, s8
	v_mul_hi_u32 v16, s12, v8
	s_cmp_eq_u32 s56, s57
	v_sub_u32_e32 v3, v3, v9
	v_add_u32_e32 v9, v8, v16
	v_lshrrev_b32_e32 v9, s13, v9
	v_mul_lo_u32 v16, v3, s24
	v_mul_hi_u32 v3, s15, v9
	v_mul_lo_u32 v18, v9, s11
	v_add_u32_e32 v3, v9, v3
	v_lshrrev_b32_e32 v17, s20, v3
	v_mul_hi_u32 v3, s22, v17
	v_sub_u32_e32 v8, v8, v18
	v_mul_lo_u32 v18, v17, s14
	v_mul_lo_u32 v8, v8, s25
	v_add_u32_e32 v3, v17, v3
	v_lshrrev_b32_e32 v3, s23, v3
	v_mul_lo_u32 v19, v3, s21
	v_sub_u32_e32 v9, v9, v18
	v_mul_lo_u32 v9, v9, s26
	v_add3_u32 v2, v16, v2, v8
	v_sub_u32_e32 v17, v17, v19
	v_mul_lo_u32 v17, v17, s27
	v_add3_u32 v2, v9, v2, v17
	s_cbranch_scc0 .LBB111_358
; %bb.359:
	s_mov_b64 s[22:23], s[42:43]
	s_mov_b64 s[24:25], s[38:39]
	;; [unrolled: 1-line block ×4, first 2 shown]
	s_mov_b32 s88, s60
	s_mov_b32 s89, s87
	;; [unrolled: 1-line block ×5, first 2 shown]
	s_mov_b64 s[44:45], s[6:7]
	s_mov_b64 s[6:7], s[52:53]
	;; [unrolled: 1-line block ×4, first 2 shown]
	s_mov_b32 s85, s0
	s_mov_b64 s[40:41], s[48:49]
	s_mov_b64 s[48:49], vcc
	s_branch .LBB111_363
.LBB111_360:
	s_mov_b64 s[8:9], -1
                                        ; implicit-def: $vgpr2
	s_branch .LBB111_367
.LBB111_361:
	v_mov_b32_e32 v2, 0
	s_branch .LBB111_366
.LBB111_362:
	v_mov_b32_e32 v2, 0
	s_mov_b32 s56, 0
	v_mov_b32_e32 v3, v12
.LBB111_363:
	s_and_b32 s12, s61, 3
	s_cmp_eq_u32 s12, 0
	s_cbranch_scc1 .LBB111_366
; %bb.364:
	s_lshl_b32 s8, s56, 2
	s_add_u32 s8, s28, s8
	s_addc_u32 s9, s29, 0
	s_add_u32 s8, s8, 0xc4
	s_addc_u32 s9, s9, 0
	s_mul_i32 s10, s56, 12
	s_add_u32 s10, s28, s10
	s_addc_u32 s11, s29, 0
.LBB111_365:                            ; =>This Inner Loop Header: Depth=1
	s_load_dwordx2 s[14:15], s[10:11], 0x4
	s_load_dword s13, s[10:11], 0xc
	s_add_u32 s10, s10, 12
	s_addc_u32 s11, s11, 0
	s_waitcnt lgkmcnt(0)
	v_mul_hi_u32 v8, s15, v3
	s_load_dword s15, s[8:9], 0x0
	s_add_u32 s8, s8, 4
	s_addc_u32 s9, s9, 0
	v_add_u32_e32 v8, v3, v8
	v_lshrrev_b32_e32 v8, s13, v8
	v_mul_lo_u32 v9, v8, s14
	s_add_i32 s12, s12, -1
	s_cmp_lg_u32 s12, 0
	v_sub_u32_e32 v3, v3, v9
	s_waitcnt lgkmcnt(0)
	v_mad_u64_u32 v[2:3], s[14:15], v3, s15, v[2:3]
	v_mov_b32_e32 v3, v8
	s_cbranch_scc1 .LBB111_365
.LBB111_366:
	s_mov_b64 s[8:9], 0
.LBB111_367:
	s_andn2_b64 vcc, exec, s[8:9]
	s_cbranch_vccnz .LBB111_370
; %bb.368:
	s_waitcnt lgkmcnt(0)
	v_mul_hi_u32 v2, s17, v12
	s_andn2_b64 vcc, exec, s[58:59]
	v_add_u32_e32 v2, v12, v2
	v_lshrrev_b32_e32 v3, s18, v2
	v_mul_lo_u32 v2, v3, s16
	v_sub_u32_e32 v2, v12, v2
	v_mul_lo_u32 v2, v2, s78
	s_cbranch_vccnz .LBB111_370
; %bb.369:
	v_mul_hi_u32 v8, s22, v3
	v_add_u32_e32 v8, v3, v8
	v_lshrrev_b32_e32 v8, s23, v8
	v_mul_lo_u32 v8, v8, s19
	v_sub_u32_e32 v3, v3, v8
	v_mad_u64_u32 v[2:3], s[8:9], v3, s79, v[2:3]
.LBB111_370:
	v_mov_b32_e32 v3, s55
	s_and_b32 s20, s95, 0xff
	v_add_co_u32_e32 v8, vcc, s54, v2
	s_cmp_lt_i32 s20, 11
	v_addc_co_u32_e32 v9, vcc, 0, v3, vcc
	s_cbranch_scc1 .LBB111_421
; %bb.371:
	s_and_b32 s12, 0xffff, s20
	s_mov_b64 s[10:11], -1
	s_cmp_gt_i32 s12, 25
	s_mov_b64 s[8:9], s[76:77]
	s_cbranch_scc0 .LBB111_400
; %bb.372:
	s_cmp_gt_i32 s12, 28
	s_mov_b64 s[8:9], s[76:77]
	s_cbranch_scc0 .LBB111_386
; %bb.373:
	;; [unrolled: 4-line block ×4, first 2 shown]
	s_cmp_eq_u32 s12, 46
	s_mov_b64 s[8:9], -1
	s_cbranch_scc0 .LBB111_377
; %bb.376:
	v_mov_b32_e32 v2, s94
	global_store_dword v[8:9], v2, off
	s_mov_b64 s[8:9], 0
.LBB111_377:
	s_mov_b64 s[10:11], 0
.LBB111_378:
	s_and_b64 vcc, exec, s[10:11]
	s_cbranch_vccz .LBB111_381
; %bb.379:
	s_cmp_eq_u32 s12, 44
	s_mov_b64 s[8:9], -1
	s_cbranch_scc0 .LBB111_381
; %bb.380:
	v_mov_b32_e32 v2, 0xffff
	v_cndmask_b32_e64 v2, v15, v2, s[40:41]
	global_store_byte v[8:9], v2, off
	s_mov_b64 s[8:9], 0
.LBB111_381:
	s_mov_b64 s[10:11], 0
.LBB111_382:
	s_and_b64 vcc, exec, s[10:11]
	s_cbranch_vccz .LBB111_385
; %bb.383:
	s_cmp_eq_u32 s12, 29
	s_mov_b64 s[8:9], -1
	s_cbranch_scc0 .LBB111_385
; %bb.384:
	global_store_dwordx2 v[8:9], v[6:7], off
	s_mov_b64 s[8:9], 0
.LBB111_385:
	s_mov_b64 s[10:11], 0
.LBB111_386:
	s_and_b64 vcc, exec, s[10:11]
	s_cbranch_vccz .LBB111_399
; %bb.387:
	s_mov_b32 s10, s1
	s_cmp_lt_i32 s12, 27
	s_mov_b64 s[0:1], -1
	s_cbranch_scc1 .LBB111_393
; %bb.388:
	s_cmp_gt_i32 s12, 27
	s_cbranch_scc0 .LBB111_390
; %bb.389:
	s_mov_b64 s[0:1], 0
	global_store_dword v[8:9], v14, off
.LBB111_390:
	s_andn2_b64 vcc, exec, s[0:1]
	s_cbranch_vccnz .LBB111_392
; %bb.391:
	global_store_short v[8:9], v14, off
.LBB111_392:
	s_mov_b64 s[0:1], 0
.LBB111_393:
	s_andn2_b64 vcc, exec, s[0:1]
	s_mov_b32 s1, s10
	s_cbranch_vccnz .LBB111_399
; %bb.394:
	s_andn2_b64 vcc, exec, s[48:49]
	s_movk_i32 s0, 0x80
	s_cbranch_vccnz .LBB111_398
; %bb.395:
	s_or_b64 s[0:1], s[50:51], s[52:53]
	s_andn2_b64 vcc, exec, s[0:1]
	s_mov_b32 s0, 0
	s_cbranch_vccnz .LBB111_397
; %bb.396:
	s_and_b64 s[0:1], s[50:51], exec
	s_cselect_b32 s0, s92, s93
	s_or_b32 s0, s0, s83
.LBB111_397:
	s_mov_b32 s1, s10
.LBB111_398:
	v_mov_b32_e32 v2, s0
	global_store_byte v[8:9], v2, off
.LBB111_399:
	s_mov_b64 s[10:11], 0
.LBB111_400:
	s_mov_b32 s14, s1
	s_mov_b64 s[0:1], 0
	s_and_b64 vcc, exec, s[10:11]
	s_cbranch_vccz .LBB111_422
; %bb.401:
	s_cmp_gt_i32 s12, 22
	s_mov_b64 s[10:11], -1
	s_cbranch_scc0 .LBB111_414
; %bb.402:
	s_cmp_lt_i32 s12, 24
	s_cbranch_scc1 .LBB111_411
; %bb.403:
	s_cmp_gt_i32 s12, 24
	s_cbranch_scc0 .LBB111_408
; %bb.404:
	s_andn2_b64 vcc, exec, s[44:45]
	s_movk_i32 s10, 0x80
	s_cbranch_vccnz .LBB111_407
; %bb.405:
	v_readlane_b32 s10, v20, 0
	v_readlane_b32 s11, v20, 1
	s_or_b64 s[10:11], s[24:25], s[10:11]
	s_andn2_b64 vcc, exec, s[10:11]
	s_mov_b32 s10, 0
	s_cbranch_vccnz .LBB111_407
; %bb.406:
	s_and_b64 s[10:11], s[24:25], exec
	s_cselect_b32 s10, s89, s91
	s_or_b32 s10, s10, s83
.LBB111_407:
	v_mov_b32_e32 v2, s10
	s_mov_b64 s[10:11], 0
	global_store_byte v[8:9], v2, off
.LBB111_408:
	s_and_b64 vcc, exec, s[10:11]
	s_cbranch_vccz .LBB111_410
; %bb.409:
	s_and_b64 s[10:11], s[38:39], exec
	s_cselect_b32 s13, s87, s88
	s_and_b64 s[10:11], s[26:27], exec
	s_cselect_b32 s10, s90, s13
	s_or_b32 s10, s10, s83
	v_mov_b32_e32 v2, s10
	global_store_byte v[8:9], v2, off
.LBB111_410:
	s_mov_b64 s[10:11], 0
.LBB111_411:
	s_andn2_b64 vcc, exec, s[10:11]
	s_cbranch_vccnz .LBB111_413
; %bb.412:
	s_and_b64 s[10:11], s[36:37], exec
	s_cselect_b32 s10, s85, s86
	s_and_b64 s[6:7], s[6:7], exec
	s_cselect_b32 s6, s14, s10
	s_or_b32 s6, s6, s83
	v_mov_b32_e32 v2, s6
	global_store_byte v[8:9], v2, off
.LBB111_413:
	s_mov_b64 s[10:11], 0
.LBB111_414:
	s_andn2_b64 vcc, exec, s[10:11]
	s_mov_b64 s[6:7], 0
	s_cbranch_vccnz .LBB111_423
; %bb.415:
	s_cmp_gt_i32 s12, 14
	s_mov_b64 s[10:11], -1
	s_cbranch_scc0 .LBB111_419
; %bb.416:
	s_cmp_eq_u32 s12, 15
	s_mov_b64 s[8:9], -1
	s_cbranch_scc0 .LBB111_418
; %bb.417:
	v_mov_b32_e32 v2, s82
	global_store_short v[8:9], v2, off
	s_mov_b64 s[8:9], 0
.LBB111_418:
	s_mov_b64 s[10:11], 0
.LBB111_419:
	s_and_b64 vcc, exec, s[10:11]
	s_cbranch_vccz .LBB111_423
; %bb.420:
	s_cmp_lg_u32 s12, 11
	s_cselect_b64 s[10:11], -1, 0
	s_andn2_b64 s[8:9], s[8:9], exec
	s_and_b64 s[10:11], s[10:11], exec
	s_mov_b64 s[6:7], -1
	s_or_b64 s[8:9], s[8:9], s[10:11]
	s_branch .LBB111_423
.LBB111_421:
	s_mov_b64 s[6:7], 0
	s_mov_b64 s[0:1], -1
	s_mov_b64 s[8:9], s[76:77]
	s_branch .LBB111_423
.LBB111_422:
	s_mov_b64 s[6:7], 0
.LBB111_423:
	s_and_b64 s[14:15], s[0:1], exec
	s_and_b64 s[10:11], s[6:7], exec
	s_andn2_b64 s[0:1], s[76:77], exec
	s_and_b64 s[6:7], s[8:9], exec
	s_or_b64 s[12:13], s[0:1], s[6:7]
.LBB111_424:
	s_or_b64 exec, exec, s[46:47]
	s_andn2_b64 s[0:1], s[76:77], exec
	s_and_b64 s[6:7], s[12:13], exec
	s_and_b64 s[14:15], s[14:15], exec
	;; [unrolled: 1-line block ×3, first 2 shown]
	s_or_b64 s[76:77], s[0:1], s[6:7]
.LBB111_425:
	s_or_b64 exec, exec, s[74:75]
	s_andn2_b64 s[0:1], s[70:71], exec
	s_and_b64 s[6:7], s[76:77], exec
	s_and_b64 s[12:13], s[14:15], exec
	;; [unrolled: 1-line block ×3, first 2 shown]
	s_or_b64 s[70:71], s[0:1], s[6:7]
.LBB111_426:
	s_or_b64 exec, exec, s[72:73]
	s_andn2_b64 s[0:1], s[66:67], exec
	s_and_b64 s[6:7], s[70:71], exec
	s_and_b64 s[8:9], s[12:13], exec
	;; [unrolled: 1-line block ×3, first 2 shown]
	s_or_b64 s[66:67], s[0:1], s[6:7]
	s_or_b64 exec, exec, s[68:69]
	s_mov_b64 s[0:1], 0
	s_and_saveexec_b64 s[6:7], s[66:67]
	s_cbranch_execz .LBB111_124
.LBB111_427:
	s_mov_b64 s[0:1], exec
	s_andn2_b64 s[72:73], s[72:73], exec
	s_trap 2
	s_or_b64 exec, exec, s[6:7]
	s_and_saveexec_b64 s[6:7], s[72:73]
	s_xor_b64 s[6:7], exec, s[6:7]
	s_cbranch_execnz .LBB111_125
.LBB111_428:
	s_or_b64 exec, exec, s[6:7]
	s_and_saveexec_b64 s[6:7], s[8:9]
	s_xor_b64 s[6:7], exec, s[6:7]
	s_cbranch_execz .LBB111_466
.LBB111_429:
	s_sext_i32_i16 s10, s20
	s_cmp_lt_i32 s10, 5
	s_mov_b64 s[8:9], -1
	s_cbranch_scc1 .LBB111_450
; %bb.430:
	s_cmp_lt_i32 s10, 8
	s_cbranch_scc1 .LBB111_440
; %bb.431:
	s_cmp_lt_i32 s10, 9
	s_cbranch_scc1 .LBB111_437
; %bb.432:
	s_cmp_gt_i32 s10, 9
	s_cbranch_scc0 .LBB111_434
; %bb.433:
	v_mov_b32_e32 v2, 0
	v_mov_b32_e32 v3, v2
	s_mov_b64 s[8:9], 0
	global_store_dwordx4 v[8:9], v[0:3], off
.LBB111_434:
	s_andn2_b64 vcc, exec, s[8:9]
	s_cbranch_vccnz .LBB111_436
; %bb.435:
	v_mov_b32_e32 v2, s81
	v_mov_b32_e32 v3, 0
	global_store_dwordx2 v[8:9], v[2:3], off
.LBB111_436:
	s_mov_b64 s[8:9], 0
.LBB111_437:
	s_andn2_b64 vcc, exec, s[8:9]
	s_cbranch_vccnz .LBB111_439
; %bb.438:
	global_store_dword v[8:9], v11, off
.LBB111_439:
	s_mov_b64 s[8:9], 0
.LBB111_440:
	s_andn2_b64 vcc, exec, s[8:9]
	s_cbranch_vccnz .LBB111_449
; %bb.441:
	s_sext_i32_i16 s10, s20
	s_cmp_lt_i32 s10, 6
	s_mov_b64 s[8:9], -1
	s_cbranch_scc1 .LBB111_447
; %bb.442:
	s_cmp_gt_i32 s10, 6
	s_cbranch_scc0 .LBB111_444
; %bb.443:
	s_mov_b64 s[8:9], 0
	global_store_dwordx2 v[8:9], v[0:1], off
.LBB111_444:
	s_andn2_b64 vcc, exec, s[8:9]
	s_cbranch_vccnz .LBB111_446
; %bb.445:
	v_mov_b32_e32 v0, s81
	global_store_dword v[8:9], v0, off
.LBB111_446:
	s_mov_b64 s[8:9], 0
.LBB111_447:
	s_andn2_b64 vcc, exec, s[8:9]
	s_cbranch_vccnz .LBB111_449
; %bb.448:
	global_store_short v[8:9], v11, off
.LBB111_449:
	s_mov_b64 s[8:9], 0
.LBB111_450:
	s_andn2_b64 vcc, exec, s[8:9]
	s_cbranch_vccnz .LBB111_466
; %bb.451:
	s_sext_i32_i16 s10, s20
	s_cmp_lt_i32 s10, 2
	s_mov_b64 s[8:9], -1
	s_cbranch_scc1 .LBB111_461
; %bb.452:
	s_cmp_lt_i32 s10, 3
	s_cbranch_scc1 .LBB111_458
; %bb.453:
	s_cmp_gt_i32 s10, 3
	s_cbranch_scc0 .LBB111_455
; %bb.454:
	s_mov_b64 s[8:9], 0
	global_store_dwordx2 v[8:9], v[4:5], off
.LBB111_455:
	s_andn2_b64 vcc, exec, s[8:9]
	s_cbranch_vccnz .LBB111_457
; %bb.456:
	global_store_dword v[8:9], v10, off
.LBB111_457:
	s_mov_b64 s[8:9], 0
.LBB111_458:
	s_andn2_b64 vcc, exec, s[8:9]
	s_cbranch_vccnz .LBB111_460
; %bb.459:
	global_store_short v[8:9], v10, off
.LBB111_460:
	s_mov_b64 s[8:9], 0
.LBB111_461:
	s_andn2_b64 vcc, exec, s[8:9]
	s_cbranch_vccnz .LBB111_466
; %bb.462:
	s_sext_i32_i16 s8, s20
	s_cmp_gt_i32 s8, 0
	s_mov_b64 s[8:9], -1
	s_cbranch_scc0 .LBB111_464
; %bb.463:
	s_mov_b64 s[8:9], 0
	global_store_byte v[8:9], v10, off
.LBB111_464:
	s_andn2_b64 vcc, exec, s[8:9]
	s_cbranch_vccnz .LBB111_466
; %bb.465:
	global_store_byte v[8:9], v4, off
.LBB111_466:
	s_or_b64 exec, exec, s[6:7]
	s_and_b64 s[6:7], s[0:1], exec
                                        ; implicit-def: $vgpr8
                                        ; implicit-def: $vgpr12
.LBB111_467:
	s_or_saveexec_b64 s[24:25], s[34:35]
	s_mov_b64 s[8:9], 0
                                        ; implicit-def: $sgpr15
                                        ; implicit-def: $vgpr0_vgpr1
                                        ; implicit-def: $sgpr14
	s_xor_b64 exec, exec, s[24:25]
	s_cbranch_execz .LBB111_950
; %bb.468:
	v_cndmask_b32_e64 v0, 0, 1, s[30:31]
	v_cmp_ne_u32_e64 s[0:1], 1, v0
	s_andn2_b64 vcc, exec, s[30:31]
	s_cbranch_vccnz .LBB111_474
; %bb.469:
	s_cmp_lg_u32 s33, 0
	s_mov_b32 s30, 0
	s_cbranch_scc0 .LBB111_475
; %bb.470:
	s_min_u32 s31, s80, 15
	s_add_i32 s31, s31, 1
	s_cmp_eq_u32 s80, 2
	s_cbranch_scc1 .LBB111_476
; %bb.471:
	s_and_b32 s30, s31, 28
	s_add_u32 s2, s28, 0xc4
	s_addc_u32 s3, s29, 0
	s_mov_b32 s34, 0
	v_mov_b32_e32 v6, 0
	s_mov_b64 s[26:27], s[28:29]
	v_mov_b32_e32 v0, v12
.LBB111_472:                            ; =>This Inner Loop Header: Depth=1
	s_load_dwordx8 s[8:15], s[26:27], 0x4
	s_waitcnt lgkmcnt(0)
	s_load_dwordx4 s[16:19], s[26:27], 0x24
	s_load_dwordx4 s[20:23], s[2:3], 0x0
	s_add_u32 s26, s26, 48
	s_addc_u32 s27, s27, 0
	v_mul_hi_u32 v1, s9, v0
	s_add_i32 s34, s34, 4
	s_add_u32 s2, s2, 16
	s_addc_u32 s3, s3, 0
	v_add_u32_e32 v1, v0, v1
	v_lshrrev_b32_e32 v1, s10, v1
	v_mul_lo_u32 v2, v1, s8
	v_mul_hi_u32 v3, s12, v1
	s_cmp_lg_u32 s30, s34
	v_sub_u32_e32 v0, v0, v2
	v_add_u32_e32 v2, v1, v3
	v_lshrrev_b32_e32 v2, s13, v2
	s_waitcnt lgkmcnt(0)
	v_mul_lo_u32 v3, v0, s20
	v_mul_hi_u32 v0, s15, v2
	v_mul_lo_u32 v5, v2, s11
	v_add_u32_e32 v0, v2, v0
	v_lshrrev_b32_e32 v4, s16, v0
	v_mul_hi_u32 v0, s18, v4
	v_sub_u32_e32 v1, v1, v5
	v_mul_lo_u32 v5, v4, s14
	v_mul_lo_u32 v1, v1, s21
	v_add_u32_e32 v0, v4, v0
	v_lshrrev_b32_e32 v0, s19, v0
	v_mul_lo_u32 v7, v0, s17
	v_sub_u32_e32 v2, v2, v5
	v_mul_lo_u32 v2, v2, s22
	v_add3_u32 v1, v3, v6, v1
	v_sub_u32_e32 v4, v4, v7
	v_mul_lo_u32 v4, v4, s23
	v_add3_u32 v6, v2, v1, v4
	s_cbranch_scc1 .LBB111_472
; %bb.473:
	s_and_b32 s10, s31, 3
	s_cmp_eq_u32 s10, 0
	s_cbranch_scc0 .LBB111_477
	s_branch .LBB111_479
.LBB111_474:
                                        ; implicit-def: $vgpr6
	s_branch .LBB111_480
.LBB111_475:
	v_mov_b32_e32 v6, 0
	s_branch .LBB111_479
.LBB111_476:
	v_mov_b32_e32 v6, 0
	v_mov_b32_e32 v0, v12
	s_and_b32 s10, s31, 3
	s_cmp_eq_u32 s10, 0
	s_cbranch_scc1 .LBB111_479
.LBB111_477:
	s_lshl_b32 s2, s30, 2
	s_add_u32 s2, s28, s2
	s_addc_u32 s3, s29, 0
	s_add_u32 s2, s2, 0xc4
	s_addc_u32 s3, s3, 0
	s_mul_i32 s8, s30, 12
	s_add_u32 s8, s28, s8
	s_addc_u32 s9, s29, 0
.LBB111_478:                            ; =>This Inner Loop Header: Depth=1
	s_load_dwordx2 s[12:13], s[8:9], 0x4
	s_load_dword s11, s[8:9], 0xc
	s_add_u32 s8, s8, 12
	s_addc_u32 s9, s9, 0
	s_waitcnt lgkmcnt(0)
	v_mul_hi_u32 v1, s13, v0
	s_load_dword s13, s[2:3], 0x0
	s_add_u32 s2, s2, 4
	s_addc_u32 s3, s3, 0
	v_add_u32_e32 v1, v0, v1
	v_lshrrev_b32_e32 v1, s11, v1
	v_mul_lo_u32 v2, v1, s12
	s_add_i32 s10, s10, -1
	s_cmp_lg_u32 s10, 0
	v_sub_u32_e32 v0, v0, v2
	s_waitcnt lgkmcnt(0)
	v_mad_u64_u32 v[6:7], s[12:13], v0, s13, v[6:7]
	v_mov_b32_e32 v0, v1
	s_cbranch_scc1 .LBB111_478
.LBB111_479:
	s_cbranch_execnz .LBB111_482
.LBB111_480:
	s_load_dwordx4 s[8:11], s[28:29], 0x4
	s_load_dword s2, s[28:29], 0xc4
	s_cmp_lt_u32 s33, 2
	s_waitcnt lgkmcnt(0)
	v_mul_hi_u32 v0, s9, v12
	v_add_u32_e32 v0, v12, v0
	v_lshrrev_b32_e32 v0, s10, v0
	v_mul_lo_u32 v1, v0, s8
	v_sub_u32_e32 v1, v12, v1
	v_mul_lo_u32 v6, v1, s2
	s_cbranch_scc1 .LBB111_482
; %bb.481:
	s_load_dwordx4 s[8:11], s[28:29], 0x10
	s_load_dword s2, s[28:29], 0xc8
	s_waitcnt lgkmcnt(0)
	v_mul_hi_u32 v1, s9, v0
	v_add_u32_e32 v1, v0, v1
	v_lshrrev_b32_e32 v1, s10, v1
	v_mul_lo_u32 v1, v1, s8
	v_sub_u32_e32 v0, v0, v1
	v_mad_u64_u32 v[6:7], s[2:3], v0, s2, v[6:7]
.LBB111_482:
	s_and_b64 vcc, exec, s[0:1]
	v_add_u32_e32 v0, 0x80, v12
	s_cbranch_vccnz .LBB111_488
; %bb.483:
	s_cmp_lg_u32 s33, 0
	s_mov_b32 s30, 0
	s_cbranch_scc0 .LBB111_489
; %bb.484:
	s_min_u32 s31, s80, 15
	s_add_i32 s31, s31, 1
	s_cmp_eq_u32 s80, 2
	s_cbranch_scc1 .LBB111_490
; %bb.485:
	s_and_b32 s30, s31, 28
	s_add_u32 s2, s28, 0xc4
	s_addc_u32 s3, s29, 0
	s_mov_b32 s34, 0
	v_mov_b32_e32 v4, 0
	s_mov_b64 s[26:27], s[28:29]
	v_mov_b32_e32 v1, v0
.LBB111_486:                            ; =>This Inner Loop Header: Depth=1
	s_load_dwordx8 s[8:15], s[26:27], 0x4
	s_waitcnt lgkmcnt(0)
	s_load_dwordx4 s[16:19], s[26:27], 0x24
	s_load_dwordx4 s[20:23], s[2:3], 0x0
	s_add_u32 s26, s26, 48
	s_addc_u32 s27, s27, 0
	v_mul_hi_u32 v2, s9, v1
	s_add_i32 s34, s34, 4
	s_add_u32 s2, s2, 16
	s_addc_u32 s3, s3, 0
	v_add_u32_e32 v2, v1, v2
	v_lshrrev_b32_e32 v2, s10, v2
	v_mul_lo_u32 v3, v2, s8
	v_mul_hi_u32 v5, s12, v2
	s_cmp_lg_u32 s30, s34
	v_sub_u32_e32 v1, v1, v3
	v_add_u32_e32 v3, v2, v5
	v_lshrrev_b32_e32 v3, s13, v3
	s_waitcnt lgkmcnt(0)
	v_mul_lo_u32 v5, v1, s20
	v_mul_hi_u32 v1, s15, v3
	v_mul_lo_u32 v9, v3, s11
	v_add_u32_e32 v1, v3, v1
	v_lshrrev_b32_e32 v7, s16, v1
	v_mul_hi_u32 v1, s18, v7
	v_sub_u32_e32 v2, v2, v9
	v_mul_lo_u32 v9, v7, s14
	v_mul_lo_u32 v2, v2, s21
	v_add_u32_e32 v1, v7, v1
	v_lshrrev_b32_e32 v1, s19, v1
	v_mul_lo_u32 v10, v1, s17
	v_sub_u32_e32 v3, v3, v9
	v_mul_lo_u32 v3, v3, s22
	v_add3_u32 v2, v5, v4, v2
	v_sub_u32_e32 v7, v7, v10
	v_mul_lo_u32 v7, v7, s23
	v_add3_u32 v4, v3, v2, v7
	s_cbranch_scc1 .LBB111_486
; %bb.487:
	s_and_b32 s10, s31, 3
	s_cmp_eq_u32 s10, 0
	s_cbranch_scc0 .LBB111_491
	s_branch .LBB111_493
.LBB111_488:
                                        ; implicit-def: $vgpr4
	s_branch .LBB111_494
.LBB111_489:
	v_mov_b32_e32 v4, 0
	s_branch .LBB111_493
.LBB111_490:
	v_mov_b32_e32 v4, 0
	v_mov_b32_e32 v1, v0
	s_and_b32 s10, s31, 3
	s_cmp_eq_u32 s10, 0
	s_cbranch_scc1 .LBB111_493
.LBB111_491:
	s_lshl_b32 s2, s30, 2
	s_add_u32 s2, s28, s2
	s_addc_u32 s3, s29, 0
	s_add_u32 s2, s2, 0xc4
	s_addc_u32 s3, s3, 0
	s_mul_i32 s8, s30, 12
	s_add_u32 s8, s28, s8
	s_addc_u32 s9, s29, 0
.LBB111_492:                            ; =>This Inner Loop Header: Depth=1
	s_load_dwordx2 s[12:13], s[8:9], 0x4
	s_load_dword s11, s[8:9], 0xc
	s_add_u32 s8, s8, 12
	s_addc_u32 s9, s9, 0
	s_waitcnt lgkmcnt(0)
	v_mul_hi_u32 v2, s13, v1
	s_load_dword s13, s[2:3], 0x0
	s_add_u32 s2, s2, 4
	s_addc_u32 s3, s3, 0
	v_add_u32_e32 v2, v1, v2
	v_lshrrev_b32_e32 v2, s11, v2
	v_mul_lo_u32 v3, v2, s12
	s_add_i32 s10, s10, -1
	s_cmp_lg_u32 s10, 0
	v_sub_u32_e32 v1, v1, v3
	s_waitcnt lgkmcnt(0)
	v_mad_u64_u32 v[4:5], s[12:13], v1, s13, v[4:5]
	v_mov_b32_e32 v1, v2
	s_cbranch_scc1 .LBB111_492
.LBB111_493:
	s_cbranch_execnz .LBB111_496
.LBB111_494:
	s_load_dwordx4 s[8:11], s[28:29], 0x4
	s_load_dword s2, s[28:29], 0xc4
	s_cmp_lt_u32 s33, 2
	s_waitcnt lgkmcnt(0)
	v_mul_hi_u32 v1, s9, v0
	v_add_u32_e32 v1, v0, v1
	v_lshrrev_b32_e32 v1, s10, v1
	v_mul_lo_u32 v2, v1, s8
	v_sub_u32_e32 v0, v0, v2
	v_mul_lo_u32 v4, v0, s2
	s_cbranch_scc1 .LBB111_496
; %bb.495:
	s_load_dwordx4 s[8:11], s[28:29], 0x10
	s_load_dword s2, s[28:29], 0xc8
	s_waitcnt lgkmcnt(0)
	v_mul_hi_u32 v0, s9, v1
	v_add_u32_e32 v0, v1, v0
	v_lshrrev_b32_e32 v0, s10, v0
	v_mul_lo_u32 v0, v0, s8
	v_sub_u32_e32 v0, v1, v0
	v_mad_u64_u32 v[4:5], s[2:3], v0, s2, v[4:5]
.LBB111_496:
	s_and_b64 vcc, exec, s[0:1]
	v_add_u32_e32 v0, 0x100, v12
	s_cbranch_vccnz .LBB111_502
; %bb.497:
	s_cmp_lg_u32 s33, 0
	s_mov_b32 s30, 0
	s_cbranch_scc0 .LBB111_503
; %bb.498:
	s_min_u32 s31, s80, 15
	s_add_i32 s31, s31, 1
	s_cmp_eq_u32 s80, 2
	s_cbranch_scc1 .LBB111_504
; %bb.499:
	s_and_b32 s30, s31, 28
	s_add_u32 s2, s28, 0xc4
	s_addc_u32 s3, s29, 0
	s_mov_b32 s34, 0
	v_mov_b32_e32 v2, 0
	s_mov_b64 s[26:27], s[28:29]
	v_mov_b32_e32 v1, v0
.LBB111_500:                            ; =>This Inner Loop Header: Depth=1
	s_load_dwordx8 s[8:15], s[26:27], 0x4
	s_waitcnt lgkmcnt(0)
	s_load_dwordx4 s[16:19], s[26:27], 0x24
	s_load_dwordx4 s[20:23], s[2:3], 0x0
	s_add_u32 s26, s26, 48
	s_addc_u32 s27, s27, 0
	v_mul_hi_u32 v3, s9, v1
	s_add_i32 s34, s34, 4
	s_add_u32 s2, s2, 16
	s_addc_u32 s3, s3, 0
	v_add_u32_e32 v3, v1, v3
	v_lshrrev_b32_e32 v3, s10, v3
	v_mul_lo_u32 v5, v3, s8
	v_mul_hi_u32 v7, s12, v3
	s_cmp_lg_u32 s30, s34
	v_sub_u32_e32 v1, v1, v5
	v_add_u32_e32 v5, v3, v7
	v_lshrrev_b32_e32 v5, s13, v5
	s_waitcnt lgkmcnt(0)
	v_mul_lo_u32 v7, v1, s20
	v_mul_hi_u32 v1, s15, v5
	v_mul_lo_u32 v10, v5, s11
	v_add_u32_e32 v1, v5, v1
	v_lshrrev_b32_e32 v9, s16, v1
	v_mul_hi_u32 v1, s18, v9
	v_sub_u32_e32 v3, v3, v10
	v_mul_lo_u32 v10, v9, s14
	v_mul_lo_u32 v3, v3, s21
	v_add_u32_e32 v1, v9, v1
	v_lshrrev_b32_e32 v1, s19, v1
	v_mul_lo_u32 v11, v1, s17
	v_sub_u32_e32 v5, v5, v10
	v_mul_lo_u32 v5, v5, s22
	v_add3_u32 v2, v7, v2, v3
	v_sub_u32_e32 v9, v9, v11
	v_mul_lo_u32 v9, v9, s23
	v_add3_u32 v2, v5, v2, v9
	s_cbranch_scc1 .LBB111_500
; %bb.501:
	s_and_b32 s10, s31, 3
	s_cmp_eq_u32 s10, 0
	s_cbranch_scc0 .LBB111_505
	s_branch .LBB111_507
.LBB111_502:
                                        ; implicit-def: $vgpr2
	s_branch .LBB111_508
.LBB111_503:
	v_mov_b32_e32 v2, 0
	s_branch .LBB111_507
.LBB111_504:
	v_mov_b32_e32 v2, 0
	v_mov_b32_e32 v1, v0
	s_and_b32 s10, s31, 3
	s_cmp_eq_u32 s10, 0
	s_cbranch_scc1 .LBB111_507
.LBB111_505:
	s_lshl_b32 s2, s30, 2
	s_add_u32 s2, s28, s2
	s_addc_u32 s3, s29, 0
	s_add_u32 s2, s2, 0xc4
	s_addc_u32 s3, s3, 0
	s_mul_i32 s8, s30, 12
	s_add_u32 s8, s28, s8
	s_addc_u32 s9, s29, 0
.LBB111_506:                            ; =>This Inner Loop Header: Depth=1
	s_load_dwordx2 s[12:13], s[8:9], 0x4
	s_load_dword s11, s[8:9], 0xc
	s_add_u32 s8, s8, 12
	s_addc_u32 s9, s9, 0
	s_waitcnt lgkmcnt(0)
	v_mul_hi_u32 v3, s13, v1
	s_load_dword s13, s[2:3], 0x0
	s_add_u32 s2, s2, 4
	s_addc_u32 s3, s3, 0
	v_add_u32_e32 v3, v1, v3
	v_lshrrev_b32_e32 v5, s11, v3
	v_mul_lo_u32 v3, v5, s12
	s_add_i32 s10, s10, -1
	s_cmp_lg_u32 s10, 0
	v_sub_u32_e32 v1, v1, v3
	s_waitcnt lgkmcnt(0)
	v_mad_u64_u32 v[2:3], s[12:13], v1, s13, v[2:3]
	v_mov_b32_e32 v1, v5
	s_cbranch_scc1 .LBB111_506
.LBB111_507:
	s_cbranch_execnz .LBB111_510
.LBB111_508:
	s_load_dwordx4 s[8:11], s[28:29], 0x4
	s_load_dword s2, s[28:29], 0xc4
	s_cmp_lt_u32 s33, 2
	s_waitcnt lgkmcnt(0)
	v_mul_hi_u32 v1, s9, v0
	v_add_u32_e32 v1, v0, v1
	v_lshrrev_b32_e32 v1, s10, v1
	v_mul_lo_u32 v2, v1, s8
	v_sub_u32_e32 v0, v0, v2
	v_mul_lo_u32 v2, v0, s2
	s_cbranch_scc1 .LBB111_510
; %bb.509:
	s_load_dwordx4 s[8:11], s[28:29], 0x10
	s_load_dword s2, s[28:29], 0xc8
	s_waitcnt lgkmcnt(0)
	v_mul_hi_u32 v0, s9, v1
	v_add_u32_e32 v0, v1, v0
	v_lshrrev_b32_e32 v0, s10, v0
	v_mul_lo_u32 v0, v0, s8
	v_sub_u32_e32 v0, v1, v0
	v_mad_u64_u32 v[2:3], s[2:3], v0, s2, v[2:3]
.LBB111_510:
	s_and_b64 vcc, exec, s[0:1]
	s_cbranch_vccnz .LBB111_516
; %bb.511:
	s_cmp_lg_u32 s33, 0
	s_mov_b32 s26, 0
	s_cbranch_scc0 .LBB111_517
; %bb.512:
	s_min_u32 s27, s80, 15
	s_add_i32 s27, s27, 1
	s_cmp_eq_u32 s80, 2
	s_cbranch_scc1 .LBB111_518
; %bb.513:
	s_and_b32 s26, s27, 28
	s_add_u32 s20, s28, 0xc4
	s_addc_u32 s21, s29, 0
	s_mov_b32 s30, 0
	v_mov_b32_e32 v0, 0
	s_waitcnt lgkmcnt(0)
	s_mov_b64 s[22:23], s[28:29]
	v_mov_b32_e32 v1, v8
.LBB111_514:                            ; =>This Inner Loop Header: Depth=1
	s_load_dwordx8 s[8:15], s[22:23], 0x4
	s_load_dwordx4 s[0:3], s[22:23], 0x24
	s_load_dwordx4 s[16:19], s[20:21], 0x0
	s_add_u32 s22, s22, 48
	s_addc_u32 s23, s23, 0
	s_waitcnt lgkmcnt(0)
	v_mul_hi_u32 v3, s9, v1
	s_add_i32 s30, s30, 4
	s_add_u32 s20, s20, 16
	s_addc_u32 s21, s21, 0
	v_add_u32_e32 v3, v1, v3
	v_lshrrev_b32_e32 v3, s10, v3
	v_mul_lo_u32 v5, v3, s8
	v_mul_hi_u32 v7, s12, v3
	s_cmp_lg_u32 s26, s30
	v_sub_u32_e32 v1, v1, v5
	v_add_u32_e32 v5, v3, v7
	v_lshrrev_b32_e32 v5, s13, v5
	v_mul_lo_u32 v7, v1, s16
	v_mul_hi_u32 v1, s15, v5
	v_mul_lo_u32 v10, v5, s11
	v_add_u32_e32 v1, v5, v1
	v_lshrrev_b32_e32 v9, s0, v1
	v_mul_hi_u32 v1, s2, v9
	v_sub_u32_e32 v3, v3, v10
	v_mul_lo_u32 v10, v9, s14
	v_mul_lo_u32 v3, v3, s17
	v_add_u32_e32 v1, v9, v1
	v_lshrrev_b32_e32 v1, s3, v1
	v_mul_lo_u32 v11, v1, s1
	v_sub_u32_e32 v5, v5, v10
	v_mul_lo_u32 v5, v5, s18
	v_add3_u32 v0, v7, v0, v3
	v_sub_u32_e32 v9, v9, v11
	v_mul_lo_u32 v9, v9, s19
	v_add3_u32 v0, v5, v0, v9
	s_cbranch_scc1 .LBB111_514
; %bb.515:
	s_and_b32 s8, s27, 3
	s_cmp_eq_u32 s8, 0
	s_cbranch_scc0 .LBB111_519
	s_branch .LBB111_521
.LBB111_516:
                                        ; implicit-def: $vgpr0
	s_branch .LBB111_522
.LBB111_517:
	v_mov_b32_e32 v0, 0
	s_branch .LBB111_521
.LBB111_518:
	v_mov_b32_e32 v0, 0
	v_mov_b32_e32 v1, v8
	s_and_b32 s8, s27, 3
	s_cmp_eq_u32 s8, 0
	s_cbranch_scc1 .LBB111_521
.LBB111_519:
	s_lshl_b32 s0, s26, 2
	s_add_u32 s0, s28, s0
	s_addc_u32 s1, s29, 0
	s_add_u32 s0, s0, 0xc4
	s_addc_u32 s1, s1, 0
	s_mul_i32 s2, s26, 12
	s_add_u32 s2, s28, s2
	s_addc_u32 s3, s29, 0
.LBB111_520:                            ; =>This Inner Loop Header: Depth=1
	s_load_dwordx2 s[10:11], s[2:3], 0x4
	s_load_dword s9, s[2:3], 0xc
	s_add_u32 s2, s2, 12
	s_addc_u32 s3, s3, 0
	s_waitcnt lgkmcnt(0)
	v_mul_hi_u32 v3, s11, v1
	s_load_dword s11, s[0:1], 0x0
	s_add_u32 s0, s0, 4
	s_addc_u32 s1, s1, 0
	v_add_u32_e32 v3, v1, v3
	v_lshrrev_b32_e32 v3, s9, v3
	v_mul_lo_u32 v5, v3, s10
	s_add_i32 s8, s8, -1
	s_cmp_lg_u32 s8, 0
	v_sub_u32_e32 v1, v1, v5
	s_waitcnt lgkmcnt(0)
	v_mad_u64_u32 v[0:1], s[10:11], v1, s11, v[0:1]
	v_mov_b32_e32 v1, v3
	s_cbranch_scc1 .LBB111_520
.LBB111_521:
	s_cbranch_execnz .LBB111_524
.LBB111_522:
	s_load_dwordx4 s[0:3], s[28:29], 0x4
	s_waitcnt lgkmcnt(0)
	s_load_dword s3, s[28:29], 0xc4
	s_cmp_lt_u32 s33, 2
	v_mul_hi_u32 v0, s1, v8
	v_add_u32_e32 v0, v8, v0
	v_lshrrev_b32_e32 v1, s2, v0
	v_mul_lo_u32 v0, v1, s0
	v_sub_u32_e32 v0, v8, v0
	s_waitcnt lgkmcnt(0)
	v_mul_lo_u32 v0, v0, s3
	s_cbranch_scc1 .LBB111_524
; %bb.523:
	s_load_dwordx4 s[0:3], s[28:29], 0x10
	s_waitcnt lgkmcnt(0)
	s_load_dword s3, s[28:29], 0xc8
	v_mul_hi_u32 v3, s1, v1
	v_add_u32_e32 v3, v1, v3
	v_lshrrev_b32_e32 v3, s2, v3
	v_mul_lo_u32 v3, v3, s0
	v_sub_u32_e32 v1, v1, v3
	s_waitcnt lgkmcnt(0)
	v_mad_u64_u32 v[0:1], s[0:1], v1, s3, v[0:1]
.LBB111_524:
	s_load_dwordx2 s[2:3], s[28:29], 0x108
	s_load_dword s12, s[4:5], 0x118
	s_load_dword s14, s[28:29], 0x110
	s_waitcnt lgkmcnt(0)
	v_mov_b32_e32 v1, s3
	s_bfe_u32 s13, s12, 0x80010
	v_add_co_u32_e32 v5, vcc, s2, v6
	s_cmp_lt_i32 s13, 11
	v_addc_co_u32_e32 v6, vcc, 0, v1, vcc
	s_cbranch_scc1 .LBB111_552
; %bb.525:
	s_and_b32 s15, 0xffff, s13
	s_mov_b64 s[10:11], -1
	s_mov_b64 s[4:5], 0
	s_cmp_gt_i32 s15, 25
	s_mov_b64 s[8:9], 0
	s_mov_b64 s[0:1], 0
	s_cbranch_scc0 .LBB111_562
; %bb.526:
	s_cmp_gt_i32 s15, 28
	s_cbranch_scc0 .LBB111_541
; %bb.527:
	s_cmp_gt_i32 s15, 43
	;; [unrolled: 3-line block ×3, first 2 shown]
	s_cbranch_scc0 .LBB111_531
; %bb.529:
	s_mov_b64 s[0:1], -1
	s_mov_b64 s[10:11], 0
	s_cmp_eq_u32 s15, 46
	s_cbranch_scc0 .LBB111_531
; %bb.530:
	s_and_b32 s0, 0xffff, s14
	v_mov_b32_e32 v1, s0
	global_store_dword v[5:6], v1, off
	s_mov_b64 s[0:1], 0
	s_mov_b64 s[8:9], -1
.LBB111_531:
	s_and_b64 vcc, exec, s[10:11]
	s_cbranch_vccz .LBB111_536
; %bb.532:
	s_cmp_eq_u32 s15, 44
	s_mov_b64 s[0:1], -1
	s_cbranch_scc0 .LBB111_536
; %bb.533:
	s_and_b32 s1, 0xffff, s14
	s_bfe_u32 s0, s1, 0x80007
	s_cmpk_eq_i32 s0, 0xff
	v_mov_b32_e32 v1, 0xff
	s_cbranch_scc1 .LBB111_535
; %bb.534:
	s_lshr_b32 s10, s1, 7
	s_lshl_b32 s11, s1, 16
	s_bitcmp1_b32 s1, 6
	s_cselect_b64 s[8:9], -1, 0
	s_and_b32 s1, s11, 0x3f0000
	s_or_b32 s0, s0, s1
	s_cmp_lg_u32 s0, 0
	s_cselect_b64 s[0:1], -1, 0
	s_and_b64 s[0:1], s[8:9], s[0:1]
	v_cndmask_b32_e64 v1, 0, 1, s[0:1]
	v_add_u32_e32 v1, s10, v1
.LBB111_535:
	s_mov_b64 s[0:1], 0
	s_mov_b64 s[8:9], -1
	global_store_byte v[5:6], v1, off
.LBB111_536:
	s_mov_b64 s[10:11], 0
.LBB111_537:
	s_and_b64 vcc, exec, s[10:11]
	s_cbranch_vccz .LBB111_540
; %bb.538:
	s_cmp_eq_u32 s15, 29
	s_mov_b64 s[0:1], -1
	s_cbranch_scc0 .LBB111_540
; %bb.539:
	s_lshl_b32 s0, s14, 16
	v_trunc_f32_e32 v1, s0
	v_mul_f32_e32 v3, 0x2f800000, v1
	v_floor_f32_e32 v3, v3
	v_fmac_f32_e32 v1, 0xcf800000, v3
	v_cvt_u32_f32_e32 v8, v3
	v_cvt_u32_f32_e32 v7, v1
	s_mov_b64 s[0:1], 0
	s_mov_b64 s[8:9], -1
	global_store_dwordx2 v[5:6], v[7:8], off
.LBB111_540:
	s_mov_b64 s[10:11], 0
.LBB111_541:
	s_and_b64 vcc, exec, s[10:11]
	s_cbranch_vccz .LBB111_561
; %bb.542:
	s_cmp_lt_i32 s15, 27
	s_mov_b64 s[8:9], -1
	s_cbranch_scc1 .LBB111_548
; %bb.543:
	s_cmp_gt_i32 s15, 27
	s_cbranch_scc0 .LBB111_545
; %bb.544:
	s_lshl_b32 s8, s14, 16
	v_cvt_u32_f32_e32 v1, s8
	s_mov_b64 s[8:9], 0
	global_store_dword v[5:6], v1, off
.LBB111_545:
	s_andn2_b64 vcc, exec, s[8:9]
	s_cbranch_vccnz .LBB111_547
; %bb.546:
	s_lshl_b32 s8, s14, 16
	v_cvt_u32_f32_e32 v1, s8
	global_store_short v[5:6], v1, off
.LBB111_547:
	s_mov_b64 s[8:9], 0
.LBB111_548:
	s_andn2_b64 vcc, exec, s[8:9]
	s_cbranch_vccnz .LBB111_560
; %bb.549:
	s_lshl_b32 s17, s14, 16
	s_and_b32 s8, s17, 0x7fffffff
	s_cmp_gt_u32 s8, 0x437fffff
	v_mov_b32_e32 v3, 0x80
	s_cbranch_scc1 .LBB111_559
; %bb.550:
	s_and_b32 s16, 0xffff, s14
	s_cmp_gt_u32 s8, 0x3bffffff
	s_cbranch_scc0 .LBB111_554
; %bb.551:
	s_bfe_u32 s8, s16, 0x10004
	s_add_i32 s8, s17, s8
	s_add_i32 s8, s8, 0x487ffff
	s_lshr_b32 s18, s8, 20
	s_mov_b64 s[10:11], 0
	s_mov_b64 s[8:9], -1
	s_branch .LBB111_555
.LBB111_552:
	s_mov_b64 s[8:9], 0
	s_mov_b64 s[0:1], s[6:7]
	s_cbranch_execnz .LBB111_612
.LBB111_553:
	s_andn2_b64 vcc, exec, s[8:9]
	s_cbranch_vccz .LBB111_650
	s_branch .LBB111_948
.LBB111_554:
	s_mov_b64 s[10:11], -1
	s_mov_b64 s[8:9], 0
                                        ; implicit-def: $sgpr18
.LBB111_555:
	s_andn2_b64 vcc, exec, s[10:11]
	v_mov_b32_e32 v1, s18
	s_cbranch_vccnz .LBB111_557
; %bb.556:
	v_mov_b32_e32 v1, 0x46000000
	v_add_f32_e64 v1, |s17|, v1
	v_and_b32_e32 v1, 0xff, v1
	v_cmp_ne_u32_e64 s[8:9], 0, v1
.LBB111_557:
	s_andn2_b64 vcc, exec, s[8:9]
	v_mov_b32_e32 v3, 0
	s_cbranch_vccnz .LBB111_559
; %bb.558:
	s_lshr_b32 s8, s16, 8
	s_and_b32 s8, s8, 0x80
	v_or_b32_e32 v3, s8, v1
.LBB111_559:
	global_store_byte v[5:6], v3, off
.LBB111_560:
	s_mov_b64 s[8:9], -1
.LBB111_561:
	s_mov_b64 s[10:11], 0
.LBB111_562:
	s_and_b64 vcc, exec, s[10:11]
	s_cbranch_vccz .LBB111_608
; %bb.563:
	s_cmp_gt_i32 s15, 22
	s_mov_b64 s[4:5], -1
	s_cbranch_scc0 .LBB111_601
; %bb.564:
	s_cmp_lt_i32 s15, 24
	s_cbranch_scc1 .LBB111_588
; %bb.565:
	s_cmp_gt_i32 s15, 24
	s_cbranch_scc0 .LBB111_575
; %bb.566:
	s_lshl_b32 s11, s14, 16
	s_and_b32 s4, s11, 0x7fffffff
	s_cmp_gt_u32 s4, 0x477fffff
	v_mov_b32_e32 v3, 0x80
	s_cbranch_scc1 .LBB111_574
; %bb.567:
	s_and_b32 s10, 0xffff, s14
	s_cmp_gt_u32 s4, 0x37ffffff
	s_cbranch_scc0 .LBB111_569
; %bb.568:
	s_bfe_u32 s4, s10, 0x10005
	s_add_i32 s4, s11, s4
	s_add_i32 s4, s4, 0x88fffff
	s_lshr_b32 s16, s4, 21
	s_mov_b64 s[8:9], 0
	s_mov_b64 s[4:5], -1
	s_branch .LBB111_570
.LBB111_569:
	s_mov_b64 s[8:9], -1
	s_mov_b64 s[4:5], 0
                                        ; implicit-def: $sgpr16
.LBB111_570:
	s_andn2_b64 vcc, exec, s[8:9]
	v_mov_b32_e32 v1, s16
	s_cbranch_vccnz .LBB111_572
; %bb.571:
	v_mov_b32_e32 v1, 0x42800000
	v_add_f32_e64 v1, |s11|, v1
	v_and_b32_e32 v1, 0xff, v1
	v_cmp_ne_u32_e64 s[4:5], 0, v1
.LBB111_572:
	s_andn2_b64 vcc, exec, s[4:5]
	v_mov_b32_e32 v3, 0
	s_cbranch_vccnz .LBB111_574
; %bb.573:
	s_lshr_b32 s4, s10, 8
	s_and_b32 s4, s4, 0x80
	v_or_b32_e32 v3, s4, v1
.LBB111_574:
	s_mov_b64 s[4:5], 0
	global_store_byte v[5:6], v3, off
.LBB111_575:
	s_and_b64 vcc, exec, s[4:5]
	s_cbranch_vccz .LBB111_587
; %bb.576:
	s_lshl_b32 s10, s14, 16
	s_and_b32 s8, 0xffff, s14
	s_and_b32 s9, s10, 0x7fffffff
	s_cmp_lt_u32 s9, 0x43f00000
	s_cbranch_scc0 .LBB111_579
; %bb.577:
	s_cmp_gt_u32 s9, 0x3c7fffff
	s_cbranch_scc0 .LBB111_580
; %bb.578:
	s_bfe_u32 s4, s8, 0x10004
	s_add_i32 s4, s10, s4
	s_add_i32 s4, s4, 0x407ffff
	s_lshr_b32 s5, s4, 20
	s_and_b32 s4, s4, 0xff00000
	s_cmp_lg_u32 s4, 0x7f00000
	s_cselect_b32 s11, s5, 0x7e
	s_mov_b64 s[4:5], 0
	s_branch .LBB111_581
.LBB111_579:
	s_mov_b64 s[4:5], -1
                                        ; implicit-def: $vgpr1
	s_branch .LBB111_584
.LBB111_580:
	s_mov_b64 s[4:5], -1
                                        ; implicit-def: $sgpr11
.LBB111_581:
	s_andn2_b64 vcc, exec, s[4:5]
	v_mov_b32_e32 v1, s11
	s_cbranch_vccnz .LBB111_583
; %bb.582:
	v_mov_b32_e32 v1, 0x46800000
	v_add_f32_e64 v1, |s10|, v1
.LBB111_583:
	s_mov_b64 s[4:5], 0
.LBB111_584:
	s_andn2_b64 vcc, exec, s[4:5]
	s_cbranch_vccnz .LBB111_586
; %bb.585:
	s_cmp_gt_u32 s9, 0x7f800000
	s_movk_i32 s4, 0x7f
	s_cselect_b32 s4, s4, 0x7e
	v_mov_b32_e32 v1, s4
.LBB111_586:
	s_lshr_b32 s4, s8, 8
	s_and_b32 s4, s4, 0x80
	v_or_b32_e32 v1, s4, v1
	global_store_byte v[5:6], v1, off
.LBB111_587:
	s_mov_b64 s[4:5], 0
.LBB111_588:
	s_andn2_b64 vcc, exec, s[4:5]
	s_cbranch_vccnz .LBB111_600
; %bb.589:
	s_lshl_b32 s10, s14, 16
	s_and_b32 s8, 0xffff, s14
	s_and_b32 s9, s10, 0x7fffffff
	s_cmp_lt_u32 s9, 0x47800000
	s_cbranch_scc0 .LBB111_592
; %bb.590:
	s_cmp_gt_u32 s9, 0x387fffff
	s_cbranch_scc0 .LBB111_593
; %bb.591:
	s_bfe_u32 s4, s8, 0x10005
	s_add_i32 s4, s10, s4
	s_add_i32 s4, s4, 0x80fffff
	s_lshr_b32 s11, s4, 21
	s_mov_b64 s[4:5], 0
	s_branch .LBB111_594
.LBB111_592:
	s_mov_b64 s[4:5], -1
                                        ; implicit-def: $vgpr1
	s_branch .LBB111_597
.LBB111_593:
	s_mov_b64 s[4:5], -1
                                        ; implicit-def: $sgpr11
.LBB111_594:
	s_andn2_b64 vcc, exec, s[4:5]
	v_mov_b32_e32 v1, s11
	s_cbranch_vccnz .LBB111_596
; %bb.595:
	v_mov_b32_e32 v1, 0x43000000
	v_add_f32_e64 v1, |s10|, v1
.LBB111_596:
	s_mov_b64 s[4:5], 0
.LBB111_597:
	s_andn2_b64 vcc, exec, s[4:5]
	s_cbranch_vccnz .LBB111_599
; %bb.598:
	s_cmp_gt_u32 s9, 0x7f800000
	s_movk_i32 s4, 0x7f
	s_cselect_b32 s4, s4, 0x7c
	v_mov_b32_e32 v1, s4
.LBB111_599:
	s_lshr_b32 s4, s8, 8
	s_and_b32 s4, s4, 0x80
	v_or_b32_e32 v1, s4, v1
	global_store_byte v[5:6], v1, off
.LBB111_600:
	s_mov_b64 s[4:5], 0
	s_mov_b64 s[8:9], -1
.LBB111_601:
	s_andn2_b64 vcc, exec, s[4:5]
	s_mov_b64 s[4:5], 0
	s_cbranch_vccnz .LBB111_608
; %bb.602:
	s_cmp_gt_i32 s15, 14
	s_mov_b64 s[10:11], -1
	s_cbranch_scc0 .LBB111_606
; %bb.603:
	s_cmp_eq_u32 s15, 15
	s_mov_b64 s[0:1], -1
	s_cbranch_scc0 .LBB111_605
; %bb.604:
	v_mov_b32_e32 v1, s14
	global_store_short v[5:6], v1, off
	s_mov_b64 s[0:1], 0
	s_mov_b64 s[8:9], -1
.LBB111_605:
	s_mov_b64 s[10:11], 0
.LBB111_606:
	s_and_b64 vcc, exec, s[10:11]
	s_cbranch_vccz .LBB111_608
; %bb.607:
	s_cmp_lg_u32 s15, 11
	s_mov_b64 s[4:5], -1
	s_cselect_b64 s[0:1], -1, 0
.LBB111_608:
	s_and_b64 vcc, exec, s[0:1]
	s_mov_b64 s[0:1], s[6:7]
	s_cbranch_vccnz .LBB111_680
; %bb.609:
	s_andn2_b64 vcc, exec, s[4:5]
	s_cbranch_vccnz .LBB111_611
.LBB111_610:
	s_and_b32 s4, s14, 0x7fff
	s_cmp_lg_u32 s4, 0
	s_cselect_b64 s[4:5], -1, 0
	v_cndmask_b32_e64 v1, 0, 1, s[4:5]
	global_store_byte v[5:6], v1, off
	s_mov_b64 s[8:9], -1
.LBB111_611:
	s_branch .LBB111_553
.LBB111_612:
	s_and_b32 s8, 0xffff, s13
	s_cmp_lt_i32 s8, 5
	s_mov_b64 s[4:5], -1
	s_cbranch_scc1 .LBB111_633
; %bb.613:
	s_cmp_lt_i32 s8, 8
	s_cbranch_scc1 .LBB111_623
; %bb.614:
	s_cmp_lt_i32 s8, 9
	s_cbranch_scc1 .LBB111_620
; %bb.615:
	s_cmp_gt_i32 s8, 9
	s_cbranch_scc0 .LBB111_617
; %bb.616:
	s_lshl_b32 s4, s14, 16
	v_cvt_f64_f32_e32 v[7:8], s4
	v_mov_b32_e32 v9, 0
	v_mov_b32_e32 v10, v9
	s_mov_b64 s[4:5], 0
	global_store_dwordx4 v[5:6], v[7:10], off
.LBB111_617:
	s_andn2_b64 vcc, exec, s[4:5]
	s_cbranch_vccnz .LBB111_619
; %bb.618:
	s_lshl_b32 s4, s14, 16
	v_mov_b32_e32 v7, s4
	v_mov_b32_e32 v8, 0
	global_store_dwordx2 v[5:6], v[7:8], off
.LBB111_619:
	s_mov_b64 s[4:5], 0
.LBB111_620:
	s_andn2_b64 vcc, exec, s[4:5]
	s_cbranch_vccnz .LBB111_622
; %bb.621:
	s_lshl_b32 s4, s14, 16
	v_cvt_f16_f32_e32 v1, s4
	global_store_dword v[5:6], v1, off
.LBB111_622:
	s_mov_b64 s[4:5], 0
.LBB111_623:
	s_andn2_b64 vcc, exec, s[4:5]
	s_cbranch_vccnz .LBB111_632
; %bb.624:
	s_cmp_lt_i32 s8, 6
	s_mov_b64 s[4:5], -1
	s_cbranch_scc1 .LBB111_630
; %bb.625:
	s_cmp_gt_i32 s8, 6
	s_cbranch_scc0 .LBB111_627
; %bb.626:
	s_lshl_b32 s4, s14, 16
	v_cvt_f64_f32_e32 v[7:8], s4
	s_mov_b64 s[4:5], 0
	global_store_dwordx2 v[5:6], v[7:8], off
.LBB111_627:
	s_andn2_b64 vcc, exec, s[4:5]
	s_cbranch_vccnz .LBB111_629
; %bb.628:
	s_lshl_b32 s4, s14, 16
	v_mov_b32_e32 v1, s4
	global_store_dword v[5:6], v1, off
.LBB111_629:
	s_mov_b64 s[4:5], 0
.LBB111_630:
	s_andn2_b64 vcc, exec, s[4:5]
	s_cbranch_vccnz .LBB111_632
; %bb.631:
	s_lshl_b32 s4, s14, 16
	v_cvt_f16_f32_e32 v1, s4
	global_store_short v[5:6], v1, off
.LBB111_632:
	s_mov_b64 s[4:5], 0
.LBB111_633:
	s_andn2_b64 vcc, exec, s[4:5]
	s_cbranch_vccnz .LBB111_649
; %bb.634:
	s_cmp_lt_i32 s8, 2
	s_mov_b64 s[4:5], -1
	s_cbranch_scc1 .LBB111_644
; %bb.635:
	s_cmp_lt_i32 s8, 3
	s_cbranch_scc1 .LBB111_641
; %bb.636:
	s_cmp_gt_i32 s8, 3
	s_cbranch_scc0 .LBB111_638
; %bb.637:
	s_lshl_b32 s4, s14, 16
	v_trunc_f32_e32 v1, s4
	s_mov_b32 s4, 0x2f800000
	v_mul_f32_e64 v3, |v1|, s4
	v_floor_f32_e32 v3, v3
	s_mov_b32 s4, 0xcf800000
	v_fma_f32 v7, v3, s4, |v1|
	v_cvt_u32_f32_e32 v7, v7
	v_cvt_u32_f32_e32 v3, v3
	v_ashrrev_i32_e32 v1, 31, v1
	s_mov_b64 s[4:5], 0
	v_xor_b32_e32 v7, v7, v1
	v_xor_b32_e32 v3, v3, v1
	v_sub_co_u32_e32 v7, vcc, v7, v1
	v_subb_co_u32_e32 v8, vcc, v3, v1, vcc
	global_store_dwordx2 v[5:6], v[7:8], off
.LBB111_638:
	s_andn2_b64 vcc, exec, s[4:5]
	s_cbranch_vccnz .LBB111_640
; %bb.639:
	s_lshl_b32 s4, s14, 16
	v_cvt_i32_f32_e32 v1, s4
	global_store_dword v[5:6], v1, off
.LBB111_640:
	s_mov_b64 s[4:5], 0
.LBB111_641:
	s_andn2_b64 vcc, exec, s[4:5]
	s_cbranch_vccnz .LBB111_643
; %bb.642:
	s_lshl_b32 s4, s14, 16
	v_cvt_i32_f32_e32 v1, s4
	global_store_short v[5:6], v1, off
.LBB111_643:
	s_mov_b64 s[4:5], 0
.LBB111_644:
	s_andn2_b64 vcc, exec, s[4:5]
	s_cbranch_vccnz .LBB111_649
; %bb.645:
	s_cmp_gt_i32 s8, 0
	s_mov_b64 s[4:5], -1
	s_cbranch_scc0 .LBB111_647
; %bb.646:
	s_lshl_b32 s4, s14, 16
	v_cvt_i32_f32_e32 v1, s4
	s_mov_b64 s[4:5], 0
	global_store_byte v[5:6], v1, off
.LBB111_647:
	s_andn2_b64 vcc, exec, s[4:5]
	s_cbranch_vccnz .LBB111_649
; %bb.648:
	s_lshl_b32 s4, s14, 16
	v_trunc_f32_e32 v1, s4
	s_mov_b32 s4, 0x2f800000
	v_mul_f32_e64 v3, |v1|, s4
	v_floor_f32_e32 v3, v3
	s_mov_b32 s4, 0xcf800000
	v_fma_f32 v3, v3, s4, |v1|
	v_cvt_u32_f32_e32 v3, v3
	v_ashrrev_i32_e32 v1, 31, v1
	v_xor_b32_e32 v3, v3, v1
	v_sub_u32_e32 v1, v3, v1
	global_store_byte v[5:6], v1, off
.LBB111_649:
.LBB111_650:
	s_lshr_b32 s4, s12, 16
	v_mov_b32_e32 v1, s3
	s_and_b32 s15, s4, 0xff
	v_add_co_u32_e32 v3, vcc, s2, v4
	s_cmp_lt_i32 s15, 11
	v_addc_co_u32_e32 v4, vcc, 0, v1, vcc
	s_cbranch_scc1 .LBB111_678
; %bb.651:
	s_and_b32 s16, 0xffff, s15
	s_mov_b64 s[12:13], -1
	s_mov_b64 s[8:9], 0
	s_cmp_gt_i32 s16, 25
	s_mov_b64 s[10:11], 0
	s_mov_b64 s[4:5], 0
	s_cbranch_scc0 .LBB111_689
; %bb.652:
	s_cmp_gt_i32 s16, 28
	s_cbranch_scc0 .LBB111_667
; %bb.653:
	s_cmp_gt_i32 s16, 43
	;; [unrolled: 3-line block ×3, first 2 shown]
	s_cbranch_scc0 .LBB111_657
; %bb.655:
	s_mov_b64 s[4:5], -1
	s_mov_b64 s[12:13], 0
	s_cmp_eq_u32 s16, 46
	s_cbranch_scc0 .LBB111_657
; %bb.656:
	s_and_b32 s4, 0xffff, s14
	v_mov_b32_e32 v1, s4
	global_store_dword v[3:4], v1, off
	s_mov_b64 s[4:5], 0
	s_mov_b64 s[10:11], -1
.LBB111_657:
	s_and_b64 vcc, exec, s[12:13]
	s_cbranch_vccz .LBB111_662
; %bb.658:
	s_cmp_eq_u32 s16, 44
	s_mov_b64 s[4:5], -1
	s_cbranch_scc0 .LBB111_662
; %bb.659:
	s_and_b32 s5, 0xffff, s14
	s_bfe_u32 s4, s5, 0x80007
	s_cmpk_eq_i32 s4, 0xff
	v_mov_b32_e32 v1, 0xff
	s_cbranch_scc1 .LBB111_661
; %bb.660:
	s_lshr_b32 s12, s5, 7
	s_lshl_b32 s13, s5, 16
	s_bitcmp1_b32 s5, 6
	s_cselect_b64 s[10:11], -1, 0
	s_and_b32 s5, s13, 0x3f0000
	s_or_b32 s4, s4, s5
	s_cmp_lg_u32 s4, 0
	s_cselect_b64 s[4:5], -1, 0
	s_and_b64 s[4:5], s[10:11], s[4:5]
	v_cndmask_b32_e64 v1, 0, 1, s[4:5]
	v_add_u32_e32 v1, s12, v1
.LBB111_661:
	s_mov_b64 s[4:5], 0
	s_mov_b64 s[10:11], -1
	global_store_byte v[3:4], v1, off
.LBB111_662:
	s_mov_b64 s[12:13], 0
.LBB111_663:
	s_and_b64 vcc, exec, s[12:13]
	s_cbranch_vccz .LBB111_666
; %bb.664:
	s_cmp_eq_u32 s16, 29
	s_mov_b64 s[4:5], -1
	s_cbranch_scc0 .LBB111_666
; %bb.665:
	s_lshl_b32 s4, s14, 16
	v_trunc_f32_e32 v1, s4
	v_mul_f32_e32 v5, 0x2f800000, v1
	v_floor_f32_e32 v5, v5
	v_fmac_f32_e32 v1, 0xcf800000, v5
	v_cvt_u32_f32_e32 v6, v5
	v_cvt_u32_f32_e32 v5, v1
	s_mov_b64 s[4:5], 0
	s_mov_b64 s[10:11], -1
	global_store_dwordx2 v[3:4], v[5:6], off
.LBB111_666:
	s_mov_b64 s[12:13], 0
.LBB111_667:
	s_and_b64 vcc, exec, s[12:13]
	s_cbranch_vccz .LBB111_688
; %bb.668:
	s_cmp_lt_i32 s16, 27
	s_mov_b64 s[10:11], -1
	s_cbranch_scc1 .LBB111_674
; %bb.669:
	s_cmp_gt_i32 s16, 27
	s_cbranch_scc0 .LBB111_671
; %bb.670:
	s_lshl_b32 s10, s14, 16
	v_cvt_u32_f32_e32 v1, s10
	s_mov_b64 s[10:11], 0
	global_store_dword v[3:4], v1, off
.LBB111_671:
	s_andn2_b64 vcc, exec, s[10:11]
	s_cbranch_vccnz .LBB111_673
; %bb.672:
	s_lshl_b32 s10, s14, 16
	v_cvt_u32_f32_e32 v1, s10
	global_store_short v[3:4], v1, off
.LBB111_673:
	s_mov_b64 s[10:11], 0
.LBB111_674:
	s_andn2_b64 vcc, exec, s[10:11]
	s_cbranch_vccnz .LBB111_687
; %bb.675:
	s_lshl_b32 s18, s14, 16
	s_and_b32 s10, s18, 0x7fffffff
	s_cmp_gt_u32 s10, 0x437fffff
	v_mov_b32_e32 v5, 0x80
	s_cbranch_scc1 .LBB111_686
; %bb.676:
	s_and_b32 s17, 0xffff, s14
	s_cmp_gt_u32 s10, 0x3bffffff
	s_cbranch_scc0 .LBB111_681
; %bb.677:
	s_bfe_u32 s10, s17, 0x10004
	s_add_i32 s10, s18, s10
	s_add_i32 s10, s10, 0x487ffff
	s_lshr_b32 s19, s10, 20
	s_mov_b64 s[12:13], 0
	s_mov_b64 s[10:11], -1
	s_branch .LBB111_682
.LBB111_678:
	s_mov_b64 s[10:11], 0
	s_cbranch_execnz .LBB111_739
.LBB111_679:
	s_andn2_b64 vcc, exec, s[10:11]
	s_cbranch_vccz .LBB111_777
	s_branch .LBB111_948
.LBB111_680:
	s_or_b64 s[0:1], s[6:7], exec
	s_trap 2
	s_cbranch_execz .LBB111_610
	s_branch .LBB111_611
.LBB111_681:
	s_mov_b64 s[12:13], -1
	s_mov_b64 s[10:11], 0
                                        ; implicit-def: $sgpr19
.LBB111_682:
	s_andn2_b64 vcc, exec, s[12:13]
	v_mov_b32_e32 v1, s19
	s_cbranch_vccnz .LBB111_684
; %bb.683:
	v_mov_b32_e32 v1, 0x46000000
	v_add_f32_e64 v1, |s18|, v1
	v_and_b32_e32 v1, 0xff, v1
	v_cmp_ne_u32_e64 s[10:11], 0, v1
.LBB111_684:
	s_andn2_b64 vcc, exec, s[10:11]
	v_mov_b32_e32 v5, 0
	s_cbranch_vccnz .LBB111_686
; %bb.685:
	s_lshr_b32 s10, s17, 8
	s_and_b32 s10, s10, 0x80
	v_or_b32_e32 v5, s10, v1
.LBB111_686:
	global_store_byte v[3:4], v5, off
.LBB111_687:
	s_mov_b64 s[10:11], -1
.LBB111_688:
	s_mov_b64 s[12:13], 0
.LBB111_689:
	s_and_b64 vcc, exec, s[12:13]
	s_cbranch_vccz .LBB111_735
; %bb.690:
	s_cmp_gt_i32 s16, 22
	s_mov_b64 s[8:9], -1
	s_cbranch_scc0 .LBB111_728
; %bb.691:
	s_cmp_lt_i32 s16, 24
	s_cbranch_scc1 .LBB111_715
; %bb.692:
	s_cmp_gt_i32 s16, 24
	s_cbranch_scc0 .LBB111_702
; %bb.693:
	s_lshl_b32 s13, s14, 16
	s_and_b32 s8, s13, 0x7fffffff
	s_cmp_gt_u32 s8, 0x477fffff
	v_mov_b32_e32 v5, 0x80
	s_cbranch_scc1 .LBB111_701
; %bb.694:
	s_and_b32 s12, 0xffff, s14
	s_cmp_gt_u32 s8, 0x37ffffff
	s_cbranch_scc0 .LBB111_696
; %bb.695:
	s_bfe_u32 s8, s12, 0x10005
	s_add_i32 s8, s13, s8
	s_add_i32 s8, s8, 0x88fffff
	s_lshr_b32 s17, s8, 21
	s_mov_b64 s[10:11], 0
	s_mov_b64 s[8:9], -1
	s_branch .LBB111_697
.LBB111_696:
	s_mov_b64 s[10:11], -1
	s_mov_b64 s[8:9], 0
                                        ; implicit-def: $sgpr17
.LBB111_697:
	s_andn2_b64 vcc, exec, s[10:11]
	v_mov_b32_e32 v1, s17
	s_cbranch_vccnz .LBB111_699
; %bb.698:
	v_mov_b32_e32 v1, 0x42800000
	v_add_f32_e64 v1, |s13|, v1
	v_and_b32_e32 v1, 0xff, v1
	v_cmp_ne_u32_e64 s[8:9], 0, v1
.LBB111_699:
	s_andn2_b64 vcc, exec, s[8:9]
	v_mov_b32_e32 v5, 0
	s_cbranch_vccnz .LBB111_701
; %bb.700:
	s_lshr_b32 s8, s12, 8
	s_and_b32 s8, s8, 0x80
	v_or_b32_e32 v5, s8, v1
.LBB111_701:
	s_mov_b64 s[8:9], 0
	global_store_byte v[3:4], v5, off
.LBB111_702:
	s_and_b64 vcc, exec, s[8:9]
	s_cbranch_vccz .LBB111_714
; %bb.703:
	s_lshl_b32 s12, s14, 16
	s_and_b32 s10, 0xffff, s14
	s_and_b32 s11, s12, 0x7fffffff
	s_cmp_lt_u32 s11, 0x43f00000
	s_cbranch_scc0 .LBB111_706
; %bb.704:
	s_cmp_gt_u32 s11, 0x3c7fffff
	s_cbranch_scc0 .LBB111_707
; %bb.705:
	s_bfe_u32 s8, s10, 0x10004
	s_add_i32 s8, s12, s8
	s_add_i32 s8, s8, 0x407ffff
	s_lshr_b32 s9, s8, 20
	s_and_b32 s8, s8, 0xff00000
	s_cmp_lg_u32 s8, 0x7f00000
	s_cselect_b32 s13, s9, 0x7e
	s_mov_b64 s[8:9], 0
	s_branch .LBB111_708
.LBB111_706:
	s_mov_b64 s[8:9], -1
                                        ; implicit-def: $vgpr1
	s_branch .LBB111_711
.LBB111_707:
	s_mov_b64 s[8:9], -1
                                        ; implicit-def: $sgpr13
.LBB111_708:
	s_andn2_b64 vcc, exec, s[8:9]
	v_mov_b32_e32 v1, s13
	s_cbranch_vccnz .LBB111_710
; %bb.709:
	v_mov_b32_e32 v1, 0x46800000
	v_add_f32_e64 v1, |s12|, v1
.LBB111_710:
	s_mov_b64 s[8:9], 0
.LBB111_711:
	s_andn2_b64 vcc, exec, s[8:9]
	s_cbranch_vccnz .LBB111_713
; %bb.712:
	s_cmp_gt_u32 s11, 0x7f800000
	s_movk_i32 s8, 0x7f
	s_cselect_b32 s8, s8, 0x7e
	v_mov_b32_e32 v1, s8
.LBB111_713:
	s_lshr_b32 s8, s10, 8
	s_and_b32 s8, s8, 0x80
	v_or_b32_e32 v1, s8, v1
	global_store_byte v[3:4], v1, off
.LBB111_714:
	s_mov_b64 s[8:9], 0
.LBB111_715:
	s_andn2_b64 vcc, exec, s[8:9]
	s_cbranch_vccnz .LBB111_727
; %bb.716:
	s_lshl_b32 s12, s14, 16
	s_and_b32 s10, 0xffff, s14
	s_and_b32 s11, s12, 0x7fffffff
	s_cmp_lt_u32 s11, 0x47800000
	s_cbranch_scc0 .LBB111_719
; %bb.717:
	s_cmp_gt_u32 s11, 0x387fffff
	s_cbranch_scc0 .LBB111_720
; %bb.718:
	s_bfe_u32 s8, s10, 0x10005
	s_add_i32 s8, s12, s8
	s_add_i32 s8, s8, 0x80fffff
	s_lshr_b32 s13, s8, 21
	s_mov_b64 s[8:9], 0
	s_branch .LBB111_721
.LBB111_719:
	s_mov_b64 s[8:9], -1
                                        ; implicit-def: $vgpr1
	s_branch .LBB111_724
.LBB111_720:
	s_mov_b64 s[8:9], -1
                                        ; implicit-def: $sgpr13
.LBB111_721:
	s_andn2_b64 vcc, exec, s[8:9]
	v_mov_b32_e32 v1, s13
	s_cbranch_vccnz .LBB111_723
; %bb.722:
	v_mov_b32_e32 v1, 0x43000000
	v_add_f32_e64 v1, |s12|, v1
.LBB111_723:
	s_mov_b64 s[8:9], 0
.LBB111_724:
	s_andn2_b64 vcc, exec, s[8:9]
	s_cbranch_vccnz .LBB111_726
; %bb.725:
	s_cmp_gt_u32 s11, 0x7f800000
	s_movk_i32 s8, 0x7f
	s_cselect_b32 s8, s8, 0x7c
	v_mov_b32_e32 v1, s8
.LBB111_726:
	s_lshr_b32 s8, s10, 8
	s_and_b32 s8, s8, 0x80
	v_or_b32_e32 v1, s8, v1
	global_store_byte v[3:4], v1, off
.LBB111_727:
	s_mov_b64 s[8:9], 0
	s_mov_b64 s[10:11], -1
.LBB111_728:
	s_andn2_b64 vcc, exec, s[8:9]
	s_mov_b64 s[8:9], 0
	s_cbranch_vccnz .LBB111_735
; %bb.729:
	s_cmp_gt_i32 s16, 14
	s_mov_b64 s[12:13], -1
	s_cbranch_scc0 .LBB111_733
; %bb.730:
	s_cmp_eq_u32 s16, 15
	s_mov_b64 s[4:5], -1
	s_cbranch_scc0 .LBB111_732
; %bb.731:
	v_mov_b32_e32 v1, s14
	global_store_short v[3:4], v1, off
	s_mov_b64 s[4:5], 0
	s_mov_b64 s[10:11], -1
.LBB111_732:
	s_mov_b64 s[12:13], 0
.LBB111_733:
	s_and_b64 vcc, exec, s[12:13]
	s_cbranch_vccz .LBB111_735
; %bb.734:
	s_cmp_lg_u32 s16, 11
	s_mov_b64 s[8:9], -1
	s_cselect_b64 s[4:5], -1, 0
.LBB111_735:
	s_and_b64 vcc, exec, s[4:5]
	s_cbranch_vccnz .LBB111_837
; %bb.736:
	s_andn2_b64 vcc, exec, s[8:9]
	s_cbranch_vccnz .LBB111_738
.LBB111_737:
	s_and_b32 s4, s14, 0x7fff
	s_cmp_lg_u32 s4, 0
	s_cselect_b64 s[4:5], -1, 0
	v_cndmask_b32_e64 v1, 0, 1, s[4:5]
	s_mov_b64 s[10:11], -1
	global_store_byte v[3:4], v1, off
.LBB111_738:
	s_branch .LBB111_679
.LBB111_739:
	s_and_b32 s8, 0xffff, s15
	s_cmp_lt_i32 s8, 5
	s_mov_b64 s[4:5], -1
	s_cbranch_scc1 .LBB111_760
; %bb.740:
	s_cmp_lt_i32 s8, 8
	s_cbranch_scc1 .LBB111_750
; %bb.741:
	s_cmp_lt_i32 s8, 9
	s_cbranch_scc1 .LBB111_747
; %bb.742:
	s_cmp_gt_i32 s8, 9
	s_cbranch_scc0 .LBB111_744
; %bb.743:
	s_lshl_b32 s4, s14, 16
	v_cvt_f64_f32_e32 v[5:6], s4
	v_mov_b32_e32 v7, 0
	v_mov_b32_e32 v8, v7
	s_mov_b64 s[4:5], 0
	global_store_dwordx4 v[3:4], v[5:8], off
.LBB111_744:
	s_andn2_b64 vcc, exec, s[4:5]
	s_cbranch_vccnz .LBB111_746
; %bb.745:
	s_lshl_b32 s4, s14, 16
	v_mov_b32_e32 v5, s4
	v_mov_b32_e32 v6, 0
	global_store_dwordx2 v[3:4], v[5:6], off
.LBB111_746:
	s_mov_b64 s[4:5], 0
.LBB111_747:
	s_andn2_b64 vcc, exec, s[4:5]
	s_cbranch_vccnz .LBB111_749
; %bb.748:
	s_lshl_b32 s4, s14, 16
	v_cvt_f16_f32_e32 v1, s4
	global_store_dword v[3:4], v1, off
.LBB111_749:
	s_mov_b64 s[4:5], 0
.LBB111_750:
	s_andn2_b64 vcc, exec, s[4:5]
	s_cbranch_vccnz .LBB111_759
; %bb.751:
	s_cmp_lt_i32 s8, 6
	s_mov_b64 s[4:5], -1
	s_cbranch_scc1 .LBB111_757
; %bb.752:
	s_cmp_gt_i32 s8, 6
	s_cbranch_scc0 .LBB111_754
; %bb.753:
	s_lshl_b32 s4, s14, 16
	v_cvt_f64_f32_e32 v[5:6], s4
	s_mov_b64 s[4:5], 0
	global_store_dwordx2 v[3:4], v[5:6], off
.LBB111_754:
	s_andn2_b64 vcc, exec, s[4:5]
	s_cbranch_vccnz .LBB111_756
; %bb.755:
	s_lshl_b32 s4, s14, 16
	v_mov_b32_e32 v1, s4
	global_store_dword v[3:4], v1, off
.LBB111_756:
	s_mov_b64 s[4:5], 0
.LBB111_757:
	s_andn2_b64 vcc, exec, s[4:5]
	s_cbranch_vccnz .LBB111_759
; %bb.758:
	s_lshl_b32 s4, s14, 16
	v_cvt_f16_f32_e32 v1, s4
	global_store_short v[3:4], v1, off
.LBB111_759:
	s_mov_b64 s[4:5], 0
.LBB111_760:
	s_andn2_b64 vcc, exec, s[4:5]
	s_cbranch_vccnz .LBB111_776
; %bb.761:
	s_cmp_lt_i32 s8, 2
	s_mov_b64 s[4:5], -1
	s_cbranch_scc1 .LBB111_771
; %bb.762:
	s_cmp_lt_i32 s8, 3
	s_cbranch_scc1 .LBB111_768
; %bb.763:
	s_cmp_gt_i32 s8, 3
	s_cbranch_scc0 .LBB111_765
; %bb.764:
	s_lshl_b32 s4, s14, 16
	v_trunc_f32_e32 v1, s4
	s_mov_b32 s4, 0x2f800000
	v_mul_f32_e64 v5, |v1|, s4
	v_floor_f32_e32 v5, v5
	s_mov_b32 s4, 0xcf800000
	v_fma_f32 v6, v5, s4, |v1|
	v_cvt_u32_f32_e32 v6, v6
	v_cvt_u32_f32_e32 v5, v5
	v_ashrrev_i32_e32 v1, 31, v1
	s_mov_b64 s[4:5], 0
	v_xor_b32_e32 v6, v6, v1
	v_xor_b32_e32 v7, v5, v1
	v_sub_co_u32_e32 v5, vcc, v6, v1
	v_subb_co_u32_e32 v6, vcc, v7, v1, vcc
	global_store_dwordx2 v[3:4], v[5:6], off
.LBB111_765:
	s_andn2_b64 vcc, exec, s[4:5]
	s_cbranch_vccnz .LBB111_767
; %bb.766:
	s_lshl_b32 s4, s14, 16
	v_cvt_i32_f32_e32 v1, s4
	global_store_dword v[3:4], v1, off
.LBB111_767:
	s_mov_b64 s[4:5], 0
.LBB111_768:
	s_andn2_b64 vcc, exec, s[4:5]
	s_cbranch_vccnz .LBB111_770
; %bb.769:
	s_lshl_b32 s4, s14, 16
	v_cvt_i32_f32_e32 v1, s4
	global_store_short v[3:4], v1, off
.LBB111_770:
	s_mov_b64 s[4:5], 0
.LBB111_771:
	s_andn2_b64 vcc, exec, s[4:5]
	s_cbranch_vccnz .LBB111_776
; %bb.772:
	s_cmp_gt_i32 s8, 0
	s_mov_b64 s[4:5], -1
	s_cbranch_scc0 .LBB111_774
; %bb.773:
	s_lshl_b32 s4, s14, 16
	v_cvt_i32_f32_e32 v1, s4
	s_mov_b64 s[4:5], 0
	global_store_byte v[3:4], v1, off
.LBB111_774:
	s_andn2_b64 vcc, exec, s[4:5]
	s_cbranch_vccnz .LBB111_776
; %bb.775:
	s_lshl_b32 s4, s14, 16
	v_trunc_f32_e32 v1, s4
	s_mov_b32 s4, 0x2f800000
	v_mul_f32_e64 v5, |v1|, s4
	v_floor_f32_e32 v5, v5
	s_mov_b32 s4, 0xcf800000
	v_fma_f32 v5, v5, s4, |v1|
	v_cvt_u32_f32_e32 v5, v5
	v_ashrrev_i32_e32 v1, 31, v1
	v_xor_b32_e32 v5, v5, v1
	v_sub_u32_e32 v1, v5, v1
	global_store_byte v[3:4], v1, off
.LBB111_776:
.LBB111_777:
	v_mov_b32_e32 v3, s3
	v_add_co_u32_e32 v1, vcc, s2, v2
	s_cmp_lt_i32 s15, 11
	v_addc_co_u32_e32 v2, vcc, 0, v3, vcc
	s_cbranch_scc1 .LBB111_805
; %bb.778:
	s_and_b32 s16, 0xffff, s15
	s_mov_b64 s[12:13], -1
	s_mov_b64 s[8:9], 0
	s_cmp_gt_i32 s16, 25
	s_mov_b64 s[10:11], 0
	s_mov_b64 s[4:5], 0
	s_cbranch_scc0 .LBB111_846
; %bb.779:
	s_cmp_gt_i32 s16, 28
	s_cbranch_scc0 .LBB111_794
; %bb.780:
	s_cmp_gt_i32 s16, 43
	;; [unrolled: 3-line block ×3, first 2 shown]
	s_cbranch_scc0 .LBB111_784
; %bb.782:
	s_mov_b64 s[4:5], -1
	s_mov_b64 s[12:13], 0
	s_cmp_eq_u32 s16, 46
	s_cbranch_scc0 .LBB111_784
; %bb.783:
	s_and_b32 s4, 0xffff, s14
	v_mov_b32_e32 v3, s4
	global_store_dword v[1:2], v3, off
	s_mov_b64 s[4:5], 0
	s_mov_b64 s[10:11], -1
.LBB111_784:
	s_and_b64 vcc, exec, s[12:13]
	s_cbranch_vccz .LBB111_789
; %bb.785:
	s_cmp_eq_u32 s16, 44
	s_mov_b64 s[4:5], -1
	s_cbranch_scc0 .LBB111_789
; %bb.786:
	s_and_b32 s5, 0xffff, s14
	s_bfe_u32 s4, s5, 0x80007
	s_cmpk_eq_i32 s4, 0xff
	v_mov_b32_e32 v3, 0xff
	s_cbranch_scc1 .LBB111_788
; %bb.787:
	s_lshr_b32 s12, s5, 7
	s_lshl_b32 s13, s5, 16
	s_bitcmp1_b32 s5, 6
	s_cselect_b64 s[10:11], -1, 0
	s_and_b32 s5, s13, 0x3f0000
	s_or_b32 s4, s4, s5
	s_cmp_lg_u32 s4, 0
	s_cselect_b64 s[4:5], -1, 0
	s_and_b64 s[4:5], s[10:11], s[4:5]
	v_cndmask_b32_e64 v3, 0, 1, s[4:5]
	v_add_u32_e32 v3, s12, v3
.LBB111_788:
	s_mov_b64 s[4:5], 0
	s_mov_b64 s[10:11], -1
	global_store_byte v[1:2], v3, off
.LBB111_789:
	s_mov_b64 s[12:13], 0
.LBB111_790:
	s_and_b64 vcc, exec, s[12:13]
	s_cbranch_vccz .LBB111_793
; %bb.791:
	s_cmp_eq_u32 s16, 29
	s_mov_b64 s[4:5], -1
	s_cbranch_scc0 .LBB111_793
; %bb.792:
	s_lshl_b32 s4, s14, 16
	v_trunc_f32_e32 v3, s4
	v_mul_f32_e32 v4, 0x2f800000, v3
	v_floor_f32_e32 v5, v4
	v_fmac_f32_e32 v3, 0xcf800000, v5
	v_cvt_u32_f32_e32 v4, v5
	v_cvt_u32_f32_e32 v3, v3
	s_mov_b64 s[4:5], 0
	s_mov_b64 s[10:11], -1
	global_store_dwordx2 v[1:2], v[3:4], off
.LBB111_793:
	s_mov_b64 s[12:13], 0
.LBB111_794:
	s_and_b64 vcc, exec, s[12:13]
	s_cbranch_vccz .LBB111_845
; %bb.795:
	s_cmp_lt_i32 s16, 27
	s_mov_b64 s[10:11], -1
	s_cbranch_scc1 .LBB111_801
; %bb.796:
	s_cmp_gt_i32 s16, 27
	s_cbranch_scc0 .LBB111_798
; %bb.797:
	s_lshl_b32 s10, s14, 16
	v_cvt_u32_f32_e32 v3, s10
	s_mov_b64 s[10:11], 0
	global_store_dword v[1:2], v3, off
.LBB111_798:
	s_andn2_b64 vcc, exec, s[10:11]
	s_cbranch_vccnz .LBB111_800
; %bb.799:
	s_lshl_b32 s10, s14, 16
	v_cvt_u32_f32_e32 v3, s10
	global_store_short v[1:2], v3, off
.LBB111_800:
	s_mov_b64 s[10:11], 0
.LBB111_801:
	s_andn2_b64 vcc, exec, s[10:11]
	s_cbranch_vccnz .LBB111_844
; %bb.802:
	s_lshl_b32 s18, s14, 16
	s_and_b32 s10, s18, 0x7fffffff
	s_cmp_gt_u32 s10, 0x437fffff
	v_mov_b32_e32 v4, 0x80
	s_cbranch_scc1 .LBB111_843
; %bb.803:
	s_and_b32 s17, 0xffff, s14
	s_cmp_gt_u32 s10, 0x3bffffff
	s_cbranch_scc0 .LBB111_838
; %bb.804:
	s_bfe_u32 s10, s17, 0x10004
	s_add_i32 s10, s18, s10
	s_add_i32 s10, s10, 0x487ffff
	s_lshr_b32 s19, s10, 20
	s_mov_b64 s[12:13], 0
	s_mov_b64 s[10:11], -1
	s_branch .LBB111_839
.LBB111_805:
	s_mov_b64 s[10:11], 0
	s_cbranch_execnz .LBB111_910
.LBB111_806:
	s_andn2_b64 vcc, exec, s[10:11]
	s_cbranch_vccnz .LBB111_948
.LBB111_807:
	v_mov_b32_e32 v1, s3
	v_add_co_u32_e32 v0, vcc, s2, v0
	s_cmp_lt_i32 s15, 11
	v_addc_co_u32_e32 v1, vcc, 0, v1, vcc
	s_cbranch_scc1 .LBB111_836
; %bb.808:
	s_and_b32 s12, 0xffff, s15
	s_mov_b64 s[8:9], -1
	s_mov_b64 s[4:5], 0
	s_cmp_gt_i32 s12, 25
	s_mov_b64 s[2:3], 0
	s_cbranch_scc0 .LBB111_860
; %bb.809:
	s_cmp_gt_i32 s12, 28
	s_cbranch_scc0 .LBB111_825
; %bb.810:
	s_cmp_gt_i32 s12, 43
	;; [unrolled: 3-line block ×3, first 2 shown]
	s_cbranch_scc0 .LBB111_815
; %bb.812:
	s_cmp_eq_u32 s12, 46
	s_mov_b64 s[2:3], -1
	s_cbranch_scc0 .LBB111_814
; %bb.813:
	s_and_b32 s2, 0xffff, s14
	v_mov_b32_e32 v2, s2
	global_store_dword v[0:1], v2, off
	s_mov_b64 s[2:3], 0
.LBB111_814:
	s_mov_b64 s[8:9], 0
.LBB111_815:
	s_and_b64 vcc, exec, s[8:9]
	s_cbranch_vccz .LBB111_820
; %bb.816:
	s_cmp_eq_u32 s12, 44
	s_mov_b64 s[2:3], -1
	s_cbranch_scc0 .LBB111_820
; %bb.817:
	s_and_b32 s3, 0xffff, s14
	s_bfe_u32 s2, s3, 0x80007
	s_cmpk_eq_i32 s2, 0xff
	v_mov_b32_e32 v2, 0xff
	s_cbranch_scc1 .LBB111_819
; %bb.818:
	s_lshr_b32 s10, s3, 7
	s_lshl_b32 s11, s3, 16
	s_bitcmp1_b32 s3, 6
	s_cselect_b64 s[8:9], -1, 0
	s_and_b32 s3, s11, 0x3f0000
	s_or_b32 s2, s2, s3
	s_cmp_lg_u32 s2, 0
	s_cselect_b64 s[2:3], -1, 0
	s_and_b64 s[2:3], s[8:9], s[2:3]
	v_cndmask_b32_e64 v2, 0, 1, s[2:3]
	v_add_u32_e32 v2, s10, v2
.LBB111_819:
	s_mov_b64 s[2:3], 0
	global_store_byte v[0:1], v2, off
.LBB111_820:
	s_mov_b64 s[8:9], 0
.LBB111_821:
	s_and_b64 vcc, exec, s[8:9]
	s_cbranch_vccz .LBB111_824
; %bb.822:
	s_cmp_eq_u32 s12, 29
	s_mov_b64 s[2:3], -1
	s_cbranch_scc0 .LBB111_824
; %bb.823:
	s_lshl_b32 s2, s14, 16
	v_trunc_f32_e32 v2, s2
	v_mul_f32_e32 v3, 0x2f800000, v2
	v_floor_f32_e32 v4, v3
	v_fmac_f32_e32 v2, 0xcf800000, v4
	v_cvt_u32_f32_e32 v3, v4
	v_cvt_u32_f32_e32 v2, v2
	s_mov_b64 s[2:3], 0
	global_store_dwordx2 v[0:1], v[2:3], off
.LBB111_824:
	s_mov_b64 s[8:9], 0
.LBB111_825:
	s_and_b64 vcc, exec, s[8:9]
	s_cbranch_vccz .LBB111_859
; %bb.826:
	s_cmp_lt_i32 s12, 27
	s_mov_b64 s[8:9], -1
	s_cbranch_scc1 .LBB111_832
; %bb.827:
	s_cmp_gt_i32 s12, 27
	s_cbranch_scc0 .LBB111_829
; %bb.828:
	s_lshl_b32 s8, s14, 16
	v_cvt_u32_f32_e32 v2, s8
	s_mov_b64 s[8:9], 0
	global_store_dword v[0:1], v2, off
.LBB111_829:
	s_andn2_b64 vcc, exec, s[8:9]
	s_cbranch_vccnz .LBB111_831
; %bb.830:
	s_lshl_b32 s8, s14, 16
	v_cvt_u32_f32_e32 v2, s8
	global_store_short v[0:1], v2, off
.LBB111_831:
	s_mov_b64 s[8:9], 0
.LBB111_832:
	s_andn2_b64 vcc, exec, s[8:9]
	s_cbranch_vccnz .LBB111_859
; %bb.833:
	s_lshl_b32 s16, s14, 16
	s_and_b32 s8, s16, 0x7fffffff
	s_cmp_gt_u32 s8, 0x437fffff
	v_mov_b32_e32 v3, 0x80
	s_cbranch_scc1 .LBB111_858
; %bb.834:
	s_and_b32 s13, 0xffff, s14
	s_cmp_gt_u32 s8, 0x3bffffff
	s_cbranch_scc0 .LBB111_853
; %bb.835:
	s_bfe_u32 s8, s13, 0x10004
	s_add_i32 s8, s16, s8
	s_add_i32 s8, s8, 0x487ffff
	s_lshr_b32 s17, s8, 20
	s_mov_b64 s[10:11], 0
	s_mov_b64 s[8:9], -1
	s_branch .LBB111_854
.LBB111_836:
	s_mov_b64 s[4:5], 0
	s_mov_b64 s[2:3], -1
	s_branch .LBB111_949
.LBB111_837:
	s_trap 2
	s_or_b64 s[0:1], s[0:1], exec
	s_cbranch_execz .LBB111_737
	s_branch .LBB111_738
.LBB111_838:
	s_mov_b64 s[12:13], -1
	s_mov_b64 s[10:11], 0
                                        ; implicit-def: $sgpr19
.LBB111_839:
	s_andn2_b64 vcc, exec, s[12:13]
	v_mov_b32_e32 v3, s19
	s_cbranch_vccnz .LBB111_841
; %bb.840:
	v_mov_b32_e32 v3, 0x46000000
	v_add_f32_e64 v3, |s18|, v3
	v_and_b32_e32 v3, 0xff, v3
	v_cmp_ne_u32_e64 s[10:11], 0, v3
.LBB111_841:
	s_andn2_b64 vcc, exec, s[10:11]
	v_mov_b32_e32 v4, 0
	s_cbranch_vccnz .LBB111_843
; %bb.842:
	s_lshr_b32 s10, s17, 8
	s_and_b32 s10, s10, 0x80
	v_or_b32_e32 v4, s10, v3
.LBB111_843:
	global_store_byte v[1:2], v4, off
.LBB111_844:
	s_mov_b64 s[10:11], -1
.LBB111_845:
	s_mov_b64 s[12:13], 0
.LBB111_846:
	s_and_b64 vcc, exec, s[12:13]
	s_cbranch_vccz .LBB111_906
; %bb.847:
	s_cmp_gt_i32 s16, 22
	s_mov_b64 s[8:9], -1
	s_cbranch_scc0 .LBB111_899
; %bb.848:
	s_cmp_lt_i32 s16, 24
	s_cbranch_scc1 .LBB111_886
; %bb.849:
	s_cmp_gt_i32 s16, 24
	s_cbranch_scc0 .LBB111_873
; %bb.850:
	s_lshl_b32 s13, s14, 16
	s_and_b32 s8, s13, 0x7fffffff
	s_cmp_gt_u32 s8, 0x477fffff
	v_mov_b32_e32 v4, 0x80
	s_cbranch_scc1 .LBB111_872
; %bb.851:
	s_and_b32 s12, 0xffff, s14
	s_cmp_gt_u32 s8, 0x37ffffff
	s_cbranch_scc0 .LBB111_867
; %bb.852:
	s_bfe_u32 s8, s12, 0x10005
	s_add_i32 s8, s13, s8
	s_add_i32 s8, s8, 0x88fffff
	s_lshr_b32 s17, s8, 21
	s_mov_b64 s[10:11], 0
	s_mov_b64 s[8:9], -1
	s_branch .LBB111_868
.LBB111_853:
	s_mov_b64 s[10:11], -1
	s_mov_b64 s[8:9], 0
                                        ; implicit-def: $sgpr17
.LBB111_854:
	s_andn2_b64 vcc, exec, s[10:11]
	v_mov_b32_e32 v2, s17
	s_cbranch_vccnz .LBB111_856
; %bb.855:
	v_mov_b32_e32 v2, 0x46000000
	v_add_f32_e64 v2, |s16|, v2
	v_and_b32_e32 v2, 0xff, v2
	v_cmp_ne_u32_e64 s[8:9], 0, v2
.LBB111_856:
	s_andn2_b64 vcc, exec, s[8:9]
	v_mov_b32_e32 v3, 0
	s_cbranch_vccnz .LBB111_858
; %bb.857:
	s_lshr_b32 s8, s13, 8
	s_and_b32 s8, s8, 0x80
	v_or_b32_e32 v3, s8, v2
.LBB111_858:
	global_store_byte v[0:1], v3, off
.LBB111_859:
	s_mov_b64 s[8:9], 0
.LBB111_860:
	s_and_b64 vcc, exec, s[8:9]
	s_cbranch_vccz .LBB111_1033
; %bb.861:
	s_cmp_gt_i32 s12, 22
	s_mov_b64 s[4:5], -1
	s_cbranch_scc0 .LBB111_1026
; %bb.862:
	s_cmp_lt_i32 s12, 24
	s_cbranch_scc1 .LBB111_1013
; %bb.863:
	s_cmp_gt_i32 s12, 24
	s_cbranch_scc0 .LBB111_1000
; %bb.864:
	s_lshl_b32 s11, s14, 16
	s_and_b32 s4, s11, 0x7fffffff
	s_cmp_gt_u32 s4, 0x477fffff
	v_mov_b32_e32 v3, 0x80
	s_cbranch_scc1 .LBB111_999
; %bb.865:
	s_and_b32 s10, 0xffff, s14
	s_cmp_gt_u32 s4, 0x37ffffff
	s_cbranch_scc0 .LBB111_994
; %bb.866:
	s_bfe_u32 s4, s10, 0x10005
	s_add_i32 s4, s11, s4
	s_add_i32 s4, s4, 0x88fffff
	s_lshr_b32 s13, s4, 21
	s_mov_b64 s[8:9], 0
	s_mov_b64 s[4:5], -1
	s_branch .LBB111_995
.LBB111_867:
	s_mov_b64 s[10:11], -1
	s_mov_b64 s[8:9], 0
                                        ; implicit-def: $sgpr17
.LBB111_868:
	s_andn2_b64 vcc, exec, s[10:11]
	v_mov_b32_e32 v3, s17
	s_cbranch_vccnz .LBB111_870
; %bb.869:
	v_mov_b32_e32 v3, 0x42800000
	v_add_f32_e64 v3, |s13|, v3
	v_and_b32_e32 v3, 0xff, v3
	v_cmp_ne_u32_e64 s[8:9], 0, v3
.LBB111_870:
	s_andn2_b64 vcc, exec, s[8:9]
	v_mov_b32_e32 v4, 0
	s_cbranch_vccnz .LBB111_872
; %bb.871:
	s_lshr_b32 s8, s12, 8
	s_and_b32 s8, s8, 0x80
	v_or_b32_e32 v4, s8, v3
.LBB111_872:
	s_mov_b64 s[8:9], 0
	global_store_byte v[1:2], v4, off
.LBB111_873:
	s_and_b64 vcc, exec, s[8:9]
	s_cbranch_vccz .LBB111_885
; %bb.874:
	s_lshl_b32 s12, s14, 16
	s_and_b32 s10, 0xffff, s14
	s_and_b32 s11, s12, 0x7fffffff
	s_cmp_lt_u32 s11, 0x43f00000
	s_cbranch_scc0 .LBB111_877
; %bb.875:
	s_cmp_gt_u32 s11, 0x3c7fffff
	s_cbranch_scc0 .LBB111_878
; %bb.876:
	s_bfe_u32 s8, s10, 0x10004
	s_add_i32 s8, s12, s8
	s_add_i32 s8, s8, 0x407ffff
	s_lshr_b32 s9, s8, 20
	s_and_b32 s8, s8, 0xff00000
	s_cmp_lg_u32 s8, 0x7f00000
	s_cselect_b32 s13, s9, 0x7e
	s_mov_b64 s[8:9], 0
	s_branch .LBB111_879
.LBB111_877:
	s_mov_b64 s[8:9], -1
                                        ; implicit-def: $vgpr3
	s_branch .LBB111_882
.LBB111_878:
	s_mov_b64 s[8:9], -1
                                        ; implicit-def: $sgpr13
.LBB111_879:
	s_andn2_b64 vcc, exec, s[8:9]
	v_mov_b32_e32 v3, s13
	s_cbranch_vccnz .LBB111_881
; %bb.880:
	v_mov_b32_e32 v3, 0x46800000
	v_add_f32_e64 v3, |s12|, v3
.LBB111_881:
	s_mov_b64 s[8:9], 0
.LBB111_882:
	s_andn2_b64 vcc, exec, s[8:9]
	s_cbranch_vccnz .LBB111_884
; %bb.883:
	s_cmp_gt_u32 s11, 0x7f800000
	s_movk_i32 s8, 0x7f
	s_cselect_b32 s8, s8, 0x7e
	v_mov_b32_e32 v3, s8
.LBB111_884:
	s_lshr_b32 s8, s10, 8
	s_and_b32 s8, s8, 0x80
	v_or_b32_e32 v3, s8, v3
	global_store_byte v[1:2], v3, off
.LBB111_885:
	s_mov_b64 s[8:9], 0
.LBB111_886:
	s_andn2_b64 vcc, exec, s[8:9]
	s_cbranch_vccnz .LBB111_898
; %bb.887:
	s_lshl_b32 s12, s14, 16
	s_and_b32 s10, 0xffff, s14
	s_and_b32 s11, s12, 0x7fffffff
	s_cmp_lt_u32 s11, 0x47800000
	s_cbranch_scc0 .LBB111_890
; %bb.888:
	s_cmp_gt_u32 s11, 0x387fffff
	s_cbranch_scc0 .LBB111_891
; %bb.889:
	s_bfe_u32 s8, s10, 0x10005
	s_add_i32 s8, s12, s8
	s_add_i32 s8, s8, 0x80fffff
	s_lshr_b32 s13, s8, 21
	s_mov_b64 s[8:9], 0
	s_branch .LBB111_892
.LBB111_890:
	s_mov_b64 s[8:9], -1
                                        ; implicit-def: $vgpr3
	s_branch .LBB111_895
.LBB111_891:
	s_mov_b64 s[8:9], -1
                                        ; implicit-def: $sgpr13
.LBB111_892:
	s_andn2_b64 vcc, exec, s[8:9]
	v_mov_b32_e32 v3, s13
	s_cbranch_vccnz .LBB111_894
; %bb.893:
	v_mov_b32_e32 v3, 0x43000000
	v_add_f32_e64 v3, |s12|, v3
.LBB111_894:
	s_mov_b64 s[8:9], 0
.LBB111_895:
	s_andn2_b64 vcc, exec, s[8:9]
	s_cbranch_vccnz .LBB111_897
; %bb.896:
	s_cmp_gt_u32 s11, 0x7f800000
	s_movk_i32 s8, 0x7f
	s_cselect_b32 s8, s8, 0x7c
	v_mov_b32_e32 v3, s8
.LBB111_897:
	s_lshr_b32 s8, s10, 8
	s_and_b32 s8, s8, 0x80
	v_or_b32_e32 v3, s8, v3
	global_store_byte v[1:2], v3, off
.LBB111_898:
	s_mov_b64 s[8:9], 0
	s_mov_b64 s[10:11], -1
.LBB111_899:
	s_andn2_b64 vcc, exec, s[8:9]
	s_mov_b64 s[8:9], 0
	s_cbranch_vccnz .LBB111_906
; %bb.900:
	s_cmp_gt_i32 s16, 14
	s_mov_b64 s[12:13], -1
	s_cbranch_scc0 .LBB111_904
; %bb.901:
	s_cmp_eq_u32 s16, 15
	s_mov_b64 s[4:5], -1
	s_cbranch_scc0 .LBB111_903
; %bb.902:
	v_mov_b32_e32 v3, s14
	global_store_short v[1:2], v3, off
	s_mov_b64 s[4:5], 0
	s_mov_b64 s[10:11], -1
.LBB111_903:
	s_mov_b64 s[12:13], 0
.LBB111_904:
	s_and_b64 vcc, exec, s[12:13]
	s_cbranch_vccz .LBB111_906
; %bb.905:
	s_cmp_lg_u32 s16, 11
	s_mov_b64 s[8:9], -1
	s_cselect_b64 s[4:5], -1, 0
.LBB111_906:
	s_and_b64 vcc, exec, s[4:5]
	s_cbranch_vccnz .LBB111_993
; %bb.907:
	s_andn2_b64 vcc, exec, s[8:9]
	s_cbranch_vccnz .LBB111_909
.LBB111_908:
	s_and_b32 s4, s14, 0x7fff
	s_cmp_lg_u32 s4, 0
	s_cselect_b64 s[4:5], -1, 0
	v_cndmask_b32_e64 v3, 0, 1, s[4:5]
	s_mov_b64 s[10:11], -1
	global_store_byte v[1:2], v3, off
.LBB111_909:
	s_branch .LBB111_806
.LBB111_910:
	s_and_b32 s8, 0xffff, s15
	s_cmp_lt_i32 s8, 5
	s_mov_b64 s[4:5], -1
	s_cbranch_scc1 .LBB111_931
; %bb.911:
	s_cmp_lt_i32 s8, 8
	s_cbranch_scc1 .LBB111_921
; %bb.912:
	s_cmp_lt_i32 s8, 9
	s_cbranch_scc1 .LBB111_918
; %bb.913:
	s_cmp_gt_i32 s8, 9
	s_cbranch_scc0 .LBB111_915
; %bb.914:
	s_lshl_b32 s4, s14, 16
	v_cvt_f64_f32_e32 v[3:4], s4
	v_mov_b32_e32 v5, 0
	v_mov_b32_e32 v6, v5
	s_mov_b64 s[4:5], 0
	global_store_dwordx4 v[1:2], v[3:6], off
.LBB111_915:
	s_andn2_b64 vcc, exec, s[4:5]
	s_cbranch_vccnz .LBB111_917
; %bb.916:
	s_lshl_b32 s4, s14, 16
	v_mov_b32_e32 v3, s4
	v_mov_b32_e32 v4, 0
	global_store_dwordx2 v[1:2], v[3:4], off
.LBB111_917:
	s_mov_b64 s[4:5], 0
.LBB111_918:
	s_andn2_b64 vcc, exec, s[4:5]
	s_cbranch_vccnz .LBB111_920
; %bb.919:
	s_lshl_b32 s4, s14, 16
	v_cvt_f16_f32_e32 v3, s4
	global_store_dword v[1:2], v3, off
.LBB111_920:
	s_mov_b64 s[4:5], 0
.LBB111_921:
	s_andn2_b64 vcc, exec, s[4:5]
	s_cbranch_vccnz .LBB111_930
; %bb.922:
	s_cmp_lt_i32 s8, 6
	s_mov_b64 s[4:5], -1
	s_cbranch_scc1 .LBB111_928
; %bb.923:
	s_cmp_gt_i32 s8, 6
	s_cbranch_scc0 .LBB111_925
; %bb.924:
	s_lshl_b32 s4, s14, 16
	v_cvt_f64_f32_e32 v[3:4], s4
	s_mov_b64 s[4:5], 0
	global_store_dwordx2 v[1:2], v[3:4], off
.LBB111_925:
	s_andn2_b64 vcc, exec, s[4:5]
	s_cbranch_vccnz .LBB111_927
; %bb.926:
	s_lshl_b32 s4, s14, 16
	v_mov_b32_e32 v3, s4
	global_store_dword v[1:2], v3, off
.LBB111_927:
	s_mov_b64 s[4:5], 0
.LBB111_928:
	s_andn2_b64 vcc, exec, s[4:5]
	s_cbranch_vccnz .LBB111_930
; %bb.929:
	s_lshl_b32 s4, s14, 16
	v_cvt_f16_f32_e32 v3, s4
	global_store_short v[1:2], v3, off
.LBB111_930:
	s_mov_b64 s[4:5], 0
.LBB111_931:
	s_andn2_b64 vcc, exec, s[4:5]
	s_cbranch_vccnz .LBB111_947
; %bb.932:
	s_cmp_lt_i32 s8, 2
	s_mov_b64 s[4:5], -1
	s_cbranch_scc1 .LBB111_942
; %bb.933:
	s_cmp_lt_i32 s8, 3
	s_cbranch_scc1 .LBB111_939
; %bb.934:
	s_cmp_gt_i32 s8, 3
	s_cbranch_scc0 .LBB111_936
; %bb.935:
	s_lshl_b32 s4, s14, 16
	v_trunc_f32_e32 v3, s4
	s_mov_b32 s4, 0x2f800000
	v_mul_f32_e64 v4, |v3|, s4
	v_floor_f32_e32 v4, v4
	s_mov_b32 s4, 0xcf800000
	v_fma_f32 v5, v4, s4, |v3|
	v_cvt_u32_f32_e32 v5, v5
	v_cvt_u32_f32_e32 v4, v4
	v_ashrrev_i32_e32 v6, 31, v3
	s_mov_b64 s[4:5], 0
	v_xor_b32_e32 v3, v5, v6
	v_xor_b32_e32 v4, v4, v6
	v_sub_co_u32_e32 v3, vcc, v3, v6
	v_subb_co_u32_e32 v4, vcc, v4, v6, vcc
	global_store_dwordx2 v[1:2], v[3:4], off
.LBB111_936:
	s_andn2_b64 vcc, exec, s[4:5]
	s_cbranch_vccnz .LBB111_938
; %bb.937:
	s_lshl_b32 s4, s14, 16
	v_cvt_i32_f32_e32 v3, s4
	global_store_dword v[1:2], v3, off
.LBB111_938:
	s_mov_b64 s[4:5], 0
.LBB111_939:
	s_andn2_b64 vcc, exec, s[4:5]
	s_cbranch_vccnz .LBB111_941
; %bb.940:
	s_lshl_b32 s4, s14, 16
	v_cvt_i32_f32_e32 v3, s4
	global_store_short v[1:2], v3, off
.LBB111_941:
	s_mov_b64 s[4:5], 0
.LBB111_942:
	s_andn2_b64 vcc, exec, s[4:5]
	s_cbranch_vccnz .LBB111_947
; %bb.943:
	s_cmp_gt_i32 s8, 0
	s_mov_b64 s[4:5], -1
	s_cbranch_scc0 .LBB111_945
; %bb.944:
	s_lshl_b32 s4, s14, 16
	v_cvt_i32_f32_e32 v3, s4
	s_mov_b64 s[4:5], 0
	global_store_byte v[1:2], v3, off
.LBB111_945:
	s_andn2_b64 vcc, exec, s[4:5]
	s_cbranch_vccnz .LBB111_947
; %bb.946:
	s_lshl_b32 s4, s14, 16
	v_trunc_f32_e32 v3, s4
	s_mov_b32 s4, 0x2f800000
	v_mul_f32_e64 v4, |v3|, s4
	v_floor_f32_e32 v4, v4
	s_mov_b32 s4, 0xcf800000
	v_fma_f32 v4, v4, s4, |v3|
	v_cvt_u32_f32_e32 v4, v4
	v_ashrrev_i32_e32 v3, 31, v3
	v_xor_b32_e32 v4, v4, v3
	v_sub_u32_e32 v3, v4, v3
	global_store_byte v[1:2], v3, off
.LBB111_947:
	s_branch .LBB111_807
.LBB111_948:
	s_mov_b64 s[2:3], 0
	s_mov_b64 s[4:5], 0
                                        ; implicit-def: $sgpr15
                                        ; implicit-def: $vgpr0_vgpr1
.LBB111_949:
	s_and_b64 s[8:9], s[2:3], exec
	s_and_b64 s[2:3], s[4:5], exec
	s_andn2_b64 s[4:5], s[6:7], exec
	s_and_b64 s[0:1], s[0:1], exec
	s_or_b64 s[6:7], s[4:5], s[0:1]
.LBB111_950:
	s_or_b64 exec, exec, s[24:25]
	s_and_saveexec_b64 s[0:1], s[6:7]
	s_cbranch_execz .LBB111_953
; %bb.951:
	; divergent unreachable
	s_or_b64 exec, exec, s[0:1]
	s_and_saveexec_b64 s[0:1], s[2:3]
	s_xor_b64 s[0:1], exec, s[0:1]
	s_cbranch_execnz .LBB111_954
.LBB111_952:
	s_or_b64 exec, exec, s[0:1]
	s_and_saveexec_b64 s[0:1], s[8:9]
	s_cbranch_execnz .LBB111_955
	s_branch .LBB111_992
.LBB111_953:
	s_or_b64 exec, exec, s[0:1]
	s_and_saveexec_b64 s[0:1], s[2:3]
	s_xor_b64 s[0:1], exec, s[0:1]
	s_cbranch_execz .LBB111_952
.LBB111_954:
	s_and_b32 s2, s14, 0x7fff
	s_cmp_lg_u32 s2, 0
	s_cselect_b64 s[2:3], -1, 0
	v_cndmask_b32_e64 v2, 0, 1, s[2:3]
	global_store_byte v[0:1], v2, off
	s_or_b64 exec, exec, s[0:1]
	s_and_saveexec_b64 s[0:1], s[8:9]
	s_cbranch_execz .LBB111_992
.LBB111_955:
	s_sext_i32_i16 s2, s15
	s_cmp_lt_i32 s2, 5
	s_mov_b64 s[0:1], -1
	s_cbranch_scc1 .LBB111_976
; %bb.956:
	s_cmp_lt_i32 s2, 8
	s_cbranch_scc1 .LBB111_966
; %bb.957:
	s_cmp_lt_i32 s2, 9
	s_cbranch_scc1 .LBB111_963
; %bb.958:
	s_cmp_gt_i32 s2, 9
	s_cbranch_scc0 .LBB111_960
; %bb.959:
	s_lshl_b32 s0, s14, 16
	v_cvt_f64_f32_e32 v[2:3], s0
	v_mov_b32_e32 v4, 0
	v_mov_b32_e32 v5, v4
	s_mov_b64 s[0:1], 0
	global_store_dwordx4 v[0:1], v[2:5], off
.LBB111_960:
	s_andn2_b64 vcc, exec, s[0:1]
	s_cbranch_vccnz .LBB111_962
; %bb.961:
	s_lshl_b32 s0, s14, 16
	v_mov_b32_e32 v2, s0
	v_mov_b32_e32 v3, 0
	global_store_dwordx2 v[0:1], v[2:3], off
.LBB111_962:
	s_mov_b64 s[0:1], 0
.LBB111_963:
	s_andn2_b64 vcc, exec, s[0:1]
	s_cbranch_vccnz .LBB111_965
; %bb.964:
	s_lshl_b32 s0, s14, 16
	v_cvt_f16_f32_e32 v2, s0
	global_store_dword v[0:1], v2, off
.LBB111_965:
	s_mov_b64 s[0:1], 0
.LBB111_966:
	s_andn2_b64 vcc, exec, s[0:1]
	s_cbranch_vccnz .LBB111_975
; %bb.967:
	s_sext_i32_i16 s2, s15
	s_cmp_lt_i32 s2, 6
	s_mov_b64 s[0:1], -1
	s_cbranch_scc1 .LBB111_973
; %bb.968:
	s_cmp_gt_i32 s2, 6
	s_cbranch_scc0 .LBB111_970
; %bb.969:
	s_lshl_b32 s0, s14, 16
	v_cvt_f64_f32_e32 v[2:3], s0
	s_mov_b64 s[0:1], 0
	global_store_dwordx2 v[0:1], v[2:3], off
.LBB111_970:
	s_andn2_b64 vcc, exec, s[0:1]
	s_cbranch_vccnz .LBB111_972
; %bb.971:
	s_lshl_b32 s0, s14, 16
	v_mov_b32_e32 v2, s0
	global_store_dword v[0:1], v2, off
.LBB111_972:
	s_mov_b64 s[0:1], 0
.LBB111_973:
	s_andn2_b64 vcc, exec, s[0:1]
	s_cbranch_vccnz .LBB111_975
; %bb.974:
	s_lshl_b32 s0, s14, 16
	v_cvt_f16_f32_e32 v2, s0
	global_store_short v[0:1], v2, off
.LBB111_975:
	s_mov_b64 s[0:1], 0
.LBB111_976:
	s_andn2_b64 vcc, exec, s[0:1]
	s_cbranch_vccnz .LBB111_992
; %bb.977:
	s_sext_i32_i16 s2, s15
	s_cmp_lt_i32 s2, 2
	s_mov_b64 s[0:1], -1
	s_cbranch_scc1 .LBB111_987
; %bb.978:
	s_cmp_lt_i32 s2, 3
	s_cbranch_scc1 .LBB111_984
; %bb.979:
	s_cmp_gt_i32 s2, 3
	s_cbranch_scc0 .LBB111_981
; %bb.980:
	s_lshl_b32 s0, s14, 16
	v_trunc_f32_e32 v2, s0
	s_mov_b32 s0, 0x2f800000
	v_mul_f32_e64 v3, |v2|, s0
	v_floor_f32_e32 v3, v3
	s_mov_b32 s0, 0xcf800000
	v_fma_f32 v4, v3, s0, |v2|
	v_cvt_u32_f32_e32 v4, v4
	v_cvt_u32_f32_e32 v3, v3
	v_ashrrev_i32_e32 v5, 31, v2
	s_mov_b64 s[0:1], 0
	v_xor_b32_e32 v2, v4, v5
	v_xor_b32_e32 v3, v3, v5
	v_sub_co_u32_e32 v2, vcc, v2, v5
	v_subb_co_u32_e32 v3, vcc, v3, v5, vcc
	global_store_dwordx2 v[0:1], v[2:3], off
.LBB111_981:
	s_andn2_b64 vcc, exec, s[0:1]
	s_cbranch_vccnz .LBB111_983
; %bb.982:
	s_lshl_b32 s0, s14, 16
	v_cvt_i32_f32_e32 v2, s0
	global_store_dword v[0:1], v2, off
.LBB111_983:
	s_mov_b64 s[0:1], 0
.LBB111_984:
	s_andn2_b64 vcc, exec, s[0:1]
	s_cbranch_vccnz .LBB111_986
; %bb.985:
	s_lshl_b32 s0, s14, 16
	v_cvt_i32_f32_e32 v2, s0
	global_store_short v[0:1], v2, off
.LBB111_986:
	s_mov_b64 s[0:1], 0
.LBB111_987:
	s_andn2_b64 vcc, exec, s[0:1]
	s_cbranch_vccnz .LBB111_992
; %bb.988:
	s_sext_i32_i16 s0, s15
	s_cmp_gt_i32 s0, 0
	s_mov_b64 s[0:1], -1
	s_cbranch_scc0 .LBB111_990
; %bb.989:
	s_lshl_b32 s0, s14, 16
	v_cvt_i32_f32_e32 v2, s0
	s_mov_b64 s[0:1], 0
	global_store_byte v[0:1], v2, off
.LBB111_990:
	s_andn2_b64 vcc, exec, s[0:1]
	s_cbranch_vccnz .LBB111_992
; %bb.991:
	s_lshl_b32 s0, s14, 16
	v_trunc_f32_e32 v2, s0
	s_mov_b32 s0, 0x2f800000
	v_mul_f32_e64 v3, |v2|, s0
	v_floor_f32_e32 v3, v3
	s_mov_b32 s0, 0xcf800000
	v_fma_f32 v3, v3, s0, |v2|
	v_cvt_u32_f32_e32 v3, v3
	v_ashrrev_i32_e32 v2, 31, v2
	v_xor_b32_e32 v3, v3, v2
	v_sub_u32_e32 v2, v3, v2
	global_store_byte v[0:1], v2, off
	s_endpgm
.LBB111_992:
	s_endpgm
.LBB111_993:
	s_trap 2
	s_or_b64 s[0:1], s[0:1], exec
	s_cbranch_execz .LBB111_908
	s_branch .LBB111_909
.LBB111_994:
	s_mov_b64 s[8:9], -1
	s_mov_b64 s[4:5], 0
                                        ; implicit-def: $sgpr13
.LBB111_995:
	s_andn2_b64 vcc, exec, s[8:9]
	v_mov_b32_e32 v2, s13
	s_cbranch_vccnz .LBB111_997
; %bb.996:
	v_mov_b32_e32 v2, 0x42800000
	v_add_f32_e64 v2, |s11|, v2
	v_and_b32_e32 v2, 0xff, v2
	v_cmp_ne_u32_e64 s[4:5], 0, v2
.LBB111_997:
	s_andn2_b64 vcc, exec, s[4:5]
	v_mov_b32_e32 v3, 0
	s_cbranch_vccnz .LBB111_999
; %bb.998:
	s_lshr_b32 s4, s10, 8
	s_and_b32 s4, s4, 0x80
	v_or_b32_e32 v3, s4, v2
.LBB111_999:
	s_mov_b64 s[4:5], 0
	global_store_byte v[0:1], v3, off
.LBB111_1000:
	s_and_b64 vcc, exec, s[4:5]
	s_cbranch_vccz .LBB111_1012
; %bb.1001:
	s_lshl_b32 s10, s14, 16
	s_and_b32 s8, 0xffff, s14
	s_and_b32 s9, s10, 0x7fffffff
	s_cmp_lt_u32 s9, 0x43f00000
	s_cbranch_scc0 .LBB111_1004
; %bb.1002:
	s_cmp_gt_u32 s9, 0x3c7fffff
	s_cbranch_scc0 .LBB111_1005
; %bb.1003:
	s_bfe_u32 s4, s8, 0x10004
	s_add_i32 s4, s10, s4
	s_add_i32 s4, s4, 0x407ffff
	s_lshr_b32 s5, s4, 20
	s_and_b32 s4, s4, 0xff00000
	s_cmp_lg_u32 s4, 0x7f00000
	s_cselect_b32 s11, s5, 0x7e
	s_mov_b64 s[4:5], 0
	s_branch .LBB111_1006
.LBB111_1004:
	s_mov_b64 s[4:5], -1
                                        ; implicit-def: $vgpr2
	s_branch .LBB111_1009
.LBB111_1005:
	s_mov_b64 s[4:5], -1
                                        ; implicit-def: $sgpr11
.LBB111_1006:
	s_andn2_b64 vcc, exec, s[4:5]
	v_mov_b32_e32 v2, s11
	s_cbranch_vccnz .LBB111_1008
; %bb.1007:
	v_mov_b32_e32 v2, 0x46800000
	v_add_f32_e64 v2, |s10|, v2
.LBB111_1008:
	s_mov_b64 s[4:5], 0
.LBB111_1009:
	s_andn2_b64 vcc, exec, s[4:5]
	s_cbranch_vccnz .LBB111_1011
; %bb.1010:
	s_cmp_gt_u32 s9, 0x7f800000
	s_movk_i32 s4, 0x7f
	s_cselect_b32 s4, s4, 0x7e
	v_mov_b32_e32 v2, s4
.LBB111_1011:
	s_lshr_b32 s4, s8, 8
	s_and_b32 s4, s4, 0x80
	v_or_b32_e32 v2, s4, v2
	global_store_byte v[0:1], v2, off
.LBB111_1012:
	s_mov_b64 s[4:5], 0
.LBB111_1013:
	s_andn2_b64 vcc, exec, s[4:5]
	s_cbranch_vccnz .LBB111_1025
; %bb.1014:
	s_lshl_b32 s10, s14, 16
	s_and_b32 s8, 0xffff, s14
	s_and_b32 s9, s10, 0x7fffffff
	s_cmp_lt_u32 s9, 0x47800000
	s_cbranch_scc0 .LBB111_1017
; %bb.1015:
	s_cmp_gt_u32 s9, 0x387fffff
	s_cbranch_scc0 .LBB111_1018
; %bb.1016:
	s_bfe_u32 s4, s8, 0x10005
	s_add_i32 s4, s10, s4
	s_add_i32 s4, s4, 0x80fffff
	s_lshr_b32 s11, s4, 21
	s_mov_b64 s[4:5], 0
	s_branch .LBB111_1019
.LBB111_1017:
	s_mov_b64 s[4:5], -1
                                        ; implicit-def: $vgpr2
	s_branch .LBB111_1022
.LBB111_1018:
	s_mov_b64 s[4:5], -1
                                        ; implicit-def: $sgpr11
.LBB111_1019:
	s_andn2_b64 vcc, exec, s[4:5]
	v_mov_b32_e32 v2, s11
	s_cbranch_vccnz .LBB111_1021
; %bb.1020:
	v_mov_b32_e32 v2, 0x43000000
	v_add_f32_e64 v2, |s10|, v2
.LBB111_1021:
	s_mov_b64 s[4:5], 0
.LBB111_1022:
	s_andn2_b64 vcc, exec, s[4:5]
	s_cbranch_vccnz .LBB111_1024
; %bb.1023:
	s_cmp_gt_u32 s9, 0x7f800000
	s_movk_i32 s4, 0x7f
	s_cselect_b32 s4, s4, 0x7c
	v_mov_b32_e32 v2, s4
.LBB111_1024:
	s_lshr_b32 s4, s8, 8
	s_and_b32 s4, s4, 0x80
	v_or_b32_e32 v2, s4, v2
	global_store_byte v[0:1], v2, off
.LBB111_1025:
	s_mov_b64 s[4:5], 0
.LBB111_1026:
	s_andn2_b64 vcc, exec, s[4:5]
	s_mov_b64 s[4:5], 0
	s_cbranch_vccnz .LBB111_1033
; %bb.1027:
	s_cmp_gt_i32 s12, 14
	s_mov_b64 s[8:9], -1
	s_cbranch_scc0 .LBB111_1031
; %bb.1028:
	s_cmp_eq_u32 s12, 15
	s_mov_b64 s[2:3], -1
	s_cbranch_scc0 .LBB111_1030
; %bb.1029:
	v_mov_b32_e32 v2, s14
	global_store_short v[0:1], v2, off
	s_mov_b64 s[2:3], 0
.LBB111_1030:
	s_mov_b64 s[8:9], 0
.LBB111_1031:
	s_and_b64 vcc, exec, s[8:9]
	s_cbranch_vccz .LBB111_1033
; %bb.1032:
	s_cmp_lg_u32 s12, 11
	s_mov_b64 s[4:5], -1
	s_cselect_b64 s[2:3], -1, 0
.LBB111_1033:
	s_and_b64 vcc, exec, s[2:3]
	s_cbranch_vccnz .LBB111_1035
.LBB111_1034:
	s_mov_b64 s[2:3], 0
	s_branch .LBB111_949
.LBB111_1035:
	s_mov_b64 s[4:5], 0
	s_or_b64 s[0:1], s[0:1], exec
	s_trap 2
	s_branch .LBB111_1034
	.section	.rodata,"a",@progbits
	.p2align	6, 0x0
	.amdhsa_kernel _ZN2at6native32elementwise_kernel_manual_unrollILi128ELi4EZNS0_15gpu_kernel_implINS0_11FillFunctorIN3c108BFloat16EEEEEvRNS_18TensorIteratorBaseERKT_EUlibE0_EEviT1_
		.amdhsa_group_segment_fixed_size 0
		.amdhsa_private_segment_fixed_size 0
		.amdhsa_kernarg_size 288
		.amdhsa_user_sgpr_count 6
		.amdhsa_user_sgpr_private_segment_buffer 1
		.amdhsa_user_sgpr_dispatch_ptr 0
		.amdhsa_user_sgpr_queue_ptr 0
		.amdhsa_user_sgpr_kernarg_segment_ptr 1
		.amdhsa_user_sgpr_dispatch_id 0
		.amdhsa_user_sgpr_flat_scratch_init 0
		.amdhsa_user_sgpr_private_segment_size 0
		.amdhsa_uses_dynamic_stack 0
		.amdhsa_system_sgpr_private_segment_wavefront_offset 0
		.amdhsa_system_sgpr_workgroup_id_x 1
		.amdhsa_system_sgpr_workgroup_id_y 0
		.amdhsa_system_sgpr_workgroup_id_z 0
		.amdhsa_system_sgpr_workgroup_info 0
		.amdhsa_system_vgpr_workitem_id 0
		.amdhsa_next_free_vgpr 21
		.amdhsa_next_free_sgpr 96
		.amdhsa_reserve_vcc 1
		.amdhsa_reserve_flat_scratch 0
		.amdhsa_float_round_mode_32 0
		.amdhsa_float_round_mode_16_64 0
		.amdhsa_float_denorm_mode_32 3
		.amdhsa_float_denorm_mode_16_64 3
		.amdhsa_dx10_clamp 1
		.amdhsa_ieee_mode 1
		.amdhsa_fp16_overflow 0
		.amdhsa_exception_fp_ieee_invalid_op 0
		.amdhsa_exception_fp_denorm_src 0
		.amdhsa_exception_fp_ieee_div_zero 0
		.amdhsa_exception_fp_ieee_overflow 0
		.amdhsa_exception_fp_ieee_underflow 0
		.amdhsa_exception_fp_ieee_inexact 0
		.amdhsa_exception_int_div_zero 0
	.end_amdhsa_kernel
	.section	.text._ZN2at6native32elementwise_kernel_manual_unrollILi128ELi4EZNS0_15gpu_kernel_implINS0_11FillFunctorIN3c108BFloat16EEEEEvRNS_18TensorIteratorBaseERKT_EUlibE0_EEviT1_,"axG",@progbits,_ZN2at6native32elementwise_kernel_manual_unrollILi128ELi4EZNS0_15gpu_kernel_implINS0_11FillFunctorIN3c108BFloat16EEEEEvRNS_18TensorIteratorBaseERKT_EUlibE0_EEviT1_,comdat
.Lfunc_end111:
	.size	_ZN2at6native32elementwise_kernel_manual_unrollILi128ELi4EZNS0_15gpu_kernel_implINS0_11FillFunctorIN3c108BFloat16EEEEEvRNS_18TensorIteratorBaseERKT_EUlibE0_EEviT1_, .Lfunc_end111-_ZN2at6native32elementwise_kernel_manual_unrollILi128ELi4EZNS0_15gpu_kernel_implINS0_11FillFunctorIN3c108BFloat16EEEEEvRNS_18TensorIteratorBaseERKT_EUlibE0_EEviT1_
                                        ; -- End function
	.set _ZN2at6native32elementwise_kernel_manual_unrollILi128ELi4EZNS0_15gpu_kernel_implINS0_11FillFunctorIN3c108BFloat16EEEEEvRNS_18TensorIteratorBaseERKT_EUlibE0_EEviT1_.num_vgpr, 21
	.set _ZN2at6native32elementwise_kernel_manual_unrollILi128ELi4EZNS0_15gpu_kernel_implINS0_11FillFunctorIN3c108BFloat16EEEEEvRNS_18TensorIteratorBaseERKT_EUlibE0_EEviT1_.num_agpr, 0
	.set _ZN2at6native32elementwise_kernel_manual_unrollILi128ELi4EZNS0_15gpu_kernel_implINS0_11FillFunctorIN3c108BFloat16EEEEEvRNS_18TensorIteratorBaseERKT_EUlibE0_EEviT1_.numbered_sgpr, 96
	.set _ZN2at6native32elementwise_kernel_manual_unrollILi128ELi4EZNS0_15gpu_kernel_implINS0_11FillFunctorIN3c108BFloat16EEEEEvRNS_18TensorIteratorBaseERKT_EUlibE0_EEviT1_.num_named_barrier, 0
	.set _ZN2at6native32elementwise_kernel_manual_unrollILi128ELi4EZNS0_15gpu_kernel_implINS0_11FillFunctorIN3c108BFloat16EEEEEvRNS_18TensorIteratorBaseERKT_EUlibE0_EEviT1_.private_seg_size, 0
	.set _ZN2at6native32elementwise_kernel_manual_unrollILi128ELi4EZNS0_15gpu_kernel_implINS0_11FillFunctorIN3c108BFloat16EEEEEvRNS_18TensorIteratorBaseERKT_EUlibE0_EEviT1_.uses_vcc, 1
	.set _ZN2at6native32elementwise_kernel_manual_unrollILi128ELi4EZNS0_15gpu_kernel_implINS0_11FillFunctorIN3c108BFloat16EEEEEvRNS_18TensorIteratorBaseERKT_EUlibE0_EEviT1_.uses_flat_scratch, 0
	.set _ZN2at6native32elementwise_kernel_manual_unrollILi128ELi4EZNS0_15gpu_kernel_implINS0_11FillFunctorIN3c108BFloat16EEEEEvRNS_18TensorIteratorBaseERKT_EUlibE0_EEviT1_.has_dyn_sized_stack, 0
	.set _ZN2at6native32elementwise_kernel_manual_unrollILi128ELi4EZNS0_15gpu_kernel_implINS0_11FillFunctorIN3c108BFloat16EEEEEvRNS_18TensorIteratorBaseERKT_EUlibE0_EEviT1_.has_recursion, 0
	.set _ZN2at6native32elementwise_kernel_manual_unrollILi128ELi4EZNS0_15gpu_kernel_implINS0_11FillFunctorIN3c108BFloat16EEEEEvRNS_18TensorIteratorBaseERKT_EUlibE0_EEviT1_.has_indirect_call, 0
	.section	.AMDGPU.csdata,"",@progbits
; Kernel info:
; codeLenInByte = 18168
; TotalNumSgprs: 100
; NumVgprs: 21
; ScratchSize: 0
; MemoryBound: 0
; FloatMode: 240
; IeeeMode: 1
; LDSByteSize: 0 bytes/workgroup (compile time only)
; SGPRBlocks: 12
; VGPRBlocks: 5
; NumSGPRsForWavesPerEU: 100
; NumVGPRsForWavesPerEU: 21
; Occupancy: 8
; WaveLimiterHint : 1
; COMPUTE_PGM_RSRC2:SCRATCH_EN: 0
; COMPUTE_PGM_RSRC2:USER_SGPR: 6
; COMPUTE_PGM_RSRC2:TRAP_HANDLER: 0
; COMPUTE_PGM_RSRC2:TGID_X_EN: 1
; COMPUTE_PGM_RSRC2:TGID_Y_EN: 0
; COMPUTE_PGM_RSRC2:TGID_Z_EN: 0
; COMPUTE_PGM_RSRC2:TIDIG_COMP_CNT: 0
	.section	.text._ZN2at6native29vectorized_elementwise_kernelILi16ENS0_11FillFunctorIN3c1011Float8_e5m2EEESt5arrayIPcLm1EEEEviT0_T1_,"axG",@progbits,_ZN2at6native29vectorized_elementwise_kernelILi16ENS0_11FillFunctorIN3c1011Float8_e5m2EEESt5arrayIPcLm1EEEEviT0_T1_,comdat
	.protected	_ZN2at6native29vectorized_elementwise_kernelILi16ENS0_11FillFunctorIN3c1011Float8_e5m2EEESt5arrayIPcLm1EEEEviT0_T1_ ; -- Begin function _ZN2at6native29vectorized_elementwise_kernelILi16ENS0_11FillFunctorIN3c1011Float8_e5m2EEESt5arrayIPcLm1EEEEviT0_T1_
	.globl	_ZN2at6native29vectorized_elementwise_kernelILi16ENS0_11FillFunctorIN3c1011Float8_e5m2EEESt5arrayIPcLm1EEEEviT0_T1_
	.p2align	8
	.type	_ZN2at6native29vectorized_elementwise_kernelILi16ENS0_11FillFunctorIN3c1011Float8_e5m2EEESt5arrayIPcLm1EEEEviT0_T1_,@function
_ZN2at6native29vectorized_elementwise_kernelILi16ENS0_11FillFunctorIN3c1011Float8_e5m2EEESt5arrayIPcLm1EEEEviT0_T1_: ; @_ZN2at6native29vectorized_elementwise_kernelILi16ENS0_11FillFunctorIN3c1011Float8_e5m2EEESt5arrayIPcLm1EEEEviT0_T1_
; %bb.0:
	s_load_dwordx4 s[0:3], s[4:5], 0x0
	s_lshl_b32 s6, s6, 12
	s_mov_b64 s[4:5], -1
	s_waitcnt lgkmcnt(0)
	s_sub_i32 s0, s0, s6
	s_cmpk_gt_i32 s0, 0xfff
	s_cbranch_scc0 .LBB112_2
; %bb.1:
	s_ashr_i32 s5, s6, 31
	s_add_u32 s4, s2, s6
	s_addc_u32 s5, s3, s5
	s_lshl_b32 s7, s1, 8
	s_and_b32 s8, s1, 0xff
	s_or_b32 s7, s8, s7
	s_and_b32 s8, s7, 0xffff
	s_lshl_b32 s7, s7, 16
	s_or_b32 s7, s8, s7
	v_lshlrev_b32_e32 v5, 4, v0
	v_mov_b32_e32 v1, s7
	v_mov_b32_e32 v2, s7
	;; [unrolled: 1-line block ×4, first 2 shown]
	global_store_dwordx4 v5, v[1:4], s[4:5]
	s_mov_b64 s[4:5], 0
.LBB112_2:
	s_andn2_b64 vcc, exec, s[4:5]
	s_cbranch_vccnz .LBB112_20
; %bb.3:
	v_cmp_gt_i32_e32 vcc, s0, v0
	s_and_saveexec_b64 s[4:5], vcc
	s_cbranch_execnz .LBB112_21
; %bb.4:
	s_or_b64 exec, exec, s[4:5]
	v_cmp_gt_i32_e32 vcc, s0, v0
	s_and_saveexec_b64 s[4:5], vcc
	s_cbranch_execnz .LBB112_22
.LBB112_5:
	s_or_b64 exec, exec, s[4:5]
	v_cmp_gt_i32_e32 vcc, s0, v0
	s_and_saveexec_b64 s[4:5], vcc
	s_cbranch_execnz .LBB112_23
.LBB112_6:
	s_or_b64 exec, exec, s[4:5]
	v_cmp_gt_i32_e32 vcc, s0, v0
	s_and_saveexec_b64 s[4:5], vcc
	s_cbranch_execnz .LBB112_24
.LBB112_7:
	s_or_b64 exec, exec, s[4:5]
	v_cmp_gt_i32_e32 vcc, s0, v0
	s_and_saveexec_b64 s[4:5], vcc
	s_cbranch_execnz .LBB112_25
.LBB112_8:
	s_or_b64 exec, exec, s[4:5]
	v_cmp_gt_i32_e32 vcc, s0, v0
	s_and_saveexec_b64 s[4:5], vcc
	s_cbranch_execnz .LBB112_26
.LBB112_9:
	s_or_b64 exec, exec, s[4:5]
	v_cmp_gt_i32_e32 vcc, s0, v0
	s_and_saveexec_b64 s[4:5], vcc
	s_cbranch_execnz .LBB112_27
.LBB112_10:
	s_or_b64 exec, exec, s[4:5]
	v_cmp_gt_i32_e32 vcc, s0, v0
	s_and_saveexec_b64 s[4:5], vcc
	s_cbranch_execnz .LBB112_28
.LBB112_11:
	s_or_b64 exec, exec, s[4:5]
	v_cmp_gt_i32_e32 vcc, s0, v0
	s_and_saveexec_b64 s[4:5], vcc
	s_cbranch_execnz .LBB112_29
.LBB112_12:
	s_or_b64 exec, exec, s[4:5]
	v_cmp_gt_i32_e32 vcc, s0, v0
	s_and_saveexec_b64 s[4:5], vcc
	s_cbranch_execnz .LBB112_30
.LBB112_13:
	s_or_b64 exec, exec, s[4:5]
	v_cmp_gt_i32_e32 vcc, s0, v0
	s_and_saveexec_b64 s[4:5], vcc
	s_cbranch_execnz .LBB112_31
.LBB112_14:
	s_or_b64 exec, exec, s[4:5]
	v_cmp_gt_i32_e32 vcc, s0, v0
	s_and_saveexec_b64 s[4:5], vcc
	s_cbranch_execnz .LBB112_32
.LBB112_15:
	s_or_b64 exec, exec, s[4:5]
	v_cmp_gt_i32_e32 vcc, s0, v0
	s_and_saveexec_b64 s[4:5], vcc
	s_cbranch_execnz .LBB112_33
.LBB112_16:
	s_or_b64 exec, exec, s[4:5]
	v_cmp_gt_i32_e32 vcc, s0, v0
	s_and_saveexec_b64 s[4:5], vcc
	s_cbranch_execnz .LBB112_34
.LBB112_17:
	s_or_b64 exec, exec, s[4:5]
	v_cmp_gt_i32_e32 vcc, s0, v0
	s_and_saveexec_b64 s[4:5], vcc
	s_cbranch_execnz .LBB112_35
.LBB112_18:
	s_or_b64 exec, exec, s[4:5]
	v_cmp_gt_i32_e32 vcc, s0, v0
	s_and_saveexec_b64 s[4:5], vcc
	s_cbranch_execz .LBB112_20
.LBB112_19:
	v_add_u32_e32 v0, s6, v0
	v_mov_b32_e32 v1, s1
	global_store_byte v0, v1, s[2:3]
.LBB112_20:
	s_endpgm
.LBB112_21:
	v_or_b32_e32 v1, 0x100, v0
	v_or_b32_e32 v0, s6, v0
	v_mov_b32_e32 v2, s1
	global_store_byte v0, v2, s[2:3]
	v_mov_b32_e32 v0, v1
	s_or_b64 exec, exec, s[4:5]
	v_cmp_gt_i32_e32 vcc, s0, v0
	s_and_saveexec_b64 s[4:5], vcc
	s_cbranch_execz .LBB112_5
.LBB112_22:
	v_add_u32_e32 v1, s6, v0
	v_add_u32_e32 v0, 0x100, v0
	v_mov_b32_e32 v2, s1
	global_store_byte v1, v2, s[2:3]
	s_or_b64 exec, exec, s[4:5]
	v_cmp_gt_i32_e32 vcc, s0, v0
	s_and_saveexec_b64 s[4:5], vcc
	s_cbranch_execz .LBB112_6
.LBB112_23:
	v_add_u32_e32 v1, s6, v0
	v_add_u32_e32 v0, 0x100, v0
	v_mov_b32_e32 v2, s1
	global_store_byte v1, v2, s[2:3]
	s_or_b64 exec, exec, s[4:5]
	v_cmp_gt_i32_e32 vcc, s0, v0
	s_and_saveexec_b64 s[4:5], vcc
	s_cbranch_execz .LBB112_7
.LBB112_24:
	v_add_u32_e32 v1, s6, v0
	v_add_u32_e32 v0, 0x100, v0
	v_mov_b32_e32 v2, s1
	global_store_byte v1, v2, s[2:3]
	s_or_b64 exec, exec, s[4:5]
	v_cmp_gt_i32_e32 vcc, s0, v0
	s_and_saveexec_b64 s[4:5], vcc
	s_cbranch_execz .LBB112_8
.LBB112_25:
	v_add_u32_e32 v1, s6, v0
	v_add_u32_e32 v0, 0x100, v0
	v_mov_b32_e32 v2, s1
	global_store_byte v1, v2, s[2:3]
	s_or_b64 exec, exec, s[4:5]
	v_cmp_gt_i32_e32 vcc, s0, v0
	s_and_saveexec_b64 s[4:5], vcc
	s_cbranch_execz .LBB112_9
.LBB112_26:
	v_add_u32_e32 v1, s6, v0
	v_add_u32_e32 v0, 0x100, v0
	v_mov_b32_e32 v2, s1
	global_store_byte v1, v2, s[2:3]
	s_or_b64 exec, exec, s[4:5]
	v_cmp_gt_i32_e32 vcc, s0, v0
	s_and_saveexec_b64 s[4:5], vcc
	s_cbranch_execz .LBB112_10
.LBB112_27:
	v_add_u32_e32 v1, s6, v0
	v_add_u32_e32 v0, 0x100, v0
	v_mov_b32_e32 v2, s1
	global_store_byte v1, v2, s[2:3]
	s_or_b64 exec, exec, s[4:5]
	v_cmp_gt_i32_e32 vcc, s0, v0
	s_and_saveexec_b64 s[4:5], vcc
	s_cbranch_execz .LBB112_11
.LBB112_28:
	v_add_u32_e32 v1, s6, v0
	v_add_u32_e32 v0, 0x100, v0
	v_mov_b32_e32 v2, s1
	global_store_byte v1, v2, s[2:3]
	s_or_b64 exec, exec, s[4:5]
	v_cmp_gt_i32_e32 vcc, s0, v0
	s_and_saveexec_b64 s[4:5], vcc
	s_cbranch_execz .LBB112_12
.LBB112_29:
	v_add_u32_e32 v1, s6, v0
	v_add_u32_e32 v0, 0x100, v0
	v_mov_b32_e32 v2, s1
	global_store_byte v1, v2, s[2:3]
	s_or_b64 exec, exec, s[4:5]
	v_cmp_gt_i32_e32 vcc, s0, v0
	s_and_saveexec_b64 s[4:5], vcc
	s_cbranch_execz .LBB112_13
.LBB112_30:
	v_add_u32_e32 v1, s6, v0
	v_add_u32_e32 v0, 0x100, v0
	v_mov_b32_e32 v2, s1
	global_store_byte v1, v2, s[2:3]
	s_or_b64 exec, exec, s[4:5]
	v_cmp_gt_i32_e32 vcc, s0, v0
	s_and_saveexec_b64 s[4:5], vcc
	s_cbranch_execz .LBB112_14
.LBB112_31:
	v_add_u32_e32 v1, s6, v0
	v_add_u32_e32 v0, 0x100, v0
	v_mov_b32_e32 v2, s1
	global_store_byte v1, v2, s[2:3]
	s_or_b64 exec, exec, s[4:5]
	v_cmp_gt_i32_e32 vcc, s0, v0
	s_and_saveexec_b64 s[4:5], vcc
	s_cbranch_execz .LBB112_15
.LBB112_32:
	v_add_u32_e32 v1, s6, v0
	v_add_u32_e32 v0, 0x100, v0
	v_mov_b32_e32 v2, s1
	global_store_byte v1, v2, s[2:3]
	s_or_b64 exec, exec, s[4:5]
	v_cmp_gt_i32_e32 vcc, s0, v0
	s_and_saveexec_b64 s[4:5], vcc
	s_cbranch_execz .LBB112_16
.LBB112_33:
	v_add_u32_e32 v1, s6, v0
	v_add_u32_e32 v0, 0x100, v0
	v_mov_b32_e32 v2, s1
	global_store_byte v1, v2, s[2:3]
	s_or_b64 exec, exec, s[4:5]
	v_cmp_gt_i32_e32 vcc, s0, v0
	s_and_saveexec_b64 s[4:5], vcc
	s_cbranch_execz .LBB112_17
.LBB112_34:
	v_add_u32_e32 v1, s6, v0
	v_add_u32_e32 v0, 0x100, v0
	v_mov_b32_e32 v2, s1
	global_store_byte v1, v2, s[2:3]
	s_or_b64 exec, exec, s[4:5]
	v_cmp_gt_i32_e32 vcc, s0, v0
	s_and_saveexec_b64 s[4:5], vcc
	s_cbranch_execz .LBB112_18
.LBB112_35:
	v_add_u32_e32 v1, s6, v0
	v_add_u32_e32 v0, 0x100, v0
	v_mov_b32_e32 v2, s1
	global_store_byte v1, v2, s[2:3]
	s_or_b64 exec, exec, s[4:5]
	v_cmp_gt_i32_e32 vcc, s0, v0
	s_and_saveexec_b64 s[4:5], vcc
	s_cbranch_execnz .LBB112_19
	s_branch .LBB112_20
	.section	.rodata,"a",@progbits
	.p2align	6, 0x0
	.amdhsa_kernel _ZN2at6native29vectorized_elementwise_kernelILi16ENS0_11FillFunctorIN3c1011Float8_e5m2EEESt5arrayIPcLm1EEEEviT0_T1_
		.amdhsa_group_segment_fixed_size 0
		.amdhsa_private_segment_fixed_size 0
		.amdhsa_kernarg_size 16
		.amdhsa_user_sgpr_count 6
		.amdhsa_user_sgpr_private_segment_buffer 1
		.amdhsa_user_sgpr_dispatch_ptr 0
		.amdhsa_user_sgpr_queue_ptr 0
		.amdhsa_user_sgpr_kernarg_segment_ptr 1
		.amdhsa_user_sgpr_dispatch_id 0
		.amdhsa_user_sgpr_flat_scratch_init 0
		.amdhsa_user_sgpr_private_segment_size 0
		.amdhsa_uses_dynamic_stack 0
		.amdhsa_system_sgpr_private_segment_wavefront_offset 0
		.amdhsa_system_sgpr_workgroup_id_x 1
		.amdhsa_system_sgpr_workgroup_id_y 0
		.amdhsa_system_sgpr_workgroup_id_z 0
		.amdhsa_system_sgpr_workgroup_info 0
		.amdhsa_system_vgpr_workitem_id 0
		.amdhsa_next_free_vgpr 6
		.amdhsa_next_free_sgpr 9
		.amdhsa_reserve_vcc 1
		.amdhsa_reserve_flat_scratch 0
		.amdhsa_float_round_mode_32 0
		.amdhsa_float_round_mode_16_64 0
		.amdhsa_float_denorm_mode_32 3
		.amdhsa_float_denorm_mode_16_64 3
		.amdhsa_dx10_clamp 1
		.amdhsa_ieee_mode 1
		.amdhsa_fp16_overflow 0
		.amdhsa_exception_fp_ieee_invalid_op 0
		.amdhsa_exception_fp_denorm_src 0
		.amdhsa_exception_fp_ieee_div_zero 0
		.amdhsa_exception_fp_ieee_overflow 0
		.amdhsa_exception_fp_ieee_underflow 0
		.amdhsa_exception_fp_ieee_inexact 0
		.amdhsa_exception_int_div_zero 0
	.end_amdhsa_kernel
	.section	.text._ZN2at6native29vectorized_elementwise_kernelILi16ENS0_11FillFunctorIN3c1011Float8_e5m2EEESt5arrayIPcLm1EEEEviT0_T1_,"axG",@progbits,_ZN2at6native29vectorized_elementwise_kernelILi16ENS0_11FillFunctorIN3c1011Float8_e5m2EEESt5arrayIPcLm1EEEEviT0_T1_,comdat
.Lfunc_end112:
	.size	_ZN2at6native29vectorized_elementwise_kernelILi16ENS0_11FillFunctorIN3c1011Float8_e5m2EEESt5arrayIPcLm1EEEEviT0_T1_, .Lfunc_end112-_ZN2at6native29vectorized_elementwise_kernelILi16ENS0_11FillFunctorIN3c1011Float8_e5m2EEESt5arrayIPcLm1EEEEviT0_T1_
                                        ; -- End function
	.set _ZN2at6native29vectorized_elementwise_kernelILi16ENS0_11FillFunctorIN3c1011Float8_e5m2EEESt5arrayIPcLm1EEEEviT0_T1_.num_vgpr, 6
	.set _ZN2at6native29vectorized_elementwise_kernelILi16ENS0_11FillFunctorIN3c1011Float8_e5m2EEESt5arrayIPcLm1EEEEviT0_T1_.num_agpr, 0
	.set _ZN2at6native29vectorized_elementwise_kernelILi16ENS0_11FillFunctorIN3c1011Float8_e5m2EEESt5arrayIPcLm1EEEEviT0_T1_.numbered_sgpr, 9
	.set _ZN2at6native29vectorized_elementwise_kernelILi16ENS0_11FillFunctorIN3c1011Float8_e5m2EEESt5arrayIPcLm1EEEEviT0_T1_.num_named_barrier, 0
	.set _ZN2at6native29vectorized_elementwise_kernelILi16ENS0_11FillFunctorIN3c1011Float8_e5m2EEESt5arrayIPcLm1EEEEviT0_T1_.private_seg_size, 0
	.set _ZN2at6native29vectorized_elementwise_kernelILi16ENS0_11FillFunctorIN3c1011Float8_e5m2EEESt5arrayIPcLm1EEEEviT0_T1_.uses_vcc, 1
	.set _ZN2at6native29vectorized_elementwise_kernelILi16ENS0_11FillFunctorIN3c1011Float8_e5m2EEESt5arrayIPcLm1EEEEviT0_T1_.uses_flat_scratch, 0
	.set _ZN2at6native29vectorized_elementwise_kernelILi16ENS0_11FillFunctorIN3c1011Float8_e5m2EEESt5arrayIPcLm1EEEEviT0_T1_.has_dyn_sized_stack, 0
	.set _ZN2at6native29vectorized_elementwise_kernelILi16ENS0_11FillFunctorIN3c1011Float8_e5m2EEESt5arrayIPcLm1EEEEviT0_T1_.has_recursion, 0
	.set _ZN2at6native29vectorized_elementwise_kernelILi16ENS0_11FillFunctorIN3c1011Float8_e5m2EEESt5arrayIPcLm1EEEEviT0_T1_.has_indirect_call, 0
	.section	.AMDGPU.csdata,"",@progbits
; Kernel info:
; codeLenInByte = 996
; TotalNumSgprs: 13
; NumVgprs: 6
; ScratchSize: 0
; MemoryBound: 0
; FloatMode: 240
; IeeeMode: 1
; LDSByteSize: 0 bytes/workgroup (compile time only)
; SGPRBlocks: 1
; VGPRBlocks: 1
; NumSGPRsForWavesPerEU: 13
; NumVGPRsForWavesPerEU: 6
; Occupancy: 10
; WaveLimiterHint : 0
; COMPUTE_PGM_RSRC2:SCRATCH_EN: 0
; COMPUTE_PGM_RSRC2:USER_SGPR: 6
; COMPUTE_PGM_RSRC2:TRAP_HANDLER: 0
; COMPUTE_PGM_RSRC2:TGID_X_EN: 1
; COMPUTE_PGM_RSRC2:TGID_Y_EN: 0
; COMPUTE_PGM_RSRC2:TGID_Z_EN: 0
; COMPUTE_PGM_RSRC2:TIDIG_COMP_CNT: 0
	.section	.text._ZN2at6native29vectorized_elementwise_kernelILi8ENS0_11FillFunctorIN3c1011Float8_e5m2EEESt5arrayIPcLm1EEEEviT0_T1_,"axG",@progbits,_ZN2at6native29vectorized_elementwise_kernelILi8ENS0_11FillFunctorIN3c1011Float8_e5m2EEESt5arrayIPcLm1EEEEviT0_T1_,comdat
	.protected	_ZN2at6native29vectorized_elementwise_kernelILi8ENS0_11FillFunctorIN3c1011Float8_e5m2EEESt5arrayIPcLm1EEEEviT0_T1_ ; -- Begin function _ZN2at6native29vectorized_elementwise_kernelILi8ENS0_11FillFunctorIN3c1011Float8_e5m2EEESt5arrayIPcLm1EEEEviT0_T1_
	.globl	_ZN2at6native29vectorized_elementwise_kernelILi8ENS0_11FillFunctorIN3c1011Float8_e5m2EEESt5arrayIPcLm1EEEEviT0_T1_
	.p2align	8
	.type	_ZN2at6native29vectorized_elementwise_kernelILi8ENS0_11FillFunctorIN3c1011Float8_e5m2EEESt5arrayIPcLm1EEEEviT0_T1_,@function
_ZN2at6native29vectorized_elementwise_kernelILi8ENS0_11FillFunctorIN3c1011Float8_e5m2EEESt5arrayIPcLm1EEEEviT0_T1_: ; @_ZN2at6native29vectorized_elementwise_kernelILi8ENS0_11FillFunctorIN3c1011Float8_e5m2EEESt5arrayIPcLm1EEEEviT0_T1_
; %bb.0:
	s_load_dwordx4 s[0:3], s[4:5], 0x0
	s_lshl_b32 s6, s6, 12
	s_mov_b64 s[4:5], -1
	s_waitcnt lgkmcnt(0)
	s_sub_i32 s0, s0, s6
	s_cmpk_gt_i32 s0, 0xfff
	s_cbranch_scc0 .LBB113_2
; %bb.1:
	s_and_b32 s4, s1, 0xff
	s_mul_i32 s4, s4, 0x1010101
	s_ashr_i32 s7, s6, 31
	s_mov_b32 s5, s4
	s_add_u32 s8, s2, s6
	v_mov_b32_e32 v1, s4
	s_addc_u32 s9, s3, s7
	v_lshlrev_b32_e32 v3, 3, v0
	v_mov_b32_e32 v2, s5
	global_store_dwordx2 v3, v[1:2], s[8:9]
	global_store_dwordx2 v3, v[1:2], s[8:9] offset:2048
	s_mov_b64 s[4:5], 0
.LBB113_2:
	s_andn2_b64 vcc, exec, s[4:5]
	s_cbranch_vccnz .LBB113_20
; %bb.3:
	v_cmp_gt_i32_e32 vcc, s0, v0
	s_and_saveexec_b64 s[4:5], vcc
	s_cbranch_execnz .LBB113_21
; %bb.4:
	s_or_b64 exec, exec, s[4:5]
	v_cmp_gt_i32_e32 vcc, s0, v0
	s_and_saveexec_b64 s[4:5], vcc
	s_cbranch_execnz .LBB113_22
.LBB113_5:
	s_or_b64 exec, exec, s[4:5]
	v_cmp_gt_i32_e32 vcc, s0, v0
	s_and_saveexec_b64 s[4:5], vcc
	s_cbranch_execnz .LBB113_23
.LBB113_6:
	s_or_b64 exec, exec, s[4:5]
	v_cmp_gt_i32_e32 vcc, s0, v0
	s_and_saveexec_b64 s[4:5], vcc
	s_cbranch_execnz .LBB113_24
.LBB113_7:
	s_or_b64 exec, exec, s[4:5]
	v_cmp_gt_i32_e32 vcc, s0, v0
	s_and_saveexec_b64 s[4:5], vcc
	s_cbranch_execnz .LBB113_25
.LBB113_8:
	s_or_b64 exec, exec, s[4:5]
	v_cmp_gt_i32_e32 vcc, s0, v0
	s_and_saveexec_b64 s[4:5], vcc
	s_cbranch_execnz .LBB113_26
.LBB113_9:
	s_or_b64 exec, exec, s[4:5]
	v_cmp_gt_i32_e32 vcc, s0, v0
	s_and_saveexec_b64 s[4:5], vcc
	s_cbranch_execnz .LBB113_27
.LBB113_10:
	s_or_b64 exec, exec, s[4:5]
	v_cmp_gt_i32_e32 vcc, s0, v0
	s_and_saveexec_b64 s[4:5], vcc
	s_cbranch_execnz .LBB113_28
.LBB113_11:
	s_or_b64 exec, exec, s[4:5]
	v_cmp_gt_i32_e32 vcc, s0, v0
	s_and_saveexec_b64 s[4:5], vcc
	s_cbranch_execnz .LBB113_29
.LBB113_12:
	s_or_b64 exec, exec, s[4:5]
	v_cmp_gt_i32_e32 vcc, s0, v0
	s_and_saveexec_b64 s[4:5], vcc
	s_cbranch_execnz .LBB113_30
.LBB113_13:
	s_or_b64 exec, exec, s[4:5]
	v_cmp_gt_i32_e32 vcc, s0, v0
	s_and_saveexec_b64 s[4:5], vcc
	s_cbranch_execnz .LBB113_31
.LBB113_14:
	s_or_b64 exec, exec, s[4:5]
	v_cmp_gt_i32_e32 vcc, s0, v0
	s_and_saveexec_b64 s[4:5], vcc
	s_cbranch_execnz .LBB113_32
.LBB113_15:
	s_or_b64 exec, exec, s[4:5]
	v_cmp_gt_i32_e32 vcc, s0, v0
	s_and_saveexec_b64 s[4:5], vcc
	s_cbranch_execnz .LBB113_33
.LBB113_16:
	s_or_b64 exec, exec, s[4:5]
	v_cmp_gt_i32_e32 vcc, s0, v0
	s_and_saveexec_b64 s[4:5], vcc
	s_cbranch_execnz .LBB113_34
.LBB113_17:
	s_or_b64 exec, exec, s[4:5]
	v_cmp_gt_i32_e32 vcc, s0, v0
	s_and_saveexec_b64 s[4:5], vcc
	s_cbranch_execnz .LBB113_35
.LBB113_18:
	s_or_b64 exec, exec, s[4:5]
	v_cmp_gt_i32_e32 vcc, s0, v0
	s_and_saveexec_b64 s[4:5], vcc
	s_cbranch_execz .LBB113_20
.LBB113_19:
	v_add_u32_e32 v0, s6, v0
	v_mov_b32_e32 v1, s1
	global_store_byte v0, v1, s[2:3]
.LBB113_20:
	s_endpgm
.LBB113_21:
	v_or_b32_e32 v1, 0x100, v0
	v_or_b32_e32 v0, s6, v0
	v_mov_b32_e32 v2, s1
	global_store_byte v0, v2, s[2:3]
	v_mov_b32_e32 v0, v1
	s_or_b64 exec, exec, s[4:5]
	v_cmp_gt_i32_e32 vcc, s0, v0
	s_and_saveexec_b64 s[4:5], vcc
	s_cbranch_execz .LBB113_5
.LBB113_22:
	v_add_u32_e32 v1, s6, v0
	v_add_u32_e32 v0, 0x100, v0
	v_mov_b32_e32 v2, s1
	global_store_byte v1, v2, s[2:3]
	s_or_b64 exec, exec, s[4:5]
	v_cmp_gt_i32_e32 vcc, s0, v0
	s_and_saveexec_b64 s[4:5], vcc
	s_cbranch_execz .LBB113_6
.LBB113_23:
	v_add_u32_e32 v1, s6, v0
	v_add_u32_e32 v0, 0x100, v0
	v_mov_b32_e32 v2, s1
	global_store_byte v1, v2, s[2:3]
	s_or_b64 exec, exec, s[4:5]
	v_cmp_gt_i32_e32 vcc, s0, v0
	s_and_saveexec_b64 s[4:5], vcc
	s_cbranch_execz .LBB113_7
.LBB113_24:
	v_add_u32_e32 v1, s6, v0
	v_add_u32_e32 v0, 0x100, v0
	v_mov_b32_e32 v2, s1
	global_store_byte v1, v2, s[2:3]
	s_or_b64 exec, exec, s[4:5]
	v_cmp_gt_i32_e32 vcc, s0, v0
	s_and_saveexec_b64 s[4:5], vcc
	s_cbranch_execz .LBB113_8
.LBB113_25:
	v_add_u32_e32 v1, s6, v0
	v_add_u32_e32 v0, 0x100, v0
	v_mov_b32_e32 v2, s1
	global_store_byte v1, v2, s[2:3]
	s_or_b64 exec, exec, s[4:5]
	v_cmp_gt_i32_e32 vcc, s0, v0
	s_and_saveexec_b64 s[4:5], vcc
	s_cbranch_execz .LBB113_9
.LBB113_26:
	v_add_u32_e32 v1, s6, v0
	v_add_u32_e32 v0, 0x100, v0
	v_mov_b32_e32 v2, s1
	global_store_byte v1, v2, s[2:3]
	s_or_b64 exec, exec, s[4:5]
	v_cmp_gt_i32_e32 vcc, s0, v0
	s_and_saveexec_b64 s[4:5], vcc
	s_cbranch_execz .LBB113_10
.LBB113_27:
	v_add_u32_e32 v1, s6, v0
	v_add_u32_e32 v0, 0x100, v0
	v_mov_b32_e32 v2, s1
	global_store_byte v1, v2, s[2:3]
	s_or_b64 exec, exec, s[4:5]
	v_cmp_gt_i32_e32 vcc, s0, v0
	s_and_saveexec_b64 s[4:5], vcc
	s_cbranch_execz .LBB113_11
.LBB113_28:
	v_add_u32_e32 v1, s6, v0
	v_add_u32_e32 v0, 0x100, v0
	v_mov_b32_e32 v2, s1
	global_store_byte v1, v2, s[2:3]
	s_or_b64 exec, exec, s[4:5]
	v_cmp_gt_i32_e32 vcc, s0, v0
	s_and_saveexec_b64 s[4:5], vcc
	s_cbranch_execz .LBB113_12
.LBB113_29:
	v_add_u32_e32 v1, s6, v0
	v_add_u32_e32 v0, 0x100, v0
	v_mov_b32_e32 v2, s1
	global_store_byte v1, v2, s[2:3]
	s_or_b64 exec, exec, s[4:5]
	v_cmp_gt_i32_e32 vcc, s0, v0
	s_and_saveexec_b64 s[4:5], vcc
	s_cbranch_execz .LBB113_13
.LBB113_30:
	v_add_u32_e32 v1, s6, v0
	v_add_u32_e32 v0, 0x100, v0
	v_mov_b32_e32 v2, s1
	global_store_byte v1, v2, s[2:3]
	s_or_b64 exec, exec, s[4:5]
	v_cmp_gt_i32_e32 vcc, s0, v0
	s_and_saveexec_b64 s[4:5], vcc
	s_cbranch_execz .LBB113_14
.LBB113_31:
	v_add_u32_e32 v1, s6, v0
	v_add_u32_e32 v0, 0x100, v0
	v_mov_b32_e32 v2, s1
	global_store_byte v1, v2, s[2:3]
	s_or_b64 exec, exec, s[4:5]
	v_cmp_gt_i32_e32 vcc, s0, v0
	s_and_saveexec_b64 s[4:5], vcc
	s_cbranch_execz .LBB113_15
.LBB113_32:
	v_add_u32_e32 v1, s6, v0
	v_add_u32_e32 v0, 0x100, v0
	v_mov_b32_e32 v2, s1
	global_store_byte v1, v2, s[2:3]
	s_or_b64 exec, exec, s[4:5]
	v_cmp_gt_i32_e32 vcc, s0, v0
	s_and_saveexec_b64 s[4:5], vcc
	s_cbranch_execz .LBB113_16
.LBB113_33:
	v_add_u32_e32 v1, s6, v0
	v_add_u32_e32 v0, 0x100, v0
	v_mov_b32_e32 v2, s1
	global_store_byte v1, v2, s[2:3]
	s_or_b64 exec, exec, s[4:5]
	v_cmp_gt_i32_e32 vcc, s0, v0
	s_and_saveexec_b64 s[4:5], vcc
	s_cbranch_execz .LBB113_17
.LBB113_34:
	v_add_u32_e32 v1, s6, v0
	v_add_u32_e32 v0, 0x100, v0
	v_mov_b32_e32 v2, s1
	global_store_byte v1, v2, s[2:3]
	s_or_b64 exec, exec, s[4:5]
	v_cmp_gt_i32_e32 vcc, s0, v0
	s_and_saveexec_b64 s[4:5], vcc
	s_cbranch_execz .LBB113_18
.LBB113_35:
	v_add_u32_e32 v1, s6, v0
	v_add_u32_e32 v0, 0x100, v0
	v_mov_b32_e32 v2, s1
	global_store_byte v1, v2, s[2:3]
	s_or_b64 exec, exec, s[4:5]
	v_cmp_gt_i32_e32 vcc, s0, v0
	s_and_saveexec_b64 s[4:5], vcc
	s_cbranch_execnz .LBB113_19
	s_branch .LBB113_20
	.section	.rodata,"a",@progbits
	.p2align	6, 0x0
	.amdhsa_kernel _ZN2at6native29vectorized_elementwise_kernelILi8ENS0_11FillFunctorIN3c1011Float8_e5m2EEESt5arrayIPcLm1EEEEviT0_T1_
		.amdhsa_group_segment_fixed_size 0
		.amdhsa_private_segment_fixed_size 0
		.amdhsa_kernarg_size 16
		.amdhsa_user_sgpr_count 6
		.amdhsa_user_sgpr_private_segment_buffer 1
		.amdhsa_user_sgpr_dispatch_ptr 0
		.amdhsa_user_sgpr_queue_ptr 0
		.amdhsa_user_sgpr_kernarg_segment_ptr 1
		.amdhsa_user_sgpr_dispatch_id 0
		.amdhsa_user_sgpr_flat_scratch_init 0
		.amdhsa_user_sgpr_private_segment_size 0
		.amdhsa_uses_dynamic_stack 0
		.amdhsa_system_sgpr_private_segment_wavefront_offset 0
		.amdhsa_system_sgpr_workgroup_id_x 1
		.amdhsa_system_sgpr_workgroup_id_y 0
		.amdhsa_system_sgpr_workgroup_id_z 0
		.amdhsa_system_sgpr_workgroup_info 0
		.amdhsa_system_vgpr_workitem_id 0
		.amdhsa_next_free_vgpr 4
		.amdhsa_next_free_sgpr 10
		.amdhsa_reserve_vcc 1
		.amdhsa_reserve_flat_scratch 0
		.amdhsa_float_round_mode_32 0
		.amdhsa_float_round_mode_16_64 0
		.amdhsa_float_denorm_mode_32 3
		.amdhsa_float_denorm_mode_16_64 3
		.amdhsa_dx10_clamp 1
		.amdhsa_ieee_mode 1
		.amdhsa_fp16_overflow 0
		.amdhsa_exception_fp_ieee_invalid_op 0
		.amdhsa_exception_fp_denorm_src 0
		.amdhsa_exception_fp_ieee_div_zero 0
		.amdhsa_exception_fp_ieee_overflow 0
		.amdhsa_exception_fp_ieee_underflow 0
		.amdhsa_exception_fp_ieee_inexact 0
		.amdhsa_exception_int_div_zero 0
	.end_amdhsa_kernel
	.section	.text._ZN2at6native29vectorized_elementwise_kernelILi8ENS0_11FillFunctorIN3c1011Float8_e5m2EEESt5arrayIPcLm1EEEEviT0_T1_,"axG",@progbits,_ZN2at6native29vectorized_elementwise_kernelILi8ENS0_11FillFunctorIN3c1011Float8_e5m2EEESt5arrayIPcLm1EEEEviT0_T1_,comdat
.Lfunc_end113:
	.size	_ZN2at6native29vectorized_elementwise_kernelILi8ENS0_11FillFunctorIN3c1011Float8_e5m2EEESt5arrayIPcLm1EEEEviT0_T1_, .Lfunc_end113-_ZN2at6native29vectorized_elementwise_kernelILi8ENS0_11FillFunctorIN3c1011Float8_e5m2EEESt5arrayIPcLm1EEEEviT0_T1_
                                        ; -- End function
	.set _ZN2at6native29vectorized_elementwise_kernelILi8ENS0_11FillFunctorIN3c1011Float8_e5m2EEESt5arrayIPcLm1EEEEviT0_T1_.num_vgpr, 4
	.set _ZN2at6native29vectorized_elementwise_kernelILi8ENS0_11FillFunctorIN3c1011Float8_e5m2EEESt5arrayIPcLm1EEEEviT0_T1_.num_agpr, 0
	.set _ZN2at6native29vectorized_elementwise_kernelILi8ENS0_11FillFunctorIN3c1011Float8_e5m2EEESt5arrayIPcLm1EEEEviT0_T1_.numbered_sgpr, 10
	.set _ZN2at6native29vectorized_elementwise_kernelILi8ENS0_11FillFunctorIN3c1011Float8_e5m2EEESt5arrayIPcLm1EEEEviT0_T1_.num_named_barrier, 0
	.set _ZN2at6native29vectorized_elementwise_kernelILi8ENS0_11FillFunctorIN3c1011Float8_e5m2EEESt5arrayIPcLm1EEEEviT0_T1_.private_seg_size, 0
	.set _ZN2at6native29vectorized_elementwise_kernelILi8ENS0_11FillFunctorIN3c1011Float8_e5m2EEESt5arrayIPcLm1EEEEviT0_T1_.uses_vcc, 1
	.set _ZN2at6native29vectorized_elementwise_kernelILi8ENS0_11FillFunctorIN3c1011Float8_e5m2EEESt5arrayIPcLm1EEEEviT0_T1_.uses_flat_scratch, 0
	.set _ZN2at6native29vectorized_elementwise_kernelILi8ENS0_11FillFunctorIN3c1011Float8_e5m2EEESt5arrayIPcLm1EEEEviT0_T1_.has_dyn_sized_stack, 0
	.set _ZN2at6native29vectorized_elementwise_kernelILi8ENS0_11FillFunctorIN3c1011Float8_e5m2EEESt5arrayIPcLm1EEEEviT0_T1_.has_recursion, 0
	.set _ZN2at6native29vectorized_elementwise_kernelILi8ENS0_11FillFunctorIN3c1011Float8_e5m2EEESt5arrayIPcLm1EEEEviT0_T1_.has_indirect_call, 0
	.section	.AMDGPU.csdata,"",@progbits
; Kernel info:
; codeLenInByte = 984
; TotalNumSgprs: 14
; NumVgprs: 4
; ScratchSize: 0
; MemoryBound: 0
; FloatMode: 240
; IeeeMode: 1
; LDSByteSize: 0 bytes/workgroup (compile time only)
; SGPRBlocks: 1
; VGPRBlocks: 0
; NumSGPRsForWavesPerEU: 14
; NumVGPRsForWavesPerEU: 4
; Occupancy: 10
; WaveLimiterHint : 1
; COMPUTE_PGM_RSRC2:SCRATCH_EN: 0
; COMPUTE_PGM_RSRC2:USER_SGPR: 6
; COMPUTE_PGM_RSRC2:TRAP_HANDLER: 0
; COMPUTE_PGM_RSRC2:TGID_X_EN: 1
; COMPUTE_PGM_RSRC2:TGID_Y_EN: 0
; COMPUTE_PGM_RSRC2:TGID_Z_EN: 0
; COMPUTE_PGM_RSRC2:TIDIG_COMP_CNT: 0
	.section	.text._ZN2at6native29vectorized_elementwise_kernelILi4ENS0_11FillFunctorIN3c1011Float8_e5m2EEESt5arrayIPcLm1EEEEviT0_T1_,"axG",@progbits,_ZN2at6native29vectorized_elementwise_kernelILi4ENS0_11FillFunctorIN3c1011Float8_e5m2EEESt5arrayIPcLm1EEEEviT0_T1_,comdat
	.protected	_ZN2at6native29vectorized_elementwise_kernelILi4ENS0_11FillFunctorIN3c1011Float8_e5m2EEESt5arrayIPcLm1EEEEviT0_T1_ ; -- Begin function _ZN2at6native29vectorized_elementwise_kernelILi4ENS0_11FillFunctorIN3c1011Float8_e5m2EEESt5arrayIPcLm1EEEEviT0_T1_
	.globl	_ZN2at6native29vectorized_elementwise_kernelILi4ENS0_11FillFunctorIN3c1011Float8_e5m2EEESt5arrayIPcLm1EEEEviT0_T1_
	.p2align	8
	.type	_ZN2at6native29vectorized_elementwise_kernelILi4ENS0_11FillFunctorIN3c1011Float8_e5m2EEESt5arrayIPcLm1EEEEviT0_T1_,@function
_ZN2at6native29vectorized_elementwise_kernelILi4ENS0_11FillFunctorIN3c1011Float8_e5m2EEESt5arrayIPcLm1EEEEviT0_T1_: ; @_ZN2at6native29vectorized_elementwise_kernelILi4ENS0_11FillFunctorIN3c1011Float8_e5m2EEESt5arrayIPcLm1EEEEviT0_T1_
; %bb.0:
	s_load_dwordx4 s[0:3], s[4:5], 0x0
	s_lshl_b32 s6, s6, 12
	s_mov_b64 s[4:5], -1
	s_waitcnt lgkmcnt(0)
	s_sub_i32 s0, s0, s6
	s_cmpk_gt_i32 s0, 0xfff
	s_cbranch_scc0 .LBB114_2
; %bb.1:
	s_and_b32 s4, s1, 0xff
	s_ashr_i32 s5, s6, 31
	s_mul_i32 s7, s4, 0x1010101
	s_add_u32 s4, s2, s6
	s_addc_u32 s5, s3, s5
	v_lshlrev_b32_e32 v1, 2, v0
	v_mov_b32_e32 v2, s7
	global_store_dword v1, v2, s[4:5]
	global_store_dword v1, v2, s[4:5] offset:1024
	global_store_dword v1, v2, s[4:5] offset:2048
	;; [unrolled: 1-line block ×3, first 2 shown]
	s_mov_b64 s[4:5], 0
.LBB114_2:
	s_andn2_b64 vcc, exec, s[4:5]
	s_cbranch_vccnz .LBB114_20
; %bb.3:
	v_cmp_gt_i32_e32 vcc, s0, v0
	s_and_saveexec_b64 s[4:5], vcc
	s_cbranch_execnz .LBB114_21
; %bb.4:
	s_or_b64 exec, exec, s[4:5]
	v_cmp_gt_i32_e32 vcc, s0, v0
	s_and_saveexec_b64 s[4:5], vcc
	s_cbranch_execnz .LBB114_22
.LBB114_5:
	s_or_b64 exec, exec, s[4:5]
	v_cmp_gt_i32_e32 vcc, s0, v0
	s_and_saveexec_b64 s[4:5], vcc
	s_cbranch_execnz .LBB114_23
.LBB114_6:
	s_or_b64 exec, exec, s[4:5]
	v_cmp_gt_i32_e32 vcc, s0, v0
	s_and_saveexec_b64 s[4:5], vcc
	s_cbranch_execnz .LBB114_24
.LBB114_7:
	s_or_b64 exec, exec, s[4:5]
	v_cmp_gt_i32_e32 vcc, s0, v0
	s_and_saveexec_b64 s[4:5], vcc
	s_cbranch_execnz .LBB114_25
.LBB114_8:
	s_or_b64 exec, exec, s[4:5]
	v_cmp_gt_i32_e32 vcc, s0, v0
	s_and_saveexec_b64 s[4:5], vcc
	s_cbranch_execnz .LBB114_26
.LBB114_9:
	s_or_b64 exec, exec, s[4:5]
	v_cmp_gt_i32_e32 vcc, s0, v0
	s_and_saveexec_b64 s[4:5], vcc
	s_cbranch_execnz .LBB114_27
.LBB114_10:
	s_or_b64 exec, exec, s[4:5]
	v_cmp_gt_i32_e32 vcc, s0, v0
	s_and_saveexec_b64 s[4:5], vcc
	s_cbranch_execnz .LBB114_28
.LBB114_11:
	s_or_b64 exec, exec, s[4:5]
	v_cmp_gt_i32_e32 vcc, s0, v0
	s_and_saveexec_b64 s[4:5], vcc
	s_cbranch_execnz .LBB114_29
.LBB114_12:
	s_or_b64 exec, exec, s[4:5]
	v_cmp_gt_i32_e32 vcc, s0, v0
	s_and_saveexec_b64 s[4:5], vcc
	s_cbranch_execnz .LBB114_30
.LBB114_13:
	s_or_b64 exec, exec, s[4:5]
	v_cmp_gt_i32_e32 vcc, s0, v0
	s_and_saveexec_b64 s[4:5], vcc
	s_cbranch_execnz .LBB114_31
.LBB114_14:
	s_or_b64 exec, exec, s[4:5]
	v_cmp_gt_i32_e32 vcc, s0, v0
	s_and_saveexec_b64 s[4:5], vcc
	s_cbranch_execnz .LBB114_32
.LBB114_15:
	s_or_b64 exec, exec, s[4:5]
	v_cmp_gt_i32_e32 vcc, s0, v0
	s_and_saveexec_b64 s[4:5], vcc
	s_cbranch_execnz .LBB114_33
.LBB114_16:
	s_or_b64 exec, exec, s[4:5]
	v_cmp_gt_i32_e32 vcc, s0, v0
	s_and_saveexec_b64 s[4:5], vcc
	s_cbranch_execnz .LBB114_34
.LBB114_17:
	s_or_b64 exec, exec, s[4:5]
	v_cmp_gt_i32_e32 vcc, s0, v0
	s_and_saveexec_b64 s[4:5], vcc
	s_cbranch_execnz .LBB114_35
.LBB114_18:
	s_or_b64 exec, exec, s[4:5]
	v_cmp_gt_i32_e32 vcc, s0, v0
	s_and_saveexec_b64 s[4:5], vcc
	s_cbranch_execz .LBB114_20
.LBB114_19:
	v_add_u32_e32 v0, s6, v0
	v_mov_b32_e32 v1, s1
	global_store_byte v0, v1, s[2:3]
.LBB114_20:
	s_endpgm
.LBB114_21:
	v_or_b32_e32 v1, 0x100, v0
	v_or_b32_e32 v0, s6, v0
	v_mov_b32_e32 v2, s1
	global_store_byte v0, v2, s[2:3]
	v_mov_b32_e32 v0, v1
	s_or_b64 exec, exec, s[4:5]
	v_cmp_gt_i32_e32 vcc, s0, v0
	s_and_saveexec_b64 s[4:5], vcc
	s_cbranch_execz .LBB114_5
.LBB114_22:
	v_add_u32_e32 v1, s6, v0
	v_add_u32_e32 v0, 0x100, v0
	v_mov_b32_e32 v2, s1
	global_store_byte v1, v2, s[2:3]
	s_or_b64 exec, exec, s[4:5]
	v_cmp_gt_i32_e32 vcc, s0, v0
	s_and_saveexec_b64 s[4:5], vcc
	s_cbranch_execz .LBB114_6
.LBB114_23:
	v_add_u32_e32 v1, s6, v0
	v_add_u32_e32 v0, 0x100, v0
	v_mov_b32_e32 v2, s1
	global_store_byte v1, v2, s[2:3]
	s_or_b64 exec, exec, s[4:5]
	v_cmp_gt_i32_e32 vcc, s0, v0
	s_and_saveexec_b64 s[4:5], vcc
	s_cbranch_execz .LBB114_7
.LBB114_24:
	v_add_u32_e32 v1, s6, v0
	v_add_u32_e32 v0, 0x100, v0
	v_mov_b32_e32 v2, s1
	global_store_byte v1, v2, s[2:3]
	s_or_b64 exec, exec, s[4:5]
	v_cmp_gt_i32_e32 vcc, s0, v0
	s_and_saveexec_b64 s[4:5], vcc
	s_cbranch_execz .LBB114_8
.LBB114_25:
	v_add_u32_e32 v1, s6, v0
	v_add_u32_e32 v0, 0x100, v0
	v_mov_b32_e32 v2, s1
	global_store_byte v1, v2, s[2:3]
	s_or_b64 exec, exec, s[4:5]
	v_cmp_gt_i32_e32 vcc, s0, v0
	s_and_saveexec_b64 s[4:5], vcc
	s_cbranch_execz .LBB114_9
.LBB114_26:
	v_add_u32_e32 v1, s6, v0
	v_add_u32_e32 v0, 0x100, v0
	v_mov_b32_e32 v2, s1
	global_store_byte v1, v2, s[2:3]
	s_or_b64 exec, exec, s[4:5]
	v_cmp_gt_i32_e32 vcc, s0, v0
	s_and_saveexec_b64 s[4:5], vcc
	s_cbranch_execz .LBB114_10
.LBB114_27:
	v_add_u32_e32 v1, s6, v0
	v_add_u32_e32 v0, 0x100, v0
	v_mov_b32_e32 v2, s1
	global_store_byte v1, v2, s[2:3]
	s_or_b64 exec, exec, s[4:5]
	v_cmp_gt_i32_e32 vcc, s0, v0
	s_and_saveexec_b64 s[4:5], vcc
	s_cbranch_execz .LBB114_11
.LBB114_28:
	v_add_u32_e32 v1, s6, v0
	v_add_u32_e32 v0, 0x100, v0
	v_mov_b32_e32 v2, s1
	global_store_byte v1, v2, s[2:3]
	s_or_b64 exec, exec, s[4:5]
	v_cmp_gt_i32_e32 vcc, s0, v0
	s_and_saveexec_b64 s[4:5], vcc
	s_cbranch_execz .LBB114_12
.LBB114_29:
	v_add_u32_e32 v1, s6, v0
	v_add_u32_e32 v0, 0x100, v0
	v_mov_b32_e32 v2, s1
	global_store_byte v1, v2, s[2:3]
	s_or_b64 exec, exec, s[4:5]
	v_cmp_gt_i32_e32 vcc, s0, v0
	s_and_saveexec_b64 s[4:5], vcc
	s_cbranch_execz .LBB114_13
.LBB114_30:
	v_add_u32_e32 v1, s6, v0
	v_add_u32_e32 v0, 0x100, v0
	v_mov_b32_e32 v2, s1
	global_store_byte v1, v2, s[2:3]
	s_or_b64 exec, exec, s[4:5]
	v_cmp_gt_i32_e32 vcc, s0, v0
	s_and_saveexec_b64 s[4:5], vcc
	s_cbranch_execz .LBB114_14
.LBB114_31:
	v_add_u32_e32 v1, s6, v0
	v_add_u32_e32 v0, 0x100, v0
	v_mov_b32_e32 v2, s1
	global_store_byte v1, v2, s[2:3]
	s_or_b64 exec, exec, s[4:5]
	v_cmp_gt_i32_e32 vcc, s0, v0
	s_and_saveexec_b64 s[4:5], vcc
	s_cbranch_execz .LBB114_15
.LBB114_32:
	v_add_u32_e32 v1, s6, v0
	v_add_u32_e32 v0, 0x100, v0
	v_mov_b32_e32 v2, s1
	global_store_byte v1, v2, s[2:3]
	s_or_b64 exec, exec, s[4:5]
	v_cmp_gt_i32_e32 vcc, s0, v0
	s_and_saveexec_b64 s[4:5], vcc
	s_cbranch_execz .LBB114_16
.LBB114_33:
	v_add_u32_e32 v1, s6, v0
	v_add_u32_e32 v0, 0x100, v0
	v_mov_b32_e32 v2, s1
	global_store_byte v1, v2, s[2:3]
	s_or_b64 exec, exec, s[4:5]
	v_cmp_gt_i32_e32 vcc, s0, v0
	s_and_saveexec_b64 s[4:5], vcc
	s_cbranch_execz .LBB114_17
.LBB114_34:
	v_add_u32_e32 v1, s6, v0
	v_add_u32_e32 v0, 0x100, v0
	v_mov_b32_e32 v2, s1
	global_store_byte v1, v2, s[2:3]
	s_or_b64 exec, exec, s[4:5]
	v_cmp_gt_i32_e32 vcc, s0, v0
	s_and_saveexec_b64 s[4:5], vcc
	s_cbranch_execz .LBB114_18
.LBB114_35:
	v_add_u32_e32 v1, s6, v0
	v_add_u32_e32 v0, 0x100, v0
	v_mov_b32_e32 v2, s1
	global_store_byte v1, v2, s[2:3]
	s_or_b64 exec, exec, s[4:5]
	v_cmp_gt_i32_e32 vcc, s0, v0
	s_and_saveexec_b64 s[4:5], vcc
	s_cbranch_execnz .LBB114_19
	s_branch .LBB114_20
	.section	.rodata,"a",@progbits
	.p2align	6, 0x0
	.amdhsa_kernel _ZN2at6native29vectorized_elementwise_kernelILi4ENS0_11FillFunctorIN3c1011Float8_e5m2EEESt5arrayIPcLm1EEEEviT0_T1_
		.amdhsa_group_segment_fixed_size 0
		.amdhsa_private_segment_fixed_size 0
		.amdhsa_kernarg_size 16
		.amdhsa_user_sgpr_count 6
		.amdhsa_user_sgpr_private_segment_buffer 1
		.amdhsa_user_sgpr_dispatch_ptr 0
		.amdhsa_user_sgpr_queue_ptr 0
		.amdhsa_user_sgpr_kernarg_segment_ptr 1
		.amdhsa_user_sgpr_dispatch_id 0
		.amdhsa_user_sgpr_flat_scratch_init 0
		.amdhsa_user_sgpr_private_segment_size 0
		.amdhsa_uses_dynamic_stack 0
		.amdhsa_system_sgpr_private_segment_wavefront_offset 0
		.amdhsa_system_sgpr_workgroup_id_x 1
		.amdhsa_system_sgpr_workgroup_id_y 0
		.amdhsa_system_sgpr_workgroup_id_z 0
		.amdhsa_system_sgpr_workgroup_info 0
		.amdhsa_system_vgpr_workitem_id 0
		.amdhsa_next_free_vgpr 3
		.amdhsa_next_free_sgpr 8
		.amdhsa_reserve_vcc 1
		.amdhsa_reserve_flat_scratch 0
		.amdhsa_float_round_mode_32 0
		.amdhsa_float_round_mode_16_64 0
		.amdhsa_float_denorm_mode_32 3
		.amdhsa_float_denorm_mode_16_64 3
		.amdhsa_dx10_clamp 1
		.amdhsa_ieee_mode 1
		.amdhsa_fp16_overflow 0
		.amdhsa_exception_fp_ieee_invalid_op 0
		.amdhsa_exception_fp_denorm_src 0
		.amdhsa_exception_fp_ieee_div_zero 0
		.amdhsa_exception_fp_ieee_overflow 0
		.amdhsa_exception_fp_ieee_underflow 0
		.amdhsa_exception_fp_ieee_inexact 0
		.amdhsa_exception_int_div_zero 0
	.end_amdhsa_kernel
	.section	.text._ZN2at6native29vectorized_elementwise_kernelILi4ENS0_11FillFunctorIN3c1011Float8_e5m2EEESt5arrayIPcLm1EEEEviT0_T1_,"axG",@progbits,_ZN2at6native29vectorized_elementwise_kernelILi4ENS0_11FillFunctorIN3c1011Float8_e5m2EEESt5arrayIPcLm1EEEEviT0_T1_,comdat
.Lfunc_end114:
	.size	_ZN2at6native29vectorized_elementwise_kernelILi4ENS0_11FillFunctorIN3c1011Float8_e5m2EEESt5arrayIPcLm1EEEEviT0_T1_, .Lfunc_end114-_ZN2at6native29vectorized_elementwise_kernelILi4ENS0_11FillFunctorIN3c1011Float8_e5m2EEESt5arrayIPcLm1EEEEviT0_T1_
                                        ; -- End function
	.set _ZN2at6native29vectorized_elementwise_kernelILi4ENS0_11FillFunctorIN3c1011Float8_e5m2EEESt5arrayIPcLm1EEEEviT0_T1_.num_vgpr, 3
	.set _ZN2at6native29vectorized_elementwise_kernelILi4ENS0_11FillFunctorIN3c1011Float8_e5m2EEESt5arrayIPcLm1EEEEviT0_T1_.num_agpr, 0
	.set _ZN2at6native29vectorized_elementwise_kernelILi4ENS0_11FillFunctorIN3c1011Float8_e5m2EEESt5arrayIPcLm1EEEEviT0_T1_.numbered_sgpr, 8
	.set _ZN2at6native29vectorized_elementwise_kernelILi4ENS0_11FillFunctorIN3c1011Float8_e5m2EEESt5arrayIPcLm1EEEEviT0_T1_.num_named_barrier, 0
	.set _ZN2at6native29vectorized_elementwise_kernelILi4ENS0_11FillFunctorIN3c1011Float8_e5m2EEESt5arrayIPcLm1EEEEviT0_T1_.private_seg_size, 0
	.set _ZN2at6native29vectorized_elementwise_kernelILi4ENS0_11FillFunctorIN3c1011Float8_e5m2EEESt5arrayIPcLm1EEEEviT0_T1_.uses_vcc, 1
	.set _ZN2at6native29vectorized_elementwise_kernelILi4ENS0_11FillFunctorIN3c1011Float8_e5m2EEESt5arrayIPcLm1EEEEviT0_T1_.uses_flat_scratch, 0
	.set _ZN2at6native29vectorized_elementwise_kernelILi4ENS0_11FillFunctorIN3c1011Float8_e5m2EEESt5arrayIPcLm1EEEEviT0_T1_.has_dyn_sized_stack, 0
	.set _ZN2at6native29vectorized_elementwise_kernelILi4ENS0_11FillFunctorIN3c1011Float8_e5m2EEESt5arrayIPcLm1EEEEviT0_T1_.has_recursion, 0
	.set _ZN2at6native29vectorized_elementwise_kernelILi4ENS0_11FillFunctorIN3c1011Float8_e5m2EEESt5arrayIPcLm1EEEEviT0_T1_.has_indirect_call, 0
	.section	.AMDGPU.csdata,"",@progbits
; Kernel info:
; codeLenInByte = 992
; TotalNumSgprs: 12
; NumVgprs: 3
; ScratchSize: 0
; MemoryBound: 0
; FloatMode: 240
; IeeeMode: 1
; LDSByteSize: 0 bytes/workgroup (compile time only)
; SGPRBlocks: 1
; VGPRBlocks: 0
; NumSGPRsForWavesPerEU: 12
; NumVGPRsForWavesPerEU: 3
; Occupancy: 10
; WaveLimiterHint : 1
; COMPUTE_PGM_RSRC2:SCRATCH_EN: 0
; COMPUTE_PGM_RSRC2:USER_SGPR: 6
; COMPUTE_PGM_RSRC2:TRAP_HANDLER: 0
; COMPUTE_PGM_RSRC2:TGID_X_EN: 1
; COMPUTE_PGM_RSRC2:TGID_Y_EN: 0
; COMPUTE_PGM_RSRC2:TGID_Z_EN: 0
; COMPUTE_PGM_RSRC2:TIDIG_COMP_CNT: 0
	.section	.text._ZN2at6native29vectorized_elementwise_kernelILi2ENS0_11FillFunctorIN3c1011Float8_e5m2EEESt5arrayIPcLm1EEEEviT0_T1_,"axG",@progbits,_ZN2at6native29vectorized_elementwise_kernelILi2ENS0_11FillFunctorIN3c1011Float8_e5m2EEESt5arrayIPcLm1EEEEviT0_T1_,comdat
	.protected	_ZN2at6native29vectorized_elementwise_kernelILi2ENS0_11FillFunctorIN3c1011Float8_e5m2EEESt5arrayIPcLm1EEEEviT0_T1_ ; -- Begin function _ZN2at6native29vectorized_elementwise_kernelILi2ENS0_11FillFunctorIN3c1011Float8_e5m2EEESt5arrayIPcLm1EEEEviT0_T1_
	.globl	_ZN2at6native29vectorized_elementwise_kernelILi2ENS0_11FillFunctorIN3c1011Float8_e5m2EEESt5arrayIPcLm1EEEEviT0_T1_
	.p2align	8
	.type	_ZN2at6native29vectorized_elementwise_kernelILi2ENS0_11FillFunctorIN3c1011Float8_e5m2EEESt5arrayIPcLm1EEEEviT0_T1_,@function
_ZN2at6native29vectorized_elementwise_kernelILi2ENS0_11FillFunctorIN3c1011Float8_e5m2EEESt5arrayIPcLm1EEEEviT0_T1_: ; @_ZN2at6native29vectorized_elementwise_kernelILi2ENS0_11FillFunctorIN3c1011Float8_e5m2EEESt5arrayIPcLm1EEEEviT0_T1_
; %bb.0:
	s_load_dwordx4 s[0:3], s[4:5], 0x0
	s_lshl_b32 s6, s6, 12
	s_mov_b64 s[4:5], -1
	s_waitcnt lgkmcnt(0)
	s_sub_i32 s0, s0, s6
	s_cmpk_gt_i32 s0, 0xfff
	s_cbranch_scc0 .LBB115_2
; %bb.1:
	s_and_b32 s4, s1, 0xff
	s_ashr_i32 s5, s6, 31
	s_mul_i32 s7, s4, 0x101
	s_add_u32 s4, s2, s6
	s_addc_u32 s5, s3, s5
	v_lshlrev_b32_e32 v1, 1, v0
	v_mov_b32_e32 v2, s7
	global_store_short v1, v2, s[4:5]
	global_store_short v1, v2, s[4:5] offset:512
	global_store_short v1, v2, s[4:5] offset:1024
	;; [unrolled: 1-line block ×7, first 2 shown]
	s_mov_b64 s[4:5], 0
.LBB115_2:
	s_andn2_b64 vcc, exec, s[4:5]
	s_cbranch_vccnz .LBB115_20
; %bb.3:
	v_cmp_gt_i32_e32 vcc, s0, v0
	s_and_saveexec_b64 s[4:5], vcc
	s_cbranch_execnz .LBB115_21
; %bb.4:
	s_or_b64 exec, exec, s[4:5]
	v_cmp_gt_i32_e32 vcc, s0, v0
	s_and_saveexec_b64 s[4:5], vcc
	s_cbranch_execnz .LBB115_22
.LBB115_5:
	s_or_b64 exec, exec, s[4:5]
	v_cmp_gt_i32_e32 vcc, s0, v0
	s_and_saveexec_b64 s[4:5], vcc
	s_cbranch_execnz .LBB115_23
.LBB115_6:
	s_or_b64 exec, exec, s[4:5]
	v_cmp_gt_i32_e32 vcc, s0, v0
	s_and_saveexec_b64 s[4:5], vcc
	s_cbranch_execnz .LBB115_24
.LBB115_7:
	s_or_b64 exec, exec, s[4:5]
	v_cmp_gt_i32_e32 vcc, s0, v0
	s_and_saveexec_b64 s[4:5], vcc
	s_cbranch_execnz .LBB115_25
.LBB115_8:
	s_or_b64 exec, exec, s[4:5]
	v_cmp_gt_i32_e32 vcc, s0, v0
	s_and_saveexec_b64 s[4:5], vcc
	s_cbranch_execnz .LBB115_26
.LBB115_9:
	s_or_b64 exec, exec, s[4:5]
	v_cmp_gt_i32_e32 vcc, s0, v0
	s_and_saveexec_b64 s[4:5], vcc
	s_cbranch_execnz .LBB115_27
.LBB115_10:
	s_or_b64 exec, exec, s[4:5]
	v_cmp_gt_i32_e32 vcc, s0, v0
	s_and_saveexec_b64 s[4:5], vcc
	s_cbranch_execnz .LBB115_28
.LBB115_11:
	s_or_b64 exec, exec, s[4:5]
	v_cmp_gt_i32_e32 vcc, s0, v0
	s_and_saveexec_b64 s[4:5], vcc
	s_cbranch_execnz .LBB115_29
.LBB115_12:
	s_or_b64 exec, exec, s[4:5]
	v_cmp_gt_i32_e32 vcc, s0, v0
	s_and_saveexec_b64 s[4:5], vcc
	s_cbranch_execnz .LBB115_30
.LBB115_13:
	s_or_b64 exec, exec, s[4:5]
	v_cmp_gt_i32_e32 vcc, s0, v0
	s_and_saveexec_b64 s[4:5], vcc
	s_cbranch_execnz .LBB115_31
.LBB115_14:
	s_or_b64 exec, exec, s[4:5]
	v_cmp_gt_i32_e32 vcc, s0, v0
	s_and_saveexec_b64 s[4:5], vcc
	s_cbranch_execnz .LBB115_32
.LBB115_15:
	s_or_b64 exec, exec, s[4:5]
	v_cmp_gt_i32_e32 vcc, s0, v0
	s_and_saveexec_b64 s[4:5], vcc
	s_cbranch_execnz .LBB115_33
.LBB115_16:
	s_or_b64 exec, exec, s[4:5]
	v_cmp_gt_i32_e32 vcc, s0, v0
	s_and_saveexec_b64 s[4:5], vcc
	s_cbranch_execnz .LBB115_34
.LBB115_17:
	s_or_b64 exec, exec, s[4:5]
	v_cmp_gt_i32_e32 vcc, s0, v0
	s_and_saveexec_b64 s[4:5], vcc
	s_cbranch_execnz .LBB115_35
.LBB115_18:
	s_or_b64 exec, exec, s[4:5]
	v_cmp_gt_i32_e32 vcc, s0, v0
	s_and_saveexec_b64 s[4:5], vcc
	s_cbranch_execz .LBB115_20
.LBB115_19:
	v_add_u32_e32 v0, s6, v0
	v_mov_b32_e32 v1, s1
	global_store_byte v0, v1, s[2:3]
.LBB115_20:
	s_endpgm
.LBB115_21:
	v_or_b32_e32 v1, 0x100, v0
	v_or_b32_e32 v0, s6, v0
	v_mov_b32_e32 v2, s1
	global_store_byte v0, v2, s[2:3]
	v_mov_b32_e32 v0, v1
	s_or_b64 exec, exec, s[4:5]
	v_cmp_gt_i32_e32 vcc, s0, v0
	s_and_saveexec_b64 s[4:5], vcc
	s_cbranch_execz .LBB115_5
.LBB115_22:
	v_add_u32_e32 v1, s6, v0
	v_add_u32_e32 v0, 0x100, v0
	v_mov_b32_e32 v2, s1
	global_store_byte v1, v2, s[2:3]
	s_or_b64 exec, exec, s[4:5]
	v_cmp_gt_i32_e32 vcc, s0, v0
	s_and_saveexec_b64 s[4:5], vcc
	s_cbranch_execz .LBB115_6
.LBB115_23:
	v_add_u32_e32 v1, s6, v0
	v_add_u32_e32 v0, 0x100, v0
	v_mov_b32_e32 v2, s1
	global_store_byte v1, v2, s[2:3]
	s_or_b64 exec, exec, s[4:5]
	v_cmp_gt_i32_e32 vcc, s0, v0
	s_and_saveexec_b64 s[4:5], vcc
	s_cbranch_execz .LBB115_7
.LBB115_24:
	v_add_u32_e32 v1, s6, v0
	v_add_u32_e32 v0, 0x100, v0
	v_mov_b32_e32 v2, s1
	global_store_byte v1, v2, s[2:3]
	s_or_b64 exec, exec, s[4:5]
	v_cmp_gt_i32_e32 vcc, s0, v0
	s_and_saveexec_b64 s[4:5], vcc
	s_cbranch_execz .LBB115_8
.LBB115_25:
	v_add_u32_e32 v1, s6, v0
	v_add_u32_e32 v0, 0x100, v0
	v_mov_b32_e32 v2, s1
	global_store_byte v1, v2, s[2:3]
	s_or_b64 exec, exec, s[4:5]
	v_cmp_gt_i32_e32 vcc, s0, v0
	s_and_saveexec_b64 s[4:5], vcc
	s_cbranch_execz .LBB115_9
.LBB115_26:
	v_add_u32_e32 v1, s6, v0
	v_add_u32_e32 v0, 0x100, v0
	v_mov_b32_e32 v2, s1
	global_store_byte v1, v2, s[2:3]
	s_or_b64 exec, exec, s[4:5]
	v_cmp_gt_i32_e32 vcc, s0, v0
	s_and_saveexec_b64 s[4:5], vcc
	s_cbranch_execz .LBB115_10
.LBB115_27:
	v_add_u32_e32 v1, s6, v0
	v_add_u32_e32 v0, 0x100, v0
	v_mov_b32_e32 v2, s1
	global_store_byte v1, v2, s[2:3]
	s_or_b64 exec, exec, s[4:5]
	v_cmp_gt_i32_e32 vcc, s0, v0
	s_and_saveexec_b64 s[4:5], vcc
	s_cbranch_execz .LBB115_11
.LBB115_28:
	v_add_u32_e32 v1, s6, v0
	v_add_u32_e32 v0, 0x100, v0
	v_mov_b32_e32 v2, s1
	global_store_byte v1, v2, s[2:3]
	s_or_b64 exec, exec, s[4:5]
	v_cmp_gt_i32_e32 vcc, s0, v0
	s_and_saveexec_b64 s[4:5], vcc
	s_cbranch_execz .LBB115_12
.LBB115_29:
	v_add_u32_e32 v1, s6, v0
	v_add_u32_e32 v0, 0x100, v0
	v_mov_b32_e32 v2, s1
	global_store_byte v1, v2, s[2:3]
	s_or_b64 exec, exec, s[4:5]
	v_cmp_gt_i32_e32 vcc, s0, v0
	s_and_saveexec_b64 s[4:5], vcc
	s_cbranch_execz .LBB115_13
.LBB115_30:
	v_add_u32_e32 v1, s6, v0
	v_add_u32_e32 v0, 0x100, v0
	v_mov_b32_e32 v2, s1
	global_store_byte v1, v2, s[2:3]
	s_or_b64 exec, exec, s[4:5]
	v_cmp_gt_i32_e32 vcc, s0, v0
	s_and_saveexec_b64 s[4:5], vcc
	s_cbranch_execz .LBB115_14
.LBB115_31:
	v_add_u32_e32 v1, s6, v0
	v_add_u32_e32 v0, 0x100, v0
	v_mov_b32_e32 v2, s1
	global_store_byte v1, v2, s[2:3]
	s_or_b64 exec, exec, s[4:5]
	v_cmp_gt_i32_e32 vcc, s0, v0
	s_and_saveexec_b64 s[4:5], vcc
	s_cbranch_execz .LBB115_15
.LBB115_32:
	v_add_u32_e32 v1, s6, v0
	v_add_u32_e32 v0, 0x100, v0
	v_mov_b32_e32 v2, s1
	global_store_byte v1, v2, s[2:3]
	s_or_b64 exec, exec, s[4:5]
	v_cmp_gt_i32_e32 vcc, s0, v0
	s_and_saveexec_b64 s[4:5], vcc
	s_cbranch_execz .LBB115_16
.LBB115_33:
	v_add_u32_e32 v1, s6, v0
	v_add_u32_e32 v0, 0x100, v0
	v_mov_b32_e32 v2, s1
	global_store_byte v1, v2, s[2:3]
	s_or_b64 exec, exec, s[4:5]
	v_cmp_gt_i32_e32 vcc, s0, v0
	s_and_saveexec_b64 s[4:5], vcc
	s_cbranch_execz .LBB115_17
.LBB115_34:
	v_add_u32_e32 v1, s6, v0
	v_add_u32_e32 v0, 0x100, v0
	v_mov_b32_e32 v2, s1
	global_store_byte v1, v2, s[2:3]
	s_or_b64 exec, exec, s[4:5]
	v_cmp_gt_i32_e32 vcc, s0, v0
	s_and_saveexec_b64 s[4:5], vcc
	s_cbranch_execz .LBB115_18
.LBB115_35:
	v_add_u32_e32 v1, s6, v0
	v_add_u32_e32 v0, 0x100, v0
	v_mov_b32_e32 v2, s1
	global_store_byte v1, v2, s[2:3]
	s_or_b64 exec, exec, s[4:5]
	v_cmp_gt_i32_e32 vcc, s0, v0
	s_and_saveexec_b64 s[4:5], vcc
	s_cbranch_execnz .LBB115_19
	s_branch .LBB115_20
	.section	.rodata,"a",@progbits
	.p2align	6, 0x0
	.amdhsa_kernel _ZN2at6native29vectorized_elementwise_kernelILi2ENS0_11FillFunctorIN3c1011Float8_e5m2EEESt5arrayIPcLm1EEEEviT0_T1_
		.amdhsa_group_segment_fixed_size 0
		.amdhsa_private_segment_fixed_size 0
		.amdhsa_kernarg_size 16
		.amdhsa_user_sgpr_count 6
		.amdhsa_user_sgpr_private_segment_buffer 1
		.amdhsa_user_sgpr_dispatch_ptr 0
		.amdhsa_user_sgpr_queue_ptr 0
		.amdhsa_user_sgpr_kernarg_segment_ptr 1
		.amdhsa_user_sgpr_dispatch_id 0
		.amdhsa_user_sgpr_flat_scratch_init 0
		.amdhsa_user_sgpr_private_segment_size 0
		.amdhsa_uses_dynamic_stack 0
		.amdhsa_system_sgpr_private_segment_wavefront_offset 0
		.amdhsa_system_sgpr_workgroup_id_x 1
		.amdhsa_system_sgpr_workgroup_id_y 0
		.amdhsa_system_sgpr_workgroup_id_z 0
		.amdhsa_system_sgpr_workgroup_info 0
		.amdhsa_system_vgpr_workitem_id 0
		.amdhsa_next_free_vgpr 3
		.amdhsa_next_free_sgpr 8
		.amdhsa_reserve_vcc 1
		.amdhsa_reserve_flat_scratch 0
		.amdhsa_float_round_mode_32 0
		.amdhsa_float_round_mode_16_64 0
		.amdhsa_float_denorm_mode_32 3
		.amdhsa_float_denorm_mode_16_64 3
		.amdhsa_dx10_clamp 1
		.amdhsa_ieee_mode 1
		.amdhsa_fp16_overflow 0
		.amdhsa_exception_fp_ieee_invalid_op 0
		.amdhsa_exception_fp_denorm_src 0
		.amdhsa_exception_fp_ieee_div_zero 0
		.amdhsa_exception_fp_ieee_overflow 0
		.amdhsa_exception_fp_ieee_underflow 0
		.amdhsa_exception_fp_ieee_inexact 0
		.amdhsa_exception_int_div_zero 0
	.end_amdhsa_kernel
	.section	.text._ZN2at6native29vectorized_elementwise_kernelILi2ENS0_11FillFunctorIN3c1011Float8_e5m2EEESt5arrayIPcLm1EEEEviT0_T1_,"axG",@progbits,_ZN2at6native29vectorized_elementwise_kernelILi2ENS0_11FillFunctorIN3c1011Float8_e5m2EEESt5arrayIPcLm1EEEEviT0_T1_,comdat
.Lfunc_end115:
	.size	_ZN2at6native29vectorized_elementwise_kernelILi2ENS0_11FillFunctorIN3c1011Float8_e5m2EEESt5arrayIPcLm1EEEEviT0_T1_, .Lfunc_end115-_ZN2at6native29vectorized_elementwise_kernelILi2ENS0_11FillFunctorIN3c1011Float8_e5m2EEESt5arrayIPcLm1EEEEviT0_T1_
                                        ; -- End function
	.set _ZN2at6native29vectorized_elementwise_kernelILi2ENS0_11FillFunctorIN3c1011Float8_e5m2EEESt5arrayIPcLm1EEEEviT0_T1_.num_vgpr, 3
	.set _ZN2at6native29vectorized_elementwise_kernelILi2ENS0_11FillFunctorIN3c1011Float8_e5m2EEESt5arrayIPcLm1EEEEviT0_T1_.num_agpr, 0
	.set _ZN2at6native29vectorized_elementwise_kernelILi2ENS0_11FillFunctorIN3c1011Float8_e5m2EEESt5arrayIPcLm1EEEEviT0_T1_.numbered_sgpr, 8
	.set _ZN2at6native29vectorized_elementwise_kernelILi2ENS0_11FillFunctorIN3c1011Float8_e5m2EEESt5arrayIPcLm1EEEEviT0_T1_.num_named_barrier, 0
	.set _ZN2at6native29vectorized_elementwise_kernelILi2ENS0_11FillFunctorIN3c1011Float8_e5m2EEESt5arrayIPcLm1EEEEviT0_T1_.private_seg_size, 0
	.set _ZN2at6native29vectorized_elementwise_kernelILi2ENS0_11FillFunctorIN3c1011Float8_e5m2EEESt5arrayIPcLm1EEEEviT0_T1_.uses_vcc, 1
	.set _ZN2at6native29vectorized_elementwise_kernelILi2ENS0_11FillFunctorIN3c1011Float8_e5m2EEESt5arrayIPcLm1EEEEviT0_T1_.uses_flat_scratch, 0
	.set _ZN2at6native29vectorized_elementwise_kernelILi2ENS0_11FillFunctorIN3c1011Float8_e5m2EEESt5arrayIPcLm1EEEEviT0_T1_.has_dyn_sized_stack, 0
	.set _ZN2at6native29vectorized_elementwise_kernelILi2ENS0_11FillFunctorIN3c1011Float8_e5m2EEESt5arrayIPcLm1EEEEviT0_T1_.has_recursion, 0
	.set _ZN2at6native29vectorized_elementwise_kernelILi2ENS0_11FillFunctorIN3c1011Float8_e5m2EEESt5arrayIPcLm1EEEEviT0_T1_.has_indirect_call, 0
	.section	.AMDGPU.csdata,"",@progbits
; Kernel info:
; codeLenInByte = 1024
; TotalNumSgprs: 12
; NumVgprs: 3
; ScratchSize: 0
; MemoryBound: 0
; FloatMode: 240
; IeeeMode: 1
; LDSByteSize: 0 bytes/workgroup (compile time only)
; SGPRBlocks: 1
; VGPRBlocks: 0
; NumSGPRsForWavesPerEU: 12
; NumVGPRsForWavesPerEU: 3
; Occupancy: 10
; WaveLimiterHint : 1
; COMPUTE_PGM_RSRC2:SCRATCH_EN: 0
; COMPUTE_PGM_RSRC2:USER_SGPR: 6
; COMPUTE_PGM_RSRC2:TRAP_HANDLER: 0
; COMPUTE_PGM_RSRC2:TGID_X_EN: 1
; COMPUTE_PGM_RSRC2:TGID_Y_EN: 0
; COMPUTE_PGM_RSRC2:TGID_Z_EN: 0
; COMPUTE_PGM_RSRC2:TIDIG_COMP_CNT: 0
	.section	.text._ZN2at6native27unrolled_elementwise_kernelINS0_11FillFunctorIN3c1011Float8_e5m2EEESt5arrayIPcLm1EELi4E23TrivialOffsetCalculatorILi0EjES9_ILi1EjENS0_6memory15LoadWithoutCastENSC_16StoreWithoutCastEEEviT_T0_T2_T3_T4_T5_,"axG",@progbits,_ZN2at6native27unrolled_elementwise_kernelINS0_11FillFunctorIN3c1011Float8_e5m2EEESt5arrayIPcLm1EELi4E23TrivialOffsetCalculatorILi0EjES9_ILi1EjENS0_6memory15LoadWithoutCastENSC_16StoreWithoutCastEEEviT_T0_T2_T3_T4_T5_,comdat
	.protected	_ZN2at6native27unrolled_elementwise_kernelINS0_11FillFunctorIN3c1011Float8_e5m2EEESt5arrayIPcLm1EELi4E23TrivialOffsetCalculatorILi0EjES9_ILi1EjENS0_6memory15LoadWithoutCastENSC_16StoreWithoutCastEEEviT_T0_T2_T3_T4_T5_ ; -- Begin function _ZN2at6native27unrolled_elementwise_kernelINS0_11FillFunctorIN3c1011Float8_e5m2EEESt5arrayIPcLm1EELi4E23TrivialOffsetCalculatorILi0EjES9_ILi1EjENS0_6memory15LoadWithoutCastENSC_16StoreWithoutCastEEEviT_T0_T2_T3_T4_T5_
	.globl	_ZN2at6native27unrolled_elementwise_kernelINS0_11FillFunctorIN3c1011Float8_e5m2EEESt5arrayIPcLm1EELi4E23TrivialOffsetCalculatorILi0EjES9_ILi1EjENS0_6memory15LoadWithoutCastENSC_16StoreWithoutCastEEEviT_T0_T2_T3_T4_T5_
	.p2align	8
	.type	_ZN2at6native27unrolled_elementwise_kernelINS0_11FillFunctorIN3c1011Float8_e5m2EEESt5arrayIPcLm1EELi4E23TrivialOffsetCalculatorILi0EjES9_ILi1EjENS0_6memory15LoadWithoutCastENSC_16StoreWithoutCastEEEviT_T0_T2_T3_T4_T5_,@function
_ZN2at6native27unrolled_elementwise_kernelINS0_11FillFunctorIN3c1011Float8_e5m2EEESt5arrayIPcLm1EELi4E23TrivialOffsetCalculatorILi0EjES9_ILi1EjENS0_6memory15LoadWithoutCastENSC_16StoreWithoutCastEEEviT_T0_T2_T3_T4_T5_: ; @_ZN2at6native27unrolled_elementwise_kernelINS0_11FillFunctorIN3c1011Float8_e5m2EEESt5arrayIPcLm1EELi4E23TrivialOffsetCalculatorILi0EjES9_ILi1EjENS0_6memory15LoadWithoutCastENSC_16StoreWithoutCastEEEviT_T0_T2_T3_T4_T5_
; %bb.0:
	s_load_dwordx4 s[0:3], s[4:5], 0x0
	s_lshl_b32 s6, s6, 10
	s_waitcnt lgkmcnt(0)
	s_sub_i32 s0, s0, s6
	v_cmp_gt_i32_e32 vcc, s0, v0
	s_and_saveexec_b64 s[4:5], vcc
	s_cbranch_execnz .LBB116_5
; %bb.1:
	s_or_b64 exec, exec, s[4:5]
	v_cmp_gt_i32_e32 vcc, s0, v0
	s_and_saveexec_b64 s[4:5], vcc
	s_cbranch_execnz .LBB116_6
.LBB116_2:
	s_or_b64 exec, exec, s[4:5]
	v_cmp_gt_i32_e32 vcc, s0, v0
	s_and_saveexec_b64 s[4:5], vcc
	s_cbranch_execnz .LBB116_7
.LBB116_3:
	s_or_b64 exec, exec, s[4:5]
	v_cmp_gt_i32_e32 vcc, s0, v0
	s_and_saveexec_b64 s[4:5], vcc
	s_cbranch_execnz .LBB116_8
.LBB116_4:
	s_endpgm
.LBB116_5:
	v_or_b32_e32 v1, s6, v0
	v_or_b32_e32 v0, 0x100, v0
	v_mov_b32_e32 v2, s1
	global_store_byte v1, v2, s[2:3]
	s_or_b64 exec, exec, s[4:5]
	v_cmp_gt_i32_e32 vcc, s0, v0
	s_and_saveexec_b64 s[4:5], vcc
	s_cbranch_execz .LBB116_2
.LBB116_6:
	v_add_u32_e32 v1, 0x100, v0
	v_add_u32_e32 v0, s6, v0
	v_mov_b32_e32 v2, s1
	global_store_byte v0, v2, s[2:3]
	v_mov_b32_e32 v0, v1
	s_or_b64 exec, exec, s[4:5]
	v_cmp_gt_i32_e32 vcc, s0, v0
	s_and_saveexec_b64 s[4:5], vcc
	s_cbranch_execz .LBB116_3
.LBB116_7:
	v_add_u32_e32 v1, 0x100, v0
	v_add_u32_e32 v0, s6, v0
	v_mov_b32_e32 v2, s1
	global_store_byte v0, v2, s[2:3]
	v_mov_b32_e32 v0, v1
	s_or_b64 exec, exec, s[4:5]
	v_cmp_gt_i32_e32 vcc, s0, v0
	s_and_saveexec_b64 s[4:5], vcc
	s_cbranch_execz .LBB116_4
.LBB116_8:
	v_add_u32_e32 v0, s6, v0
	v_mov_b32_e32 v1, s1
	global_store_byte v0, v1, s[2:3]
	s_endpgm
	.section	.rodata,"a",@progbits
	.p2align	6, 0x0
	.amdhsa_kernel _ZN2at6native27unrolled_elementwise_kernelINS0_11FillFunctorIN3c1011Float8_e5m2EEESt5arrayIPcLm1EELi4E23TrivialOffsetCalculatorILi0EjES9_ILi1EjENS0_6memory15LoadWithoutCastENSC_16StoreWithoutCastEEEviT_T0_T2_T3_T4_T5_
		.amdhsa_group_segment_fixed_size 0
		.amdhsa_private_segment_fixed_size 0
		.amdhsa_kernarg_size 20
		.amdhsa_user_sgpr_count 6
		.amdhsa_user_sgpr_private_segment_buffer 1
		.amdhsa_user_sgpr_dispatch_ptr 0
		.amdhsa_user_sgpr_queue_ptr 0
		.amdhsa_user_sgpr_kernarg_segment_ptr 1
		.amdhsa_user_sgpr_dispatch_id 0
		.amdhsa_user_sgpr_flat_scratch_init 0
		.amdhsa_user_sgpr_private_segment_size 0
		.amdhsa_uses_dynamic_stack 0
		.amdhsa_system_sgpr_private_segment_wavefront_offset 0
		.amdhsa_system_sgpr_workgroup_id_x 1
		.amdhsa_system_sgpr_workgroup_id_y 0
		.amdhsa_system_sgpr_workgroup_id_z 0
		.amdhsa_system_sgpr_workgroup_info 0
		.amdhsa_system_vgpr_workitem_id 0
		.amdhsa_next_free_vgpr 3
		.amdhsa_next_free_sgpr 7
		.amdhsa_reserve_vcc 1
		.amdhsa_reserve_flat_scratch 0
		.amdhsa_float_round_mode_32 0
		.amdhsa_float_round_mode_16_64 0
		.amdhsa_float_denorm_mode_32 3
		.amdhsa_float_denorm_mode_16_64 3
		.amdhsa_dx10_clamp 1
		.amdhsa_ieee_mode 1
		.amdhsa_fp16_overflow 0
		.amdhsa_exception_fp_ieee_invalid_op 0
		.amdhsa_exception_fp_denorm_src 0
		.amdhsa_exception_fp_ieee_div_zero 0
		.amdhsa_exception_fp_ieee_overflow 0
		.amdhsa_exception_fp_ieee_underflow 0
		.amdhsa_exception_fp_ieee_inexact 0
		.amdhsa_exception_int_div_zero 0
	.end_amdhsa_kernel
	.section	.text._ZN2at6native27unrolled_elementwise_kernelINS0_11FillFunctorIN3c1011Float8_e5m2EEESt5arrayIPcLm1EELi4E23TrivialOffsetCalculatorILi0EjES9_ILi1EjENS0_6memory15LoadWithoutCastENSC_16StoreWithoutCastEEEviT_T0_T2_T3_T4_T5_,"axG",@progbits,_ZN2at6native27unrolled_elementwise_kernelINS0_11FillFunctorIN3c1011Float8_e5m2EEESt5arrayIPcLm1EELi4E23TrivialOffsetCalculatorILi0EjES9_ILi1EjENS0_6memory15LoadWithoutCastENSC_16StoreWithoutCastEEEviT_T0_T2_T3_T4_T5_,comdat
.Lfunc_end116:
	.size	_ZN2at6native27unrolled_elementwise_kernelINS0_11FillFunctorIN3c1011Float8_e5m2EEESt5arrayIPcLm1EELi4E23TrivialOffsetCalculatorILi0EjES9_ILi1EjENS0_6memory15LoadWithoutCastENSC_16StoreWithoutCastEEEviT_T0_T2_T3_T4_T5_, .Lfunc_end116-_ZN2at6native27unrolled_elementwise_kernelINS0_11FillFunctorIN3c1011Float8_e5m2EEESt5arrayIPcLm1EELi4E23TrivialOffsetCalculatorILi0EjES9_ILi1EjENS0_6memory15LoadWithoutCastENSC_16StoreWithoutCastEEEviT_T0_T2_T3_T4_T5_
                                        ; -- End function
	.set _ZN2at6native27unrolled_elementwise_kernelINS0_11FillFunctorIN3c1011Float8_e5m2EEESt5arrayIPcLm1EELi4E23TrivialOffsetCalculatorILi0EjES9_ILi1EjENS0_6memory15LoadWithoutCastENSC_16StoreWithoutCastEEEviT_T0_T2_T3_T4_T5_.num_vgpr, 3
	.set _ZN2at6native27unrolled_elementwise_kernelINS0_11FillFunctorIN3c1011Float8_e5m2EEESt5arrayIPcLm1EELi4E23TrivialOffsetCalculatorILi0EjES9_ILi1EjENS0_6memory15LoadWithoutCastENSC_16StoreWithoutCastEEEviT_T0_T2_T3_T4_T5_.num_agpr, 0
	.set _ZN2at6native27unrolled_elementwise_kernelINS0_11FillFunctorIN3c1011Float8_e5m2EEESt5arrayIPcLm1EELi4E23TrivialOffsetCalculatorILi0EjES9_ILi1EjENS0_6memory15LoadWithoutCastENSC_16StoreWithoutCastEEEviT_T0_T2_T3_T4_T5_.numbered_sgpr, 7
	.set _ZN2at6native27unrolled_elementwise_kernelINS0_11FillFunctorIN3c1011Float8_e5m2EEESt5arrayIPcLm1EELi4E23TrivialOffsetCalculatorILi0EjES9_ILi1EjENS0_6memory15LoadWithoutCastENSC_16StoreWithoutCastEEEviT_T0_T2_T3_T4_T5_.num_named_barrier, 0
	.set _ZN2at6native27unrolled_elementwise_kernelINS0_11FillFunctorIN3c1011Float8_e5m2EEESt5arrayIPcLm1EELi4E23TrivialOffsetCalculatorILi0EjES9_ILi1EjENS0_6memory15LoadWithoutCastENSC_16StoreWithoutCastEEEviT_T0_T2_T3_T4_T5_.private_seg_size, 0
	.set _ZN2at6native27unrolled_elementwise_kernelINS0_11FillFunctorIN3c1011Float8_e5m2EEESt5arrayIPcLm1EELi4E23TrivialOffsetCalculatorILi0EjES9_ILi1EjENS0_6memory15LoadWithoutCastENSC_16StoreWithoutCastEEEviT_T0_T2_T3_T4_T5_.uses_vcc, 1
	.set _ZN2at6native27unrolled_elementwise_kernelINS0_11FillFunctorIN3c1011Float8_e5m2EEESt5arrayIPcLm1EELi4E23TrivialOffsetCalculatorILi0EjES9_ILi1EjENS0_6memory15LoadWithoutCastENSC_16StoreWithoutCastEEEviT_T0_T2_T3_T4_T5_.uses_flat_scratch, 0
	.set _ZN2at6native27unrolled_elementwise_kernelINS0_11FillFunctorIN3c1011Float8_e5m2EEESt5arrayIPcLm1EELi4E23TrivialOffsetCalculatorILi0EjES9_ILi1EjENS0_6memory15LoadWithoutCastENSC_16StoreWithoutCastEEEviT_T0_T2_T3_T4_T5_.has_dyn_sized_stack, 0
	.set _ZN2at6native27unrolled_elementwise_kernelINS0_11FillFunctorIN3c1011Float8_e5m2EEESt5arrayIPcLm1EELi4E23TrivialOffsetCalculatorILi0EjES9_ILi1EjENS0_6memory15LoadWithoutCastENSC_16StoreWithoutCastEEEviT_T0_T2_T3_T4_T5_.has_recursion, 0
	.set _ZN2at6native27unrolled_elementwise_kernelINS0_11FillFunctorIN3c1011Float8_e5m2EEESt5arrayIPcLm1EELi4E23TrivialOffsetCalculatorILi0EjES9_ILi1EjENS0_6memory15LoadWithoutCastENSC_16StoreWithoutCastEEEviT_T0_T2_T3_T4_T5_.has_indirect_call, 0
	.section	.AMDGPU.csdata,"",@progbits
; Kernel info:
; codeLenInByte = 232
; TotalNumSgprs: 11
; NumVgprs: 3
; ScratchSize: 0
; MemoryBound: 0
; FloatMode: 240
; IeeeMode: 1
; LDSByteSize: 0 bytes/workgroup (compile time only)
; SGPRBlocks: 1
; VGPRBlocks: 0
; NumSGPRsForWavesPerEU: 11
; NumVGPRsForWavesPerEU: 3
; Occupancy: 10
; WaveLimiterHint : 0
; COMPUTE_PGM_RSRC2:SCRATCH_EN: 0
; COMPUTE_PGM_RSRC2:USER_SGPR: 6
; COMPUTE_PGM_RSRC2:TRAP_HANDLER: 0
; COMPUTE_PGM_RSRC2:TGID_X_EN: 1
; COMPUTE_PGM_RSRC2:TGID_Y_EN: 0
; COMPUTE_PGM_RSRC2:TGID_Z_EN: 0
; COMPUTE_PGM_RSRC2:TIDIG_COMP_CNT: 0
	.section	.text._ZN2at6native32elementwise_kernel_manual_unrollILi128ELi8EZNS0_22gpu_kernel_impl_nocastINS0_11FillFunctorIN3c1011Float8_e5m2EEEEEvRNS_18TensorIteratorBaseERKT_EUlibE_EEviT1_,"axG",@progbits,_ZN2at6native32elementwise_kernel_manual_unrollILi128ELi8EZNS0_22gpu_kernel_impl_nocastINS0_11FillFunctorIN3c1011Float8_e5m2EEEEEvRNS_18TensorIteratorBaseERKT_EUlibE_EEviT1_,comdat
	.protected	_ZN2at6native32elementwise_kernel_manual_unrollILi128ELi8EZNS0_22gpu_kernel_impl_nocastINS0_11FillFunctorIN3c1011Float8_e5m2EEEEEvRNS_18TensorIteratorBaseERKT_EUlibE_EEviT1_ ; -- Begin function _ZN2at6native32elementwise_kernel_manual_unrollILi128ELi8EZNS0_22gpu_kernel_impl_nocastINS0_11FillFunctorIN3c1011Float8_e5m2EEEEEvRNS_18TensorIteratorBaseERKT_EUlibE_EEviT1_
	.globl	_ZN2at6native32elementwise_kernel_manual_unrollILi128ELi8EZNS0_22gpu_kernel_impl_nocastINS0_11FillFunctorIN3c1011Float8_e5m2EEEEEvRNS_18TensorIteratorBaseERKT_EUlibE_EEviT1_
	.p2align	8
	.type	_ZN2at6native32elementwise_kernel_manual_unrollILi128ELi8EZNS0_22gpu_kernel_impl_nocastINS0_11FillFunctorIN3c1011Float8_e5m2EEEEEvRNS_18TensorIteratorBaseERKT_EUlibE_EEviT1_,@function
_ZN2at6native32elementwise_kernel_manual_unrollILi128ELi8EZNS0_22gpu_kernel_impl_nocastINS0_11FillFunctorIN3c1011Float8_e5m2EEEEEvRNS_18TensorIteratorBaseERKT_EUlibE_EEviT1_: ; @_ZN2at6native32elementwise_kernel_manual_unrollILi128ELi8EZNS0_22gpu_kernel_impl_nocastINS0_11FillFunctorIN3c1011Float8_e5m2EEEEEvRNS_18TensorIteratorBaseERKT_EUlibE_EEviT1_
; %bb.0:
	s_load_dword s48, s[4:5], 0x0
	s_load_dword s33, s[4:5], 0x8
	s_add_u32 s20, s4, 8
	s_addc_u32 s21, s5, 0
	v_lshl_or_b32 v7, s6, 10, v0
	v_or_b32_e32 v9, 0x380, v7
	s_waitcnt lgkmcnt(0)
	s_add_i32 s46, s33, -1
	s_cmp_gt_u32 s46, 1
	v_cmp_le_i32_e32 vcc, s48, v9
	s_cselect_b64 s[22:23], -1, 0
	s_and_saveexec_b64 s[0:1], vcc
	s_xor_b64 s[24:25], exec, s[0:1]
	s_cbranch_execz .LBB117_7
; %bb.1:
	s_load_dwordx4 s[8:11], s[20:21], 0x4
	s_load_dwordx2 s[30:31], s[20:21], 0x14
	s_load_dwordx2 s[28:29], s[20:21], 0xc4
	;; [unrolled: 1-line block ×3, first 2 shown]
	s_load_dword s47, s[20:21], 0x110
	s_cmp_lg_u32 s33, 0
	s_cselect_b64 s[38:39], -1, 0
	s_add_u32 s36, s20, 0xc4
	s_addc_u32 s37, s21, 0
	s_min_u32 s49, s46, 15
	s_cmp_gt_u32 s33, 1
	s_cselect_b64 s[34:35], -1, 0
	v_cmp_gt_i32_e32 vcc, s48, v7
	s_and_saveexec_b64 s[40:41], vcc
	s_cbranch_execz .LBB117_14
; %bb.2:
	s_andn2_b64 vcc, exec, s[22:23]
	s_cbranch_vccnz .LBB117_21
; %bb.3:
	s_andn2_b64 vcc, exec, s[38:39]
	s_cbranch_vccnz .LBB117_129
; %bb.4:
	s_add_i32 s51, s49, 1
	s_cmp_eq_u32 s46, 2
	s_cbranch_scc1 .LBB117_131
; %bb.5:
	s_and_b32 s50, s51, 28
	s_mov_b32 s52, 0
	v_mov_b32_e32 v0, 0
	s_mov_b64 s[42:43], s[20:21]
	s_mov_b64 s[44:45], s[36:37]
	v_mov_b32_e32 v1, v7
.LBB117_6:                              ; =>This Inner Loop Header: Depth=1
	s_load_dwordx8 s[0:7], s[42:43], 0x4
	s_load_dwordx4 s[12:15], s[42:43], 0x24
	s_load_dwordx4 s[16:19], s[44:45], 0x0
	s_add_u32 s42, s42, 48
	s_addc_u32 s43, s43, 0
	s_waitcnt lgkmcnt(0)
	v_mul_hi_u32 v2, s1, v1
	s_add_i32 s52, s52, 4
	s_add_u32 s44, s44, 16
	s_addc_u32 s45, s45, 0
	v_add_u32_e32 v2, v1, v2
	v_lshrrev_b32_e32 v2, s2, v2
	v_mul_lo_u32 v3, v2, s0
	v_mul_hi_u32 v4, s4, v2
	s_cmp_lg_u32 s50, s52
	v_sub_u32_e32 v1, v1, v3
	v_add_u32_e32 v3, v2, v4
	v_lshrrev_b32_e32 v3, s5, v3
	v_mul_lo_u32 v4, v1, s16
	v_mul_hi_u32 v1, s7, v3
	v_mul_lo_u32 v6, v3, s3
	v_add_u32_e32 v1, v3, v1
	v_lshrrev_b32_e32 v5, s12, v1
	v_mul_hi_u32 v1, s14, v5
	v_sub_u32_e32 v2, v2, v6
	v_mul_lo_u32 v6, v5, s6
	v_mul_lo_u32 v2, v2, s17
	v_add_u32_e32 v1, v5, v1
	v_lshrrev_b32_e32 v1, s15, v1
	v_mul_lo_u32 v8, v1, s13
	v_sub_u32_e32 v3, v3, v6
	v_mul_lo_u32 v3, v3, s18
	v_add3_u32 v0, v4, v0, v2
	v_sub_u32_e32 v5, v5, v8
	v_mul_lo_u32 v5, v5, s19
	v_add3_u32 v0, v3, v0, v5
	s_cbranch_scc1 .LBB117_6
	s_branch .LBB117_132
.LBB117_7:
	s_andn2_saveexec_b64 s[0:1], s[24:25]
	s_cbranch_execz .LBB117_221
.LBB117_8:
	v_cndmask_b32_e64 v0, 0, 1, s[22:23]
	v_cmp_ne_u32_e64 s[0:1], 1, v0
	s_andn2_b64 vcc, exec, s[22:23]
	s_cbranch_vccnz .LBB117_20
; %bb.9:
	s_cmp_lg_u32 s33, 0
	s_mov_b32 s24, 0
	s_cbranch_scc0 .LBB117_23
; %bb.10:
	s_min_u32 s25, s46, 15
	s_add_i32 s25, s25, 1
	s_cmp_eq_u32 s46, 2
	s_cbranch_scc1 .LBB117_24
; %bb.11:
	s_and_b32 s24, s25, 28
	s_add_u32 s2, s20, 0xc4
	s_addc_u32 s3, s21, 0
	s_waitcnt lgkmcnt(0)
	s_mov_b32 s26, 0
	v_mov_b32_e32 v0, 0
	s_mov_b64 s[22:23], s[20:21]
	v_mov_b32_e32 v1, v7
.LBB117_12:                             ; =>This Inner Loop Header: Depth=1
	s_load_dwordx8 s[4:11], s[22:23], 0x4
	s_load_dwordx4 s[12:15], s[22:23], 0x24
	s_load_dwordx4 s[16:19], s[2:3], 0x0
	s_add_u32 s22, s22, 48
	s_addc_u32 s23, s23, 0
	s_waitcnt lgkmcnt(0)
	v_mul_hi_u32 v2, s5, v1
	s_add_i32 s26, s26, 4
	s_add_u32 s2, s2, 16
	s_addc_u32 s3, s3, 0
	v_add_u32_e32 v2, v1, v2
	v_lshrrev_b32_e32 v2, s6, v2
	v_mul_lo_u32 v3, v2, s4
	v_mul_hi_u32 v4, s8, v2
	s_cmp_lg_u32 s24, s26
	v_sub_u32_e32 v1, v1, v3
	v_add_u32_e32 v3, v2, v4
	v_lshrrev_b32_e32 v3, s9, v3
	v_mul_lo_u32 v4, v1, s16
	v_mul_hi_u32 v1, s11, v3
	v_mul_lo_u32 v6, v3, s7
	v_add_u32_e32 v1, v3, v1
	v_lshrrev_b32_e32 v5, s12, v1
	v_mul_hi_u32 v1, s14, v5
	v_sub_u32_e32 v2, v2, v6
	v_mul_lo_u32 v6, v5, s10
	v_mul_lo_u32 v2, v2, s17
	v_add_u32_e32 v1, v5, v1
	v_lshrrev_b32_e32 v1, s15, v1
	v_mul_lo_u32 v8, v1, s13
	v_sub_u32_e32 v3, v3, v6
	v_mul_lo_u32 v3, v3, s18
	v_add3_u32 v0, v4, v0, v2
	v_sub_u32_e32 v5, v5, v8
	v_mul_lo_u32 v5, v5, s19
	v_add3_u32 v0, v3, v0, v5
	s_cbranch_scc1 .LBB117_12
; %bb.13:
	s_and_b32 s6, s25, 3
	s_cmp_eq_u32 s6, 0
	s_cbranch_scc0 .LBB117_25
	s_branch .LBB117_27
.LBB117_14:
	s_or_b64 exec, exec, s[40:41]
	v_cmp_gt_i32_e32 vcc, s48, v7
	s_and_saveexec_b64 s[40:41], vcc
	s_cbranch_execz .LBB117_139
.LBB117_15:
	s_andn2_b64 vcc, exec, s[22:23]
	s_cbranch_vccnz .LBB117_22
; %bb.16:
	s_andn2_b64 vcc, exec, s[38:39]
	s_cbranch_vccnz .LBB117_130
; %bb.17:
	s_add_i32 s51, s49, 1
	s_cmp_eq_u32 s46, 2
	s_cbranch_scc1 .LBB117_147
; %bb.18:
	s_and_b32 s50, s51, 28
	s_mov_b32 s52, 0
	v_mov_b32_e32 v0, 0
	s_mov_b64 s[42:43], s[20:21]
	s_mov_b64 s[44:45], s[36:37]
	v_mov_b32_e32 v1, v7
.LBB117_19:                             ; =>This Inner Loop Header: Depth=1
	s_load_dwordx8 s[0:7], s[42:43], 0x4
	s_load_dwordx4 s[12:15], s[42:43], 0x24
	s_load_dwordx4 s[16:19], s[44:45], 0x0
	s_add_u32 s42, s42, 48
	s_addc_u32 s43, s43, 0
	s_waitcnt lgkmcnt(0)
	v_mul_hi_u32 v2, s1, v1
	s_add_i32 s52, s52, 4
	s_add_u32 s44, s44, 16
	s_addc_u32 s45, s45, 0
	v_add_u32_e32 v2, v1, v2
	v_lshrrev_b32_e32 v2, s2, v2
	v_mul_lo_u32 v3, v2, s0
	v_mul_hi_u32 v4, s4, v2
	s_cmp_eq_u32 s50, s52
	v_sub_u32_e32 v1, v1, v3
	v_add_u32_e32 v3, v2, v4
	v_lshrrev_b32_e32 v3, s5, v3
	v_mul_lo_u32 v4, v1, s16
	v_mul_hi_u32 v1, s7, v3
	v_mul_lo_u32 v6, v3, s3
	v_add_u32_e32 v1, v3, v1
	v_lshrrev_b32_e32 v5, s12, v1
	v_mul_hi_u32 v1, s14, v5
	v_sub_u32_e32 v2, v2, v6
	v_mul_lo_u32 v6, v5, s6
	v_mul_lo_u32 v2, v2, s17
	v_add_u32_e32 v1, v5, v1
	v_lshrrev_b32_e32 v1, s15, v1
	v_mul_lo_u32 v8, v1, s13
	v_sub_u32_e32 v3, v3, v6
	v_mul_lo_u32 v3, v3, s18
	v_add3_u32 v0, v4, v0, v2
	v_sub_u32_e32 v5, v5, v8
	v_mul_lo_u32 v5, v5, s19
	v_add3_u32 v0, v3, v0, v5
	s_cbranch_scc0 .LBB117_19
	s_branch .LBB117_148
.LBB117_20:
                                        ; implicit-def: $vgpr0
	s_branch .LBB117_28
.LBB117_21:
                                        ; implicit-def: $vgpr0
	s_branch .LBB117_136
.LBB117_22:
                                        ; implicit-def: $vgpr0
	s_branch .LBB117_152
.LBB117_23:
	v_mov_b32_e32 v0, 0
	s_branch .LBB117_27
.LBB117_24:
	v_mov_b32_e32 v0, 0
	v_mov_b32_e32 v1, v7
	s_and_b32 s6, s25, 3
	s_cmp_eq_u32 s6, 0
	s_cbranch_scc1 .LBB117_27
.LBB117_25:
	s_lshl_b32 s2, s24, 2
	s_add_u32 s2, s20, s2
	s_addc_u32 s3, s21, 0
	s_add_u32 s2, s2, 0xc4
	s_addc_u32 s3, s3, 0
	s_mul_i32 s4, s24, 12
	s_add_u32 s4, s20, s4
	s_addc_u32 s5, s21, 0
.LBB117_26:                             ; =>This Inner Loop Header: Depth=1
	s_waitcnt lgkmcnt(0)
	s_load_dwordx2 s[8:9], s[4:5], 0x4
	s_load_dword s7, s[4:5], 0xc
	s_add_u32 s4, s4, 12
	s_addc_u32 s5, s5, 0
	s_waitcnt lgkmcnt(0)
	v_mul_hi_u32 v2, s9, v1
	s_load_dword s9, s[2:3], 0x0
	s_add_u32 s2, s2, 4
	s_addc_u32 s3, s3, 0
	v_add_u32_e32 v2, v1, v2
	v_lshrrev_b32_e32 v2, s7, v2
	v_mul_lo_u32 v3, v2, s8
	s_add_i32 s6, s6, -1
	s_cmp_lg_u32 s6, 0
	v_sub_u32_e32 v1, v1, v3
	s_waitcnt lgkmcnt(0)
	v_mad_u64_u32 v[0:1], s[8:9], v1, s9, v[0:1]
	v_mov_b32_e32 v1, v2
	s_cbranch_scc1 .LBB117_26
.LBB117_27:
	s_cbranch_execnz .LBB117_30
.LBB117_28:
	s_load_dwordx4 s[4:7], s[20:21], 0x4
	s_load_dword s2, s[20:21], 0xc4
	s_cmp_lt_u32 s33, 2
	s_waitcnt lgkmcnt(0)
	v_mul_hi_u32 v0, s5, v7
	v_add_u32_e32 v0, v7, v0
	v_lshrrev_b32_e32 v1, s6, v0
	v_mul_lo_u32 v0, v1, s4
	v_sub_u32_e32 v0, v7, v0
	v_mul_lo_u32 v0, v0, s2
	s_cbranch_scc1 .LBB117_30
; %bb.29:
	s_load_dwordx4 s[4:7], s[20:21], 0x10
	s_load_dword s2, s[20:21], 0xc8
	s_waitcnt lgkmcnt(0)
	v_mul_hi_u32 v2, s5, v1
	v_add_u32_e32 v2, v1, v2
	v_lshrrev_b32_e32 v2, s6, v2
	v_mul_lo_u32 v2, v2, s4
	v_sub_u32_e32 v1, v1, v2
	v_mad_u64_u32 v[0:1], s[2:3], v1, s2, v[0:1]
.LBB117_30:
	s_and_b64 vcc, exec, s[0:1]
	v_add_u32_e32 v3, 0x80, v7
	s_cbranch_vccnz .LBB117_36
; %bb.31:
	s_cmp_lg_u32 s33, 0
	s_mov_b32 s24, 0
	s_cbranch_scc0 .LBB117_37
; %bb.32:
	s_min_u32 s25, s46, 15
	s_add_i32 s25, s25, 1
	s_cmp_eq_u32 s46, 2
	s_cbranch_scc1 .LBB117_38
; %bb.33:
	s_and_b32 s24, s25, 28
	s_add_u32 s2, s20, 0xc4
	s_addc_u32 s3, s21, 0
	s_waitcnt lgkmcnt(0)
	s_mov_b32 s26, 0
	v_mov_b32_e32 v1, 0
	s_mov_b64 s[22:23], s[20:21]
	v_mov_b32_e32 v2, v3
.LBB117_34:                             ; =>This Inner Loop Header: Depth=1
	s_load_dwordx8 s[4:11], s[22:23], 0x4
	s_load_dwordx4 s[12:15], s[22:23], 0x24
	s_load_dwordx4 s[16:19], s[2:3], 0x0
	s_add_u32 s22, s22, 48
	s_addc_u32 s23, s23, 0
	s_waitcnt lgkmcnt(0)
	v_mul_hi_u32 v4, s5, v2
	s_add_i32 s26, s26, 4
	s_add_u32 s2, s2, 16
	s_addc_u32 s3, s3, 0
	v_add_u32_e32 v4, v2, v4
	v_lshrrev_b32_e32 v4, s6, v4
	v_mul_lo_u32 v5, v4, s4
	v_mul_hi_u32 v6, s8, v4
	s_cmp_lg_u32 s24, s26
	v_sub_u32_e32 v2, v2, v5
	v_add_u32_e32 v5, v4, v6
	v_lshrrev_b32_e32 v5, s9, v5
	v_mul_lo_u32 v6, v2, s16
	v_mul_hi_u32 v2, s11, v5
	v_mul_lo_u32 v10, v5, s7
	v_add_u32_e32 v2, v5, v2
	v_lshrrev_b32_e32 v8, s12, v2
	v_mul_hi_u32 v2, s14, v8
	v_sub_u32_e32 v4, v4, v10
	v_mul_lo_u32 v10, v8, s10
	v_mul_lo_u32 v4, v4, s17
	v_add_u32_e32 v2, v8, v2
	v_lshrrev_b32_e32 v2, s15, v2
	v_mul_lo_u32 v11, v2, s13
	v_sub_u32_e32 v5, v5, v10
	v_mul_lo_u32 v5, v5, s18
	v_add3_u32 v1, v6, v1, v4
	v_sub_u32_e32 v8, v8, v11
	v_mul_lo_u32 v8, v8, s19
	v_add3_u32 v1, v5, v1, v8
	s_cbranch_scc1 .LBB117_34
; %bb.35:
	s_and_b32 s6, s25, 3
	s_cmp_eq_u32 s6, 0
	s_cbranch_scc0 .LBB117_39
	s_branch .LBB117_41
.LBB117_36:
                                        ; implicit-def: $vgpr1
	s_branch .LBB117_42
.LBB117_37:
	v_mov_b32_e32 v1, 0
	s_branch .LBB117_41
.LBB117_38:
	v_mov_b32_e32 v1, 0
	v_mov_b32_e32 v2, v3
	s_and_b32 s6, s25, 3
	s_cmp_eq_u32 s6, 0
	s_cbranch_scc1 .LBB117_41
.LBB117_39:
	s_lshl_b32 s2, s24, 2
	s_add_u32 s2, s20, s2
	s_addc_u32 s3, s21, 0
	s_add_u32 s2, s2, 0xc4
	s_addc_u32 s3, s3, 0
	s_mul_i32 s4, s24, 12
	s_add_u32 s4, s20, s4
	s_addc_u32 s5, s21, 0
.LBB117_40:                             ; =>This Inner Loop Header: Depth=1
	s_waitcnt lgkmcnt(0)
	s_load_dwordx2 s[8:9], s[4:5], 0x4
	s_load_dword s7, s[4:5], 0xc
	s_add_u32 s4, s4, 12
	s_addc_u32 s5, s5, 0
	s_waitcnt lgkmcnt(0)
	v_mul_hi_u32 v4, s9, v2
	s_load_dword s9, s[2:3], 0x0
	s_add_u32 s2, s2, 4
	s_addc_u32 s3, s3, 0
	v_add_u32_e32 v4, v2, v4
	v_lshrrev_b32_e32 v4, s7, v4
	v_mul_lo_u32 v5, v4, s8
	s_add_i32 s6, s6, -1
	s_cmp_lg_u32 s6, 0
	v_sub_u32_e32 v2, v2, v5
	s_waitcnt lgkmcnt(0)
	v_mad_u64_u32 v[1:2], s[8:9], v2, s9, v[1:2]
	v_mov_b32_e32 v2, v4
	s_cbranch_scc1 .LBB117_40
.LBB117_41:
	s_cbranch_execnz .LBB117_44
.LBB117_42:
	s_load_dwordx4 s[4:7], s[20:21], 0x4
	s_load_dword s2, s[20:21], 0xc4
	s_cmp_lt_u32 s33, 2
	s_waitcnt lgkmcnt(0)
	v_mul_hi_u32 v1, s5, v3
	v_add_u32_e32 v1, v3, v1
	v_lshrrev_b32_e32 v2, s6, v1
	v_mul_lo_u32 v1, v2, s4
	v_sub_u32_e32 v1, v3, v1
	v_mul_lo_u32 v1, v1, s2
	s_cbranch_scc1 .LBB117_44
; %bb.43:
	s_load_dwordx4 s[4:7], s[20:21], 0x10
	s_load_dword s2, s[20:21], 0xc8
	s_waitcnt lgkmcnt(0)
	v_mul_hi_u32 v3, s5, v2
	v_add_u32_e32 v3, v2, v3
	v_lshrrev_b32_e32 v3, s6, v3
	v_mul_lo_u32 v3, v3, s4
	v_sub_u32_e32 v2, v2, v3
	v_mad_u64_u32 v[1:2], s[2:3], v2, s2, v[1:2]
.LBB117_44:
	s_and_b64 vcc, exec, s[0:1]
	v_add_u32_e32 v4, 0x100, v7
	s_cbranch_vccnz .LBB117_50
; %bb.45:
	s_cmp_lg_u32 s33, 0
	s_mov_b32 s24, 0
	s_cbranch_scc0 .LBB117_51
; %bb.46:
	s_min_u32 s25, s46, 15
	s_add_i32 s25, s25, 1
	s_cmp_eq_u32 s46, 2
	s_cbranch_scc1 .LBB117_52
; %bb.47:
	s_and_b32 s24, s25, 28
	s_add_u32 s2, s20, 0xc4
	s_addc_u32 s3, s21, 0
	s_waitcnt lgkmcnt(0)
	s_mov_b32 s26, 0
	v_mov_b32_e32 v2, 0
	s_mov_b64 s[22:23], s[20:21]
	v_mov_b32_e32 v3, v4
.LBB117_48:                             ; =>This Inner Loop Header: Depth=1
	s_load_dwordx8 s[4:11], s[22:23], 0x4
	s_load_dwordx4 s[12:15], s[22:23], 0x24
	s_load_dwordx4 s[16:19], s[2:3], 0x0
	s_add_u32 s22, s22, 48
	s_addc_u32 s23, s23, 0
	s_waitcnt lgkmcnt(0)
	v_mul_hi_u32 v5, s5, v3
	s_add_i32 s26, s26, 4
	s_add_u32 s2, s2, 16
	s_addc_u32 s3, s3, 0
	v_add_u32_e32 v5, v3, v5
	v_lshrrev_b32_e32 v5, s6, v5
	v_mul_lo_u32 v6, v5, s4
	v_mul_hi_u32 v8, s8, v5
	s_cmp_lg_u32 s24, s26
	v_sub_u32_e32 v3, v3, v6
	v_add_u32_e32 v6, v5, v8
	v_lshrrev_b32_e32 v6, s9, v6
	v_mul_lo_u32 v8, v3, s16
	v_mul_hi_u32 v3, s11, v6
	v_mul_lo_u32 v11, v6, s7
	v_add_u32_e32 v3, v6, v3
	v_lshrrev_b32_e32 v10, s12, v3
	v_mul_hi_u32 v3, s14, v10
	v_sub_u32_e32 v5, v5, v11
	v_mul_lo_u32 v11, v10, s10
	v_mul_lo_u32 v5, v5, s17
	v_add_u32_e32 v3, v10, v3
	v_lshrrev_b32_e32 v3, s15, v3
	v_mul_lo_u32 v12, v3, s13
	v_sub_u32_e32 v6, v6, v11
	v_mul_lo_u32 v6, v6, s18
	v_add3_u32 v2, v8, v2, v5
	v_sub_u32_e32 v10, v10, v12
	v_mul_lo_u32 v10, v10, s19
	v_add3_u32 v2, v6, v2, v10
	s_cbranch_scc1 .LBB117_48
; %bb.49:
	s_and_b32 s6, s25, 3
	s_cmp_eq_u32 s6, 0
	s_cbranch_scc0 .LBB117_53
	s_branch .LBB117_55
.LBB117_50:
                                        ; implicit-def: $vgpr2
	s_branch .LBB117_56
.LBB117_51:
	v_mov_b32_e32 v2, 0
	s_branch .LBB117_55
.LBB117_52:
	v_mov_b32_e32 v2, 0
	v_mov_b32_e32 v3, v4
	s_and_b32 s6, s25, 3
	s_cmp_eq_u32 s6, 0
	s_cbranch_scc1 .LBB117_55
.LBB117_53:
	s_lshl_b32 s2, s24, 2
	s_add_u32 s2, s20, s2
	s_addc_u32 s3, s21, 0
	s_add_u32 s2, s2, 0xc4
	s_addc_u32 s3, s3, 0
	s_mul_i32 s4, s24, 12
	s_add_u32 s4, s20, s4
	s_addc_u32 s5, s21, 0
.LBB117_54:                             ; =>This Inner Loop Header: Depth=1
	s_waitcnt lgkmcnt(0)
	s_load_dwordx2 s[8:9], s[4:5], 0x4
	s_load_dword s7, s[4:5], 0xc
	s_add_u32 s4, s4, 12
	s_addc_u32 s5, s5, 0
	s_waitcnt lgkmcnt(0)
	v_mul_hi_u32 v5, s9, v3
	s_load_dword s9, s[2:3], 0x0
	s_add_u32 s2, s2, 4
	s_addc_u32 s3, s3, 0
	v_add_u32_e32 v5, v3, v5
	v_lshrrev_b32_e32 v5, s7, v5
	v_mul_lo_u32 v6, v5, s8
	s_add_i32 s6, s6, -1
	s_cmp_lg_u32 s6, 0
	v_sub_u32_e32 v3, v3, v6
	s_waitcnt lgkmcnt(0)
	v_mad_u64_u32 v[2:3], s[8:9], v3, s9, v[2:3]
	v_mov_b32_e32 v3, v5
	s_cbranch_scc1 .LBB117_54
.LBB117_55:
	s_cbranch_execnz .LBB117_58
.LBB117_56:
	s_load_dwordx4 s[4:7], s[20:21], 0x4
	s_load_dword s2, s[20:21], 0xc4
	s_cmp_lt_u32 s33, 2
	s_waitcnt lgkmcnt(0)
	v_mul_hi_u32 v2, s5, v4
	v_add_u32_e32 v2, v4, v2
	v_lshrrev_b32_e32 v3, s6, v2
	v_mul_lo_u32 v2, v3, s4
	v_sub_u32_e32 v2, v4, v2
	v_mul_lo_u32 v2, v2, s2
	s_cbranch_scc1 .LBB117_58
; %bb.57:
	s_load_dwordx4 s[4:7], s[20:21], 0x10
	s_load_dword s2, s[20:21], 0xc8
	s_waitcnt lgkmcnt(0)
	v_mul_hi_u32 v4, s5, v3
	v_add_u32_e32 v4, v3, v4
	v_lshrrev_b32_e32 v4, s6, v4
	v_mul_lo_u32 v4, v4, s4
	v_sub_u32_e32 v3, v3, v4
	v_mad_u64_u32 v[2:3], s[2:3], v3, s2, v[2:3]
.LBB117_58:
	s_and_b64 vcc, exec, s[0:1]
	v_add_u32_e32 v5, 0x180, v7
	s_cbranch_vccnz .LBB117_64
; %bb.59:
	s_cmp_lg_u32 s33, 0
	s_mov_b32 s24, 0
	s_cbranch_scc0 .LBB117_65
; %bb.60:
	s_min_u32 s25, s46, 15
	s_add_i32 s25, s25, 1
	s_cmp_eq_u32 s46, 2
	s_cbranch_scc1 .LBB117_66
; %bb.61:
	s_and_b32 s24, s25, 28
	s_add_u32 s2, s20, 0xc4
	s_addc_u32 s3, s21, 0
	s_waitcnt lgkmcnt(0)
	s_mov_b32 s26, 0
	v_mov_b32_e32 v3, 0
	s_mov_b64 s[22:23], s[20:21]
	v_mov_b32_e32 v4, v5
.LBB117_62:                             ; =>This Inner Loop Header: Depth=1
	s_load_dwordx8 s[4:11], s[22:23], 0x4
	s_load_dwordx4 s[12:15], s[22:23], 0x24
	s_load_dwordx4 s[16:19], s[2:3], 0x0
	s_add_u32 s22, s22, 48
	s_addc_u32 s23, s23, 0
	s_waitcnt lgkmcnt(0)
	v_mul_hi_u32 v6, s5, v4
	s_add_i32 s26, s26, 4
	s_add_u32 s2, s2, 16
	s_addc_u32 s3, s3, 0
	v_add_u32_e32 v6, v4, v6
	v_lshrrev_b32_e32 v6, s6, v6
	v_mul_lo_u32 v8, v6, s4
	v_mul_hi_u32 v10, s8, v6
	s_cmp_lg_u32 s24, s26
	v_sub_u32_e32 v4, v4, v8
	v_add_u32_e32 v8, v6, v10
	v_lshrrev_b32_e32 v8, s9, v8
	v_mul_lo_u32 v10, v4, s16
	v_mul_hi_u32 v4, s11, v8
	v_mul_lo_u32 v12, v8, s7
	v_add_u32_e32 v4, v8, v4
	v_lshrrev_b32_e32 v11, s12, v4
	v_mul_hi_u32 v4, s14, v11
	v_sub_u32_e32 v6, v6, v12
	v_mul_lo_u32 v12, v11, s10
	v_mul_lo_u32 v6, v6, s17
	v_add_u32_e32 v4, v11, v4
	v_lshrrev_b32_e32 v4, s15, v4
	v_mul_lo_u32 v13, v4, s13
	v_sub_u32_e32 v8, v8, v12
	v_mul_lo_u32 v8, v8, s18
	v_add3_u32 v3, v10, v3, v6
	v_sub_u32_e32 v11, v11, v13
	v_mul_lo_u32 v11, v11, s19
	v_add3_u32 v3, v8, v3, v11
	s_cbranch_scc1 .LBB117_62
; %bb.63:
	s_and_b32 s6, s25, 3
	s_cmp_eq_u32 s6, 0
	s_cbranch_scc0 .LBB117_67
	s_branch .LBB117_69
.LBB117_64:
                                        ; implicit-def: $vgpr3
	s_branch .LBB117_70
.LBB117_65:
	v_mov_b32_e32 v3, 0
	s_branch .LBB117_69
.LBB117_66:
	v_mov_b32_e32 v3, 0
	v_mov_b32_e32 v4, v5
	s_and_b32 s6, s25, 3
	s_cmp_eq_u32 s6, 0
	s_cbranch_scc1 .LBB117_69
.LBB117_67:
	s_lshl_b32 s2, s24, 2
	s_add_u32 s2, s20, s2
	s_addc_u32 s3, s21, 0
	s_add_u32 s2, s2, 0xc4
	s_addc_u32 s3, s3, 0
	s_mul_i32 s4, s24, 12
	s_add_u32 s4, s20, s4
	s_addc_u32 s5, s21, 0
.LBB117_68:                             ; =>This Inner Loop Header: Depth=1
	s_waitcnt lgkmcnt(0)
	s_load_dwordx2 s[8:9], s[4:5], 0x4
	s_load_dword s7, s[4:5], 0xc
	s_add_u32 s4, s4, 12
	s_addc_u32 s5, s5, 0
	s_waitcnt lgkmcnt(0)
	v_mul_hi_u32 v6, s9, v4
	s_load_dword s9, s[2:3], 0x0
	s_add_u32 s2, s2, 4
	s_addc_u32 s3, s3, 0
	v_add_u32_e32 v6, v4, v6
	v_lshrrev_b32_e32 v6, s7, v6
	v_mul_lo_u32 v8, v6, s8
	s_add_i32 s6, s6, -1
	s_cmp_lg_u32 s6, 0
	v_sub_u32_e32 v4, v4, v8
	s_waitcnt lgkmcnt(0)
	v_mad_u64_u32 v[3:4], s[8:9], v4, s9, v[3:4]
	v_mov_b32_e32 v4, v6
	s_cbranch_scc1 .LBB117_68
.LBB117_69:
	s_cbranch_execnz .LBB117_72
.LBB117_70:
	s_load_dwordx4 s[4:7], s[20:21], 0x4
	s_load_dword s2, s[20:21], 0xc4
	s_cmp_lt_u32 s33, 2
	s_waitcnt lgkmcnt(0)
	v_mul_hi_u32 v3, s5, v5
	v_add_u32_e32 v3, v5, v3
	v_lshrrev_b32_e32 v4, s6, v3
	v_mul_lo_u32 v3, v4, s4
	v_sub_u32_e32 v3, v5, v3
	v_mul_lo_u32 v3, v3, s2
	s_cbranch_scc1 .LBB117_72
; %bb.71:
	s_load_dwordx4 s[4:7], s[20:21], 0x10
	s_load_dword s2, s[20:21], 0xc8
	s_waitcnt lgkmcnt(0)
	v_mul_hi_u32 v5, s5, v4
	v_add_u32_e32 v5, v4, v5
	v_lshrrev_b32_e32 v5, s6, v5
	v_mul_lo_u32 v5, v5, s4
	v_sub_u32_e32 v4, v4, v5
	v_mad_u64_u32 v[3:4], s[2:3], v4, s2, v[3:4]
.LBB117_72:
	s_and_b64 vcc, exec, s[0:1]
	v_add_u32_e32 v6, 0x200, v7
	s_cbranch_vccnz .LBB117_78
; %bb.73:
	s_cmp_lg_u32 s33, 0
	s_mov_b32 s24, 0
	s_cbranch_scc0 .LBB117_79
; %bb.74:
	s_min_u32 s25, s46, 15
	s_add_i32 s25, s25, 1
	s_cmp_eq_u32 s46, 2
	s_cbranch_scc1 .LBB117_80
; %bb.75:
	s_and_b32 s24, s25, 28
	s_add_u32 s2, s20, 0xc4
	s_addc_u32 s3, s21, 0
	s_waitcnt lgkmcnt(0)
	s_mov_b32 s26, 0
	v_mov_b32_e32 v4, 0
	s_mov_b64 s[22:23], s[20:21]
	v_mov_b32_e32 v5, v6
.LBB117_76:                             ; =>This Inner Loop Header: Depth=1
	s_load_dwordx8 s[4:11], s[22:23], 0x4
	s_load_dwordx4 s[12:15], s[22:23], 0x24
	s_load_dwordx4 s[16:19], s[2:3], 0x0
	s_add_u32 s22, s22, 48
	s_addc_u32 s23, s23, 0
	s_waitcnt lgkmcnt(0)
	v_mul_hi_u32 v8, s5, v5
	s_add_i32 s26, s26, 4
	s_add_u32 s2, s2, 16
	s_addc_u32 s3, s3, 0
	v_add_u32_e32 v8, v5, v8
	v_lshrrev_b32_e32 v8, s6, v8
	v_mul_lo_u32 v10, v8, s4
	v_mul_hi_u32 v11, s8, v8
	s_cmp_lg_u32 s24, s26
	v_sub_u32_e32 v5, v5, v10
	v_add_u32_e32 v10, v8, v11
	v_lshrrev_b32_e32 v10, s9, v10
	v_mul_lo_u32 v11, v5, s16
	v_mul_hi_u32 v5, s11, v10
	v_mul_lo_u32 v13, v10, s7
	v_add_u32_e32 v5, v10, v5
	v_lshrrev_b32_e32 v12, s12, v5
	v_mul_hi_u32 v5, s14, v12
	v_sub_u32_e32 v8, v8, v13
	v_mul_lo_u32 v13, v12, s10
	v_mul_lo_u32 v8, v8, s17
	v_add_u32_e32 v5, v12, v5
	v_lshrrev_b32_e32 v5, s15, v5
	v_mul_lo_u32 v14, v5, s13
	v_sub_u32_e32 v10, v10, v13
	v_mul_lo_u32 v10, v10, s18
	v_add3_u32 v4, v11, v4, v8
	v_sub_u32_e32 v12, v12, v14
	v_mul_lo_u32 v12, v12, s19
	v_add3_u32 v4, v10, v4, v12
	s_cbranch_scc1 .LBB117_76
; %bb.77:
	s_and_b32 s6, s25, 3
	s_cmp_eq_u32 s6, 0
	s_cbranch_scc0 .LBB117_81
	s_branch .LBB117_83
.LBB117_78:
                                        ; implicit-def: $vgpr4
	s_branch .LBB117_84
.LBB117_79:
	v_mov_b32_e32 v4, 0
	s_branch .LBB117_83
.LBB117_80:
	v_mov_b32_e32 v4, 0
	v_mov_b32_e32 v5, v6
	s_and_b32 s6, s25, 3
	s_cmp_eq_u32 s6, 0
	s_cbranch_scc1 .LBB117_83
.LBB117_81:
	s_lshl_b32 s2, s24, 2
	s_add_u32 s2, s20, s2
	s_addc_u32 s3, s21, 0
	s_add_u32 s2, s2, 0xc4
	s_addc_u32 s3, s3, 0
	s_mul_i32 s4, s24, 12
	s_add_u32 s4, s20, s4
	s_addc_u32 s5, s21, 0
.LBB117_82:                             ; =>This Inner Loop Header: Depth=1
	s_waitcnt lgkmcnt(0)
	s_load_dwordx2 s[8:9], s[4:5], 0x4
	s_load_dword s7, s[4:5], 0xc
	s_add_u32 s4, s4, 12
	s_addc_u32 s5, s5, 0
	s_waitcnt lgkmcnt(0)
	v_mul_hi_u32 v8, s9, v5
	s_load_dword s9, s[2:3], 0x0
	s_add_u32 s2, s2, 4
	s_addc_u32 s3, s3, 0
	v_add_u32_e32 v8, v5, v8
	v_lshrrev_b32_e32 v8, s7, v8
	v_mul_lo_u32 v10, v8, s8
	s_add_i32 s6, s6, -1
	s_cmp_lg_u32 s6, 0
	v_sub_u32_e32 v5, v5, v10
	s_waitcnt lgkmcnt(0)
	v_mad_u64_u32 v[4:5], s[8:9], v5, s9, v[4:5]
	v_mov_b32_e32 v5, v8
	s_cbranch_scc1 .LBB117_82
.LBB117_83:
	s_cbranch_execnz .LBB117_86
.LBB117_84:
	s_load_dwordx4 s[4:7], s[20:21], 0x4
	s_load_dword s2, s[20:21], 0xc4
	s_cmp_lt_u32 s33, 2
	s_waitcnt lgkmcnt(0)
	v_mul_hi_u32 v4, s5, v6
	v_add_u32_e32 v4, v6, v4
	v_lshrrev_b32_e32 v5, s6, v4
	v_mul_lo_u32 v4, v5, s4
	v_sub_u32_e32 v4, v6, v4
	v_mul_lo_u32 v4, v4, s2
	s_cbranch_scc1 .LBB117_86
; %bb.85:
	s_load_dwordx4 s[4:7], s[20:21], 0x10
	s_load_dword s2, s[20:21], 0xc8
	s_waitcnt lgkmcnt(0)
	v_mul_hi_u32 v6, s5, v5
	v_add_u32_e32 v6, v5, v6
	v_lshrrev_b32_e32 v6, s6, v6
	v_mul_lo_u32 v6, v6, s4
	v_sub_u32_e32 v5, v5, v6
	v_mad_u64_u32 v[4:5], s[2:3], v5, s2, v[4:5]
.LBB117_86:
	s_and_b64 vcc, exec, s[0:1]
	v_add_u32_e32 v8, 0x280, v7
	s_cbranch_vccnz .LBB117_92
; %bb.87:
	s_cmp_lg_u32 s33, 0
	s_mov_b32 s24, 0
	s_cbranch_scc0 .LBB117_93
; %bb.88:
	s_min_u32 s25, s46, 15
	s_add_i32 s25, s25, 1
	s_cmp_eq_u32 s46, 2
	s_cbranch_scc1 .LBB117_94
; %bb.89:
	s_and_b32 s24, s25, 28
	s_add_u32 s2, s20, 0xc4
	s_addc_u32 s3, s21, 0
	s_waitcnt lgkmcnt(0)
	s_mov_b32 s26, 0
	v_mov_b32_e32 v5, 0
	s_mov_b64 s[22:23], s[20:21]
	v_mov_b32_e32 v6, v8
.LBB117_90:                             ; =>This Inner Loop Header: Depth=1
	s_load_dwordx8 s[4:11], s[22:23], 0x4
	s_load_dwordx4 s[12:15], s[22:23], 0x24
	s_load_dwordx4 s[16:19], s[2:3], 0x0
	s_add_u32 s22, s22, 48
	s_addc_u32 s23, s23, 0
	s_waitcnt lgkmcnt(0)
	v_mul_hi_u32 v10, s5, v6
	s_add_i32 s26, s26, 4
	s_add_u32 s2, s2, 16
	s_addc_u32 s3, s3, 0
	v_add_u32_e32 v10, v6, v10
	v_lshrrev_b32_e32 v10, s6, v10
	v_mul_lo_u32 v11, v10, s4
	v_mul_hi_u32 v12, s8, v10
	s_cmp_lg_u32 s24, s26
	v_sub_u32_e32 v6, v6, v11
	v_add_u32_e32 v11, v10, v12
	v_lshrrev_b32_e32 v11, s9, v11
	v_mul_lo_u32 v12, v6, s16
	v_mul_hi_u32 v6, s11, v11
	v_mul_lo_u32 v14, v11, s7
	v_add_u32_e32 v6, v11, v6
	v_lshrrev_b32_e32 v13, s12, v6
	v_mul_hi_u32 v6, s14, v13
	v_sub_u32_e32 v10, v10, v14
	v_mul_lo_u32 v14, v13, s10
	v_mul_lo_u32 v10, v10, s17
	v_add_u32_e32 v6, v13, v6
	v_lshrrev_b32_e32 v6, s15, v6
	v_mul_lo_u32 v15, v6, s13
	v_sub_u32_e32 v11, v11, v14
	v_mul_lo_u32 v11, v11, s18
	v_add3_u32 v5, v12, v5, v10
	v_sub_u32_e32 v13, v13, v15
	v_mul_lo_u32 v13, v13, s19
	v_add3_u32 v5, v11, v5, v13
	s_cbranch_scc1 .LBB117_90
; %bb.91:
	s_and_b32 s6, s25, 3
	s_cmp_eq_u32 s6, 0
	s_cbranch_scc0 .LBB117_95
	s_branch .LBB117_97
.LBB117_92:
                                        ; implicit-def: $vgpr5
	s_branch .LBB117_98
.LBB117_93:
	v_mov_b32_e32 v5, 0
	s_branch .LBB117_97
.LBB117_94:
	v_mov_b32_e32 v5, 0
	v_mov_b32_e32 v6, v8
	s_and_b32 s6, s25, 3
	s_cmp_eq_u32 s6, 0
	s_cbranch_scc1 .LBB117_97
.LBB117_95:
	s_lshl_b32 s2, s24, 2
	s_add_u32 s2, s20, s2
	s_addc_u32 s3, s21, 0
	s_add_u32 s2, s2, 0xc4
	s_addc_u32 s3, s3, 0
	s_mul_i32 s4, s24, 12
	s_add_u32 s4, s20, s4
	s_addc_u32 s5, s21, 0
.LBB117_96:                             ; =>This Inner Loop Header: Depth=1
	s_waitcnt lgkmcnt(0)
	s_load_dwordx2 s[8:9], s[4:5], 0x4
	s_load_dword s7, s[4:5], 0xc
	s_add_u32 s4, s4, 12
	s_addc_u32 s5, s5, 0
	s_waitcnt lgkmcnt(0)
	v_mul_hi_u32 v10, s9, v6
	s_load_dword s9, s[2:3], 0x0
	s_add_u32 s2, s2, 4
	s_addc_u32 s3, s3, 0
	v_add_u32_e32 v10, v6, v10
	v_lshrrev_b32_e32 v10, s7, v10
	v_mul_lo_u32 v11, v10, s8
	s_add_i32 s6, s6, -1
	s_cmp_lg_u32 s6, 0
	v_sub_u32_e32 v6, v6, v11
	s_waitcnt lgkmcnt(0)
	v_mad_u64_u32 v[5:6], s[8:9], v6, s9, v[5:6]
	v_mov_b32_e32 v6, v10
	s_cbranch_scc1 .LBB117_96
.LBB117_97:
	s_cbranch_execnz .LBB117_100
.LBB117_98:
	s_load_dwordx4 s[4:7], s[20:21], 0x4
	s_load_dword s2, s[20:21], 0xc4
	s_cmp_lt_u32 s33, 2
	s_waitcnt lgkmcnt(0)
	v_mul_hi_u32 v5, s5, v8
	v_add_u32_e32 v5, v8, v5
	v_lshrrev_b32_e32 v6, s6, v5
	v_mul_lo_u32 v5, v6, s4
	v_sub_u32_e32 v5, v8, v5
	v_mul_lo_u32 v5, v5, s2
	s_cbranch_scc1 .LBB117_100
; %bb.99:
	s_load_dwordx4 s[4:7], s[20:21], 0x10
	s_load_dword s2, s[20:21], 0xc8
	s_waitcnt lgkmcnt(0)
	v_mul_hi_u32 v8, s5, v6
	v_add_u32_e32 v8, v6, v8
	v_lshrrev_b32_e32 v8, s6, v8
	v_mul_lo_u32 v8, v8, s4
	v_sub_u32_e32 v6, v6, v8
	v_mad_u64_u32 v[5:6], s[2:3], v6, s2, v[5:6]
.LBB117_100:
	s_and_b64 vcc, exec, s[0:1]
	v_add_u32_e32 v8, 0x300, v7
	s_cbranch_vccnz .LBB117_106
; %bb.101:
	s_cmp_lg_u32 s33, 0
	s_mov_b32 s24, 0
	s_cbranch_scc0 .LBB117_107
; %bb.102:
	s_min_u32 s25, s46, 15
	s_add_i32 s25, s25, 1
	s_cmp_eq_u32 s46, 2
	s_cbranch_scc1 .LBB117_108
; %bb.103:
	s_and_b32 s24, s25, 28
	s_add_u32 s2, s20, 0xc4
	s_addc_u32 s3, s21, 0
	s_waitcnt lgkmcnt(0)
	s_mov_b32 s26, 0
	v_mov_b32_e32 v6, 0
	s_mov_b64 s[22:23], s[20:21]
	v_mov_b32_e32 v7, v8
.LBB117_104:                            ; =>This Inner Loop Header: Depth=1
	s_load_dwordx8 s[4:11], s[22:23], 0x4
	s_load_dwordx4 s[12:15], s[22:23], 0x24
	s_load_dwordx4 s[16:19], s[2:3], 0x0
	s_add_u32 s22, s22, 48
	s_addc_u32 s23, s23, 0
	s_waitcnt lgkmcnt(0)
	v_mul_hi_u32 v10, s5, v7
	s_add_i32 s26, s26, 4
	s_add_u32 s2, s2, 16
	s_addc_u32 s3, s3, 0
	v_add_u32_e32 v10, v7, v10
	v_lshrrev_b32_e32 v10, s6, v10
	v_mul_lo_u32 v11, v10, s4
	v_mul_hi_u32 v12, s8, v10
	s_cmp_lg_u32 s24, s26
	v_sub_u32_e32 v7, v7, v11
	v_add_u32_e32 v11, v10, v12
	v_lshrrev_b32_e32 v11, s9, v11
	v_mul_lo_u32 v12, v7, s16
	v_mul_hi_u32 v7, s11, v11
	v_mul_lo_u32 v14, v11, s7
	v_add_u32_e32 v7, v11, v7
	v_lshrrev_b32_e32 v13, s12, v7
	v_mul_hi_u32 v7, s14, v13
	v_sub_u32_e32 v10, v10, v14
	v_mul_lo_u32 v14, v13, s10
	v_mul_lo_u32 v10, v10, s17
	v_add_u32_e32 v7, v13, v7
	v_lshrrev_b32_e32 v7, s15, v7
	v_mul_lo_u32 v15, v7, s13
	v_sub_u32_e32 v11, v11, v14
	v_mul_lo_u32 v11, v11, s18
	v_add3_u32 v6, v12, v6, v10
	v_sub_u32_e32 v13, v13, v15
	v_mul_lo_u32 v13, v13, s19
	v_add3_u32 v6, v11, v6, v13
	s_cbranch_scc1 .LBB117_104
; %bb.105:
	s_and_b32 s6, s25, 3
	s_cmp_eq_u32 s6, 0
	s_cbranch_scc0 .LBB117_109
	s_branch .LBB117_111
.LBB117_106:
                                        ; implicit-def: $vgpr6
	s_branch .LBB117_112
.LBB117_107:
	v_mov_b32_e32 v6, 0
	s_branch .LBB117_111
.LBB117_108:
	v_mov_b32_e32 v6, 0
	v_mov_b32_e32 v7, v8
	s_and_b32 s6, s25, 3
	s_cmp_eq_u32 s6, 0
	s_cbranch_scc1 .LBB117_111
.LBB117_109:
	s_lshl_b32 s2, s24, 2
	s_add_u32 s2, s20, s2
	s_addc_u32 s3, s21, 0
	s_add_u32 s2, s2, 0xc4
	s_addc_u32 s3, s3, 0
	s_mul_i32 s4, s24, 12
	s_add_u32 s4, s20, s4
	s_addc_u32 s5, s21, 0
.LBB117_110:                            ; =>This Inner Loop Header: Depth=1
	s_waitcnt lgkmcnt(0)
	s_load_dwordx2 s[8:9], s[4:5], 0x4
	s_load_dword s7, s[4:5], 0xc
	s_add_u32 s4, s4, 12
	s_addc_u32 s5, s5, 0
	s_waitcnt lgkmcnt(0)
	v_mul_hi_u32 v10, s9, v7
	s_load_dword s9, s[2:3], 0x0
	s_add_u32 s2, s2, 4
	s_addc_u32 s3, s3, 0
	v_add_u32_e32 v10, v7, v10
	v_lshrrev_b32_e32 v10, s7, v10
	v_mul_lo_u32 v11, v10, s8
	s_add_i32 s6, s6, -1
	s_cmp_lg_u32 s6, 0
	v_sub_u32_e32 v7, v7, v11
	s_waitcnt lgkmcnt(0)
	v_mad_u64_u32 v[6:7], s[8:9], v7, s9, v[6:7]
	v_mov_b32_e32 v7, v10
	s_cbranch_scc1 .LBB117_110
.LBB117_111:
	s_cbranch_execnz .LBB117_114
.LBB117_112:
	s_load_dwordx4 s[4:7], s[20:21], 0x4
	s_load_dword s2, s[20:21], 0xc4
	s_cmp_lt_u32 s33, 2
	s_waitcnt lgkmcnt(0)
	v_mul_hi_u32 v6, s5, v8
	v_add_u32_e32 v6, v8, v6
	v_lshrrev_b32_e32 v7, s6, v6
	v_mul_lo_u32 v6, v7, s4
	v_sub_u32_e32 v6, v8, v6
	v_mul_lo_u32 v6, v6, s2
	s_cbranch_scc1 .LBB117_114
; %bb.113:
	s_load_dwordx4 s[4:7], s[20:21], 0x10
	s_load_dword s2, s[20:21], 0xc8
	s_waitcnt lgkmcnt(0)
	v_mul_hi_u32 v8, s5, v7
	v_add_u32_e32 v8, v7, v8
	v_lshrrev_b32_e32 v8, s6, v8
	v_mul_lo_u32 v8, v8, s4
	v_sub_u32_e32 v7, v7, v8
	v_mad_u64_u32 v[6:7], s[2:3], v7, s2, v[6:7]
.LBB117_114:
	s_and_b64 vcc, exec, s[0:1]
	s_cbranch_vccnz .LBB117_120
; %bb.115:
	s_cmp_lg_u32 s33, 0
	s_mov_b32 s22, 0
	s_cbranch_scc0 .LBB117_121
; %bb.116:
	s_min_u32 s23, s46, 15
	s_add_i32 s23, s23, 1
	s_cmp_eq_u32 s46, 2
	s_cbranch_scc1 .LBB117_122
; %bb.117:
	s_and_b32 s22, s23, 28
	s_add_u32 s16, s20, 0xc4
	s_addc_u32 s17, s21, 0
	s_mov_b32 s24, 0
	v_mov_b32_e32 v7, 0
	s_mov_b64 s[18:19], s[20:21]
	v_mov_b32_e32 v8, v9
.LBB117_118:                            ; =>This Inner Loop Header: Depth=1
	s_load_dwordx8 s[0:7], s[18:19], 0x4
	s_waitcnt lgkmcnt(0)
	s_load_dwordx4 s[8:11], s[18:19], 0x24
	s_load_dwordx4 s[12:15], s[16:17], 0x0
	s_add_u32 s18, s18, 48
	s_addc_u32 s19, s19, 0
	v_mul_hi_u32 v10, s1, v8
	s_add_i32 s24, s24, 4
	s_add_u32 s16, s16, 16
	s_addc_u32 s17, s17, 0
	v_add_u32_e32 v10, v8, v10
	v_lshrrev_b32_e32 v10, s2, v10
	v_mul_lo_u32 v11, v10, s0
	v_mul_hi_u32 v12, s4, v10
	s_cmp_lg_u32 s22, s24
	v_sub_u32_e32 v8, v8, v11
	v_add_u32_e32 v11, v10, v12
	v_lshrrev_b32_e32 v11, s5, v11
	s_waitcnt lgkmcnt(0)
	v_mul_lo_u32 v12, v8, s12
	v_mul_hi_u32 v8, s7, v11
	v_mul_lo_u32 v14, v11, s3
	v_add_u32_e32 v8, v11, v8
	v_lshrrev_b32_e32 v13, s8, v8
	v_mul_hi_u32 v8, s10, v13
	v_sub_u32_e32 v10, v10, v14
	v_mul_lo_u32 v14, v13, s6
	v_mul_lo_u32 v10, v10, s13
	v_add_u32_e32 v8, v13, v8
	v_lshrrev_b32_e32 v8, s11, v8
	v_mul_lo_u32 v15, v8, s9
	v_sub_u32_e32 v11, v11, v14
	v_mul_lo_u32 v11, v11, s14
	v_add3_u32 v7, v12, v7, v10
	v_sub_u32_e32 v13, v13, v15
	v_mul_lo_u32 v13, v13, s15
	v_add3_u32 v7, v11, v7, v13
	s_cbranch_scc1 .LBB117_118
; %bb.119:
	s_and_b32 s4, s23, 3
	s_cmp_eq_u32 s4, 0
	s_cbranch_scc0 .LBB117_123
	s_branch .LBB117_125
.LBB117_120:
                                        ; implicit-def: $vgpr7
	s_branch .LBB117_126
.LBB117_121:
	v_mov_b32_e32 v7, 0
	s_branch .LBB117_125
.LBB117_122:
	v_mov_b32_e32 v7, 0
	v_mov_b32_e32 v8, v9
	s_and_b32 s4, s23, 3
	s_cmp_eq_u32 s4, 0
	s_cbranch_scc1 .LBB117_125
.LBB117_123:
	s_lshl_b32 s0, s22, 2
	s_add_u32 s0, s20, s0
	s_addc_u32 s1, s21, 0
	s_add_u32 s0, s0, 0xc4
	s_addc_u32 s1, s1, 0
	s_mul_i32 s2, s22, 12
	s_add_u32 s2, s20, s2
	s_addc_u32 s3, s21, 0
.LBB117_124:                            ; =>This Inner Loop Header: Depth=1
	s_load_dwordx2 s[6:7], s[2:3], 0x4
	s_load_dword s5, s[2:3], 0xc
	s_add_u32 s2, s2, 12
	s_addc_u32 s3, s3, 0
	s_waitcnt lgkmcnt(0)
	v_mul_hi_u32 v10, s7, v8
	s_load_dword s7, s[0:1], 0x0
	s_add_u32 s0, s0, 4
	s_addc_u32 s1, s1, 0
	v_add_u32_e32 v10, v8, v10
	v_lshrrev_b32_e32 v10, s5, v10
	v_mul_lo_u32 v11, v10, s6
	s_add_i32 s4, s4, -1
	s_cmp_lg_u32 s4, 0
	v_sub_u32_e32 v8, v8, v11
	s_waitcnt lgkmcnt(0)
	v_mad_u64_u32 v[7:8], s[6:7], v8, s7, v[7:8]
	v_mov_b32_e32 v8, v10
	s_cbranch_scc1 .LBB117_124
.LBB117_125:
	s_cbranch_execnz .LBB117_128
.LBB117_126:
	s_load_dwordx4 s[0:3], s[20:21], 0x4
	s_waitcnt lgkmcnt(0)
	s_load_dword s3, s[20:21], 0xc4
	s_cmp_lt_u32 s33, 2
	v_mul_hi_u32 v7, s1, v9
	v_add_u32_e32 v7, v9, v7
	v_lshrrev_b32_e32 v8, s2, v7
	v_mul_lo_u32 v7, v8, s0
	v_sub_u32_e32 v7, v9, v7
	s_waitcnt lgkmcnt(0)
	v_mul_lo_u32 v7, v7, s3
	s_cbranch_scc1 .LBB117_128
; %bb.127:
	s_load_dwordx4 s[0:3], s[20:21], 0x10
	s_waitcnt lgkmcnt(0)
	s_load_dword s3, s[20:21], 0xc8
	v_mul_hi_u32 v9, s1, v8
	v_add_u32_e32 v9, v8, v9
	v_lshrrev_b32_e32 v9, s2, v9
	v_mul_lo_u32 v9, v9, s0
	v_sub_u32_e32 v8, v8, v9
	s_waitcnt lgkmcnt(0)
	v_mad_u64_u32 v[7:8], s[0:1], v8, s3, v[7:8]
.LBB117_128:
	s_load_dword s2, s[20:21], 0x110
	s_load_dwordx2 s[0:1], s[20:21], 0x108
	s_waitcnt lgkmcnt(0)
	v_mov_b32_e32 v8, s2
	s_nop 0
	global_store_byte v0, v8, s[0:1]
	global_store_byte v1, v8, s[0:1]
	global_store_byte v2, v8, s[0:1]
	global_store_byte v3, v8, s[0:1]
	global_store_byte v4, v8, s[0:1]
	global_store_byte v5, v8, s[0:1]
	global_store_byte v6, v8, s[0:1]
	global_store_byte v7, v8, s[0:1]
	s_endpgm
.LBB117_129:
	v_mov_b32_e32 v0, 0
	s_branch .LBB117_135
.LBB117_130:
	v_mov_b32_e32 v0, 0
	s_branch .LBB117_151
.LBB117_131:
	v_mov_b32_e32 v0, 0
	s_mov_b32 s50, 0
	v_mov_b32_e32 v1, v7
.LBB117_132:
	s_and_b32 s4, s51, 3
	s_cmp_eq_u32 s4, 0
	s_cbranch_scc1 .LBB117_135
; %bb.133:
	s_lshl_b32 s0, s50, 2
	s_add_u32 s0, s20, s0
	s_addc_u32 s1, s21, 0
	s_add_u32 s0, s0, 0xc4
	s_addc_u32 s1, s1, 0
	s_mul_i32 s2, s50, 12
	s_add_u32 s2, s20, s2
	s_addc_u32 s3, s21, 0
.LBB117_134:                            ; =>This Inner Loop Header: Depth=1
	s_load_dwordx2 s[6:7], s[2:3], 0x4
	s_load_dword s5, s[2:3], 0xc
	s_add_u32 s2, s2, 12
	s_addc_u32 s3, s3, 0
	s_waitcnt lgkmcnt(0)
	v_mul_hi_u32 v2, s7, v1
	s_load_dword s7, s[0:1], 0x0
	s_add_u32 s0, s0, 4
	s_addc_u32 s1, s1, 0
	v_add_u32_e32 v2, v1, v2
	v_lshrrev_b32_e32 v2, s5, v2
	v_mul_lo_u32 v3, v2, s6
	s_add_i32 s4, s4, -1
	s_cmp_lg_u32 s4, 0
	v_sub_u32_e32 v1, v1, v3
	s_waitcnt lgkmcnt(0)
	v_mad_u64_u32 v[0:1], s[6:7], v1, s7, v[0:1]
	v_mov_b32_e32 v1, v2
	s_cbranch_scc1 .LBB117_134
.LBB117_135:
	s_cbranch_execnz .LBB117_138
.LBB117_136:
	s_waitcnt lgkmcnt(0)
	v_mul_hi_u32 v0, s9, v7
	s_andn2_b64 vcc, exec, s[34:35]
	v_add_u32_e32 v0, v7, v0
	v_lshrrev_b32_e32 v1, s10, v0
	v_mul_lo_u32 v0, v1, s8
	v_sub_u32_e32 v0, v7, v0
	v_mul_lo_u32 v0, v0, s28
	s_cbranch_vccnz .LBB117_138
; %bb.137:
	v_mul_hi_u32 v2, s30, v1
	v_add_u32_e32 v2, v1, v2
	v_lshrrev_b32_e32 v2, s31, v2
	v_mul_lo_u32 v2, v2, s11
	v_sub_u32_e32 v1, v1, v2
	v_mad_u64_u32 v[0:1], s[0:1], v1, s29, v[0:1]
.LBB117_138:
	s_waitcnt lgkmcnt(0)
	v_mov_b32_e32 v1, s47
	v_add_u32_e32 v7, 0x80, v7
	global_store_byte v0, v1, s[26:27]
	s_or_b64 exec, exec, s[40:41]
	v_cmp_gt_i32_e32 vcc, s48, v7
	s_and_saveexec_b64 s[40:41], vcc
	s_cbranch_execnz .LBB117_15
.LBB117_139:
	s_or_b64 exec, exec, s[40:41]
	v_cmp_gt_i32_e32 vcc, s48, v7
	s_and_saveexec_b64 s[40:41], vcc
	s_cbranch_execz .LBB117_155
.LBB117_140:
	s_andn2_b64 vcc, exec, s[22:23]
	s_cbranch_vccnz .LBB117_145
; %bb.141:
	s_andn2_b64 vcc, exec, s[38:39]
	s_cbranch_vccnz .LBB117_146
; %bb.142:
	s_add_i32 s51, s49, 1
	s_cmp_eq_u32 s46, 2
	s_cbranch_scc1 .LBB117_163
; %bb.143:
	s_and_b32 s50, s51, 28
	s_mov_b32 s52, 0
	v_mov_b32_e32 v0, 0
	s_mov_b64 s[42:43], s[20:21]
	s_mov_b64 s[44:45], s[36:37]
	v_mov_b32_e32 v1, v7
.LBB117_144:                            ; =>This Inner Loop Header: Depth=1
	s_load_dwordx8 s[0:7], s[42:43], 0x4
	s_load_dwordx4 s[12:15], s[42:43], 0x24
	s_load_dwordx4 s[16:19], s[44:45], 0x0
	s_add_u32 s42, s42, 48
	s_addc_u32 s43, s43, 0
	s_waitcnt lgkmcnt(0)
	v_mul_hi_u32 v2, s1, v1
	s_add_i32 s52, s52, 4
	s_add_u32 s44, s44, 16
	s_addc_u32 s45, s45, 0
	v_add_u32_e32 v2, v1, v2
	v_lshrrev_b32_e32 v2, s2, v2
	v_mul_lo_u32 v3, v2, s0
	v_mul_hi_u32 v4, s4, v2
	s_cmp_eq_u32 s50, s52
	v_sub_u32_e32 v1, v1, v3
	v_add_u32_e32 v3, v2, v4
	v_lshrrev_b32_e32 v3, s5, v3
	v_mul_lo_u32 v4, v1, s16
	v_mul_hi_u32 v1, s7, v3
	v_mul_lo_u32 v6, v3, s3
	v_add_u32_e32 v1, v3, v1
	v_lshrrev_b32_e32 v5, s12, v1
	v_mul_hi_u32 v1, s14, v5
	v_sub_u32_e32 v2, v2, v6
	v_mul_lo_u32 v6, v5, s6
	v_mul_lo_u32 v2, v2, s17
	v_add_u32_e32 v1, v5, v1
	v_lshrrev_b32_e32 v1, s15, v1
	v_mul_lo_u32 v8, v1, s13
	v_sub_u32_e32 v3, v3, v6
	v_mul_lo_u32 v3, v3, s18
	v_add3_u32 v0, v4, v0, v2
	v_sub_u32_e32 v5, v5, v8
	v_mul_lo_u32 v5, v5, s19
	v_add3_u32 v0, v3, v0, v5
	s_cbranch_scc0 .LBB117_144
	s_branch .LBB117_164
.LBB117_145:
                                        ; implicit-def: $vgpr0
	s_branch .LBB117_168
.LBB117_146:
	v_mov_b32_e32 v0, 0
	s_branch .LBB117_167
.LBB117_147:
	v_mov_b32_e32 v0, 0
	s_mov_b32 s50, 0
	v_mov_b32_e32 v1, v7
.LBB117_148:
	s_and_b32 s4, s51, 3
	s_cmp_eq_u32 s4, 0
	s_cbranch_scc1 .LBB117_151
; %bb.149:
	s_lshl_b32 s0, s50, 2
	s_add_u32 s0, s20, s0
	s_addc_u32 s1, s21, 0
	s_add_u32 s0, s0, 0xc4
	s_addc_u32 s1, s1, 0
	s_mul_i32 s2, s50, 12
	s_add_u32 s2, s20, s2
	s_addc_u32 s3, s21, 0
.LBB117_150:                            ; =>This Inner Loop Header: Depth=1
	s_load_dwordx2 s[6:7], s[2:3], 0x4
	s_load_dword s5, s[2:3], 0xc
	s_add_u32 s2, s2, 12
	s_addc_u32 s3, s3, 0
	s_waitcnt lgkmcnt(0)
	v_mul_hi_u32 v2, s7, v1
	s_load_dword s7, s[0:1], 0x0
	s_add_u32 s0, s0, 4
	s_addc_u32 s1, s1, 0
	v_add_u32_e32 v2, v1, v2
	v_lshrrev_b32_e32 v2, s5, v2
	v_mul_lo_u32 v3, v2, s6
	s_add_i32 s4, s4, -1
	s_cmp_lg_u32 s4, 0
	v_sub_u32_e32 v1, v1, v3
	s_waitcnt lgkmcnt(0)
	v_mad_u64_u32 v[0:1], s[6:7], v1, s7, v[0:1]
	v_mov_b32_e32 v1, v2
	s_cbranch_scc1 .LBB117_150
.LBB117_151:
	s_cbranch_execnz .LBB117_154
.LBB117_152:
	s_waitcnt lgkmcnt(0)
	v_mul_hi_u32 v0, s9, v7
	s_andn2_b64 vcc, exec, s[34:35]
	v_add_u32_e32 v0, v7, v0
	v_lshrrev_b32_e32 v1, s10, v0
	v_mul_lo_u32 v0, v1, s8
	v_sub_u32_e32 v0, v7, v0
	v_mul_lo_u32 v0, v0, s28
	s_cbranch_vccnz .LBB117_154
; %bb.153:
	v_mul_hi_u32 v2, s30, v1
	v_add_u32_e32 v2, v1, v2
	v_lshrrev_b32_e32 v2, s31, v2
	v_mul_lo_u32 v2, v2, s11
	v_sub_u32_e32 v1, v1, v2
	v_mad_u64_u32 v[0:1], s[0:1], v1, s29, v[0:1]
.LBB117_154:
	s_waitcnt lgkmcnt(0)
	v_mov_b32_e32 v1, s47
	v_add_u32_e32 v7, 0x80, v7
	global_store_byte v0, v1, s[26:27]
	s_or_b64 exec, exec, s[40:41]
	v_cmp_gt_i32_e32 vcc, s48, v7
	s_and_saveexec_b64 s[40:41], vcc
	s_cbranch_execnz .LBB117_140
.LBB117_155:
	s_or_b64 exec, exec, s[40:41]
	v_cmp_gt_i32_e32 vcc, s48, v7
	s_and_saveexec_b64 s[40:41], vcc
	s_cbranch_execz .LBB117_171
.LBB117_156:
	s_andn2_b64 vcc, exec, s[22:23]
	s_cbranch_vccnz .LBB117_161
; %bb.157:
	s_andn2_b64 vcc, exec, s[38:39]
	s_cbranch_vccnz .LBB117_162
; %bb.158:
	s_add_i32 s51, s49, 1
	s_cmp_eq_u32 s46, 2
	s_cbranch_scc1 .LBB117_179
; %bb.159:
	s_and_b32 s50, s51, 28
	s_mov_b32 s52, 0
	v_mov_b32_e32 v0, 0
	s_mov_b64 s[42:43], s[20:21]
	s_mov_b64 s[44:45], s[36:37]
	v_mov_b32_e32 v1, v7
.LBB117_160:                            ; =>This Inner Loop Header: Depth=1
	s_load_dwordx8 s[0:7], s[42:43], 0x4
	s_load_dwordx4 s[12:15], s[42:43], 0x24
	s_load_dwordx4 s[16:19], s[44:45], 0x0
	s_add_u32 s42, s42, 48
	s_addc_u32 s43, s43, 0
	s_waitcnt lgkmcnt(0)
	v_mul_hi_u32 v2, s1, v1
	s_add_i32 s52, s52, 4
	s_add_u32 s44, s44, 16
	s_addc_u32 s45, s45, 0
	v_add_u32_e32 v2, v1, v2
	v_lshrrev_b32_e32 v2, s2, v2
	v_mul_lo_u32 v3, v2, s0
	v_mul_hi_u32 v4, s4, v2
	s_cmp_eq_u32 s50, s52
	v_sub_u32_e32 v1, v1, v3
	v_add_u32_e32 v3, v2, v4
	v_lshrrev_b32_e32 v3, s5, v3
	v_mul_lo_u32 v4, v1, s16
	v_mul_hi_u32 v1, s7, v3
	v_mul_lo_u32 v6, v3, s3
	v_add_u32_e32 v1, v3, v1
	v_lshrrev_b32_e32 v5, s12, v1
	v_mul_hi_u32 v1, s14, v5
	v_sub_u32_e32 v2, v2, v6
	v_mul_lo_u32 v6, v5, s6
	v_mul_lo_u32 v2, v2, s17
	v_add_u32_e32 v1, v5, v1
	v_lshrrev_b32_e32 v1, s15, v1
	v_mul_lo_u32 v8, v1, s13
	v_sub_u32_e32 v3, v3, v6
	v_mul_lo_u32 v3, v3, s18
	v_add3_u32 v0, v4, v0, v2
	v_sub_u32_e32 v5, v5, v8
	v_mul_lo_u32 v5, v5, s19
	v_add3_u32 v0, v3, v0, v5
	s_cbranch_scc0 .LBB117_160
	s_branch .LBB117_180
.LBB117_161:
                                        ; implicit-def: $vgpr0
	s_branch .LBB117_184
.LBB117_162:
	v_mov_b32_e32 v0, 0
	s_branch .LBB117_183
.LBB117_163:
	v_mov_b32_e32 v0, 0
	s_mov_b32 s50, 0
	v_mov_b32_e32 v1, v7
.LBB117_164:
	s_and_b32 s4, s51, 3
	s_cmp_eq_u32 s4, 0
	s_cbranch_scc1 .LBB117_167
; %bb.165:
	s_lshl_b32 s0, s50, 2
	s_add_u32 s0, s20, s0
	s_addc_u32 s1, s21, 0
	s_add_u32 s0, s0, 0xc4
	s_addc_u32 s1, s1, 0
	s_mul_i32 s2, s50, 12
	s_add_u32 s2, s20, s2
	s_addc_u32 s3, s21, 0
.LBB117_166:                            ; =>This Inner Loop Header: Depth=1
	s_load_dwordx2 s[6:7], s[2:3], 0x4
	s_load_dword s5, s[2:3], 0xc
	s_add_u32 s2, s2, 12
	s_addc_u32 s3, s3, 0
	s_waitcnt lgkmcnt(0)
	v_mul_hi_u32 v2, s7, v1
	s_load_dword s7, s[0:1], 0x0
	s_add_u32 s0, s0, 4
	s_addc_u32 s1, s1, 0
	v_add_u32_e32 v2, v1, v2
	v_lshrrev_b32_e32 v2, s5, v2
	v_mul_lo_u32 v3, v2, s6
	s_add_i32 s4, s4, -1
	s_cmp_lg_u32 s4, 0
	v_sub_u32_e32 v1, v1, v3
	s_waitcnt lgkmcnt(0)
	v_mad_u64_u32 v[0:1], s[6:7], v1, s7, v[0:1]
	v_mov_b32_e32 v1, v2
	s_cbranch_scc1 .LBB117_166
.LBB117_167:
	s_cbranch_execnz .LBB117_170
.LBB117_168:
	s_waitcnt lgkmcnt(0)
	v_mul_hi_u32 v0, s9, v7
	s_andn2_b64 vcc, exec, s[34:35]
	v_add_u32_e32 v0, v7, v0
	v_lshrrev_b32_e32 v1, s10, v0
	v_mul_lo_u32 v0, v1, s8
	v_sub_u32_e32 v0, v7, v0
	v_mul_lo_u32 v0, v0, s28
	s_cbranch_vccnz .LBB117_170
; %bb.169:
	v_mul_hi_u32 v2, s30, v1
	v_add_u32_e32 v2, v1, v2
	v_lshrrev_b32_e32 v2, s31, v2
	v_mul_lo_u32 v2, v2, s11
	v_sub_u32_e32 v1, v1, v2
	v_mad_u64_u32 v[0:1], s[0:1], v1, s29, v[0:1]
.LBB117_170:
	s_waitcnt lgkmcnt(0)
	v_mov_b32_e32 v1, s47
	v_add_u32_e32 v7, 0x80, v7
	global_store_byte v0, v1, s[26:27]
	s_or_b64 exec, exec, s[40:41]
	v_cmp_gt_i32_e32 vcc, s48, v7
	s_and_saveexec_b64 s[40:41], vcc
	s_cbranch_execnz .LBB117_156
.LBB117_171:
	s_or_b64 exec, exec, s[40:41]
	v_cmp_gt_i32_e32 vcc, s48, v7
	s_and_saveexec_b64 s[40:41], vcc
	s_cbranch_execz .LBB117_187
.LBB117_172:
	s_andn2_b64 vcc, exec, s[22:23]
	s_cbranch_vccnz .LBB117_177
; %bb.173:
	s_andn2_b64 vcc, exec, s[38:39]
	s_cbranch_vccnz .LBB117_178
; %bb.174:
	s_add_i32 s51, s49, 1
	s_cmp_eq_u32 s46, 2
	s_cbranch_scc1 .LBB117_195
; %bb.175:
	s_and_b32 s50, s51, 28
	s_mov_b32 s52, 0
	v_mov_b32_e32 v0, 0
	s_mov_b64 s[42:43], s[20:21]
	s_mov_b64 s[44:45], s[36:37]
	v_mov_b32_e32 v1, v7
.LBB117_176:                            ; =>This Inner Loop Header: Depth=1
	s_load_dwordx8 s[0:7], s[42:43], 0x4
	s_load_dwordx4 s[12:15], s[42:43], 0x24
	s_load_dwordx4 s[16:19], s[44:45], 0x0
	s_add_u32 s42, s42, 48
	s_addc_u32 s43, s43, 0
	s_waitcnt lgkmcnt(0)
	v_mul_hi_u32 v2, s1, v1
	s_add_i32 s52, s52, 4
	s_add_u32 s44, s44, 16
	s_addc_u32 s45, s45, 0
	v_add_u32_e32 v2, v1, v2
	v_lshrrev_b32_e32 v2, s2, v2
	v_mul_lo_u32 v3, v2, s0
	v_mul_hi_u32 v4, s4, v2
	s_cmp_eq_u32 s50, s52
	v_sub_u32_e32 v1, v1, v3
	v_add_u32_e32 v3, v2, v4
	v_lshrrev_b32_e32 v3, s5, v3
	v_mul_lo_u32 v4, v1, s16
	v_mul_hi_u32 v1, s7, v3
	v_mul_lo_u32 v6, v3, s3
	v_add_u32_e32 v1, v3, v1
	v_lshrrev_b32_e32 v5, s12, v1
	v_mul_hi_u32 v1, s14, v5
	v_sub_u32_e32 v2, v2, v6
	v_mul_lo_u32 v6, v5, s6
	v_mul_lo_u32 v2, v2, s17
	v_add_u32_e32 v1, v5, v1
	v_lshrrev_b32_e32 v1, s15, v1
	v_mul_lo_u32 v8, v1, s13
	v_sub_u32_e32 v3, v3, v6
	v_mul_lo_u32 v3, v3, s18
	v_add3_u32 v0, v4, v0, v2
	v_sub_u32_e32 v5, v5, v8
	v_mul_lo_u32 v5, v5, s19
	v_add3_u32 v0, v3, v0, v5
	s_cbranch_scc0 .LBB117_176
	s_branch .LBB117_196
.LBB117_177:
                                        ; implicit-def: $vgpr0
	s_branch .LBB117_200
.LBB117_178:
	v_mov_b32_e32 v0, 0
	s_branch .LBB117_199
.LBB117_179:
	v_mov_b32_e32 v0, 0
	s_mov_b32 s50, 0
	v_mov_b32_e32 v1, v7
.LBB117_180:
	s_and_b32 s4, s51, 3
	s_cmp_eq_u32 s4, 0
	s_cbranch_scc1 .LBB117_183
; %bb.181:
	s_lshl_b32 s0, s50, 2
	s_add_u32 s0, s20, s0
	s_addc_u32 s1, s21, 0
	s_add_u32 s0, s0, 0xc4
	s_addc_u32 s1, s1, 0
	s_mul_i32 s2, s50, 12
	s_add_u32 s2, s20, s2
	s_addc_u32 s3, s21, 0
.LBB117_182:                            ; =>This Inner Loop Header: Depth=1
	s_load_dwordx2 s[6:7], s[2:3], 0x4
	s_load_dword s5, s[2:3], 0xc
	s_add_u32 s2, s2, 12
	s_addc_u32 s3, s3, 0
	s_waitcnt lgkmcnt(0)
	v_mul_hi_u32 v2, s7, v1
	s_load_dword s7, s[0:1], 0x0
	s_add_u32 s0, s0, 4
	s_addc_u32 s1, s1, 0
	v_add_u32_e32 v2, v1, v2
	v_lshrrev_b32_e32 v2, s5, v2
	v_mul_lo_u32 v3, v2, s6
	s_add_i32 s4, s4, -1
	s_cmp_lg_u32 s4, 0
	v_sub_u32_e32 v1, v1, v3
	s_waitcnt lgkmcnt(0)
	v_mad_u64_u32 v[0:1], s[6:7], v1, s7, v[0:1]
	v_mov_b32_e32 v1, v2
	s_cbranch_scc1 .LBB117_182
.LBB117_183:
	s_cbranch_execnz .LBB117_186
.LBB117_184:
	s_waitcnt lgkmcnt(0)
	v_mul_hi_u32 v0, s9, v7
	s_andn2_b64 vcc, exec, s[34:35]
	v_add_u32_e32 v0, v7, v0
	v_lshrrev_b32_e32 v1, s10, v0
	v_mul_lo_u32 v0, v1, s8
	v_sub_u32_e32 v0, v7, v0
	v_mul_lo_u32 v0, v0, s28
	s_cbranch_vccnz .LBB117_186
; %bb.185:
	v_mul_hi_u32 v2, s30, v1
	v_add_u32_e32 v2, v1, v2
	v_lshrrev_b32_e32 v2, s31, v2
	v_mul_lo_u32 v2, v2, s11
	v_sub_u32_e32 v1, v1, v2
	v_mad_u64_u32 v[0:1], s[0:1], v1, s29, v[0:1]
.LBB117_186:
	s_waitcnt lgkmcnt(0)
	v_mov_b32_e32 v1, s47
	v_add_u32_e32 v7, 0x80, v7
	global_store_byte v0, v1, s[26:27]
	s_or_b64 exec, exec, s[40:41]
	v_cmp_gt_i32_e32 vcc, s48, v7
	s_and_saveexec_b64 s[40:41], vcc
	s_cbranch_execnz .LBB117_172
.LBB117_187:
	s_or_b64 exec, exec, s[40:41]
	v_cmp_gt_i32_e32 vcc, s48, v7
	s_and_saveexec_b64 s[40:41], vcc
	s_cbranch_execz .LBB117_203
.LBB117_188:
	s_andn2_b64 vcc, exec, s[22:23]
	s_cbranch_vccnz .LBB117_193
; %bb.189:
	s_andn2_b64 vcc, exec, s[38:39]
	s_cbranch_vccnz .LBB117_194
; %bb.190:
	s_add_i32 s51, s49, 1
	s_cmp_eq_u32 s46, 2
	s_cbranch_scc1 .LBB117_211
; %bb.191:
	s_and_b32 s50, s51, 28
	s_mov_b32 s52, 0
	v_mov_b32_e32 v0, 0
	s_mov_b64 s[42:43], s[20:21]
	s_mov_b64 s[44:45], s[36:37]
	v_mov_b32_e32 v1, v7
.LBB117_192:                            ; =>This Inner Loop Header: Depth=1
	s_load_dwordx8 s[0:7], s[42:43], 0x4
	s_load_dwordx4 s[12:15], s[42:43], 0x24
	s_load_dwordx4 s[16:19], s[44:45], 0x0
	s_add_u32 s42, s42, 48
	s_addc_u32 s43, s43, 0
	s_waitcnt lgkmcnt(0)
	v_mul_hi_u32 v2, s1, v1
	s_add_i32 s52, s52, 4
	s_add_u32 s44, s44, 16
	s_addc_u32 s45, s45, 0
	v_add_u32_e32 v2, v1, v2
	v_lshrrev_b32_e32 v2, s2, v2
	v_mul_lo_u32 v3, v2, s0
	v_mul_hi_u32 v4, s4, v2
	s_cmp_eq_u32 s50, s52
	v_sub_u32_e32 v1, v1, v3
	v_add_u32_e32 v3, v2, v4
	v_lshrrev_b32_e32 v3, s5, v3
	v_mul_lo_u32 v4, v1, s16
	v_mul_hi_u32 v1, s7, v3
	v_mul_lo_u32 v6, v3, s3
	v_add_u32_e32 v1, v3, v1
	v_lshrrev_b32_e32 v5, s12, v1
	v_mul_hi_u32 v1, s14, v5
	v_sub_u32_e32 v2, v2, v6
	v_mul_lo_u32 v6, v5, s6
	v_mul_lo_u32 v2, v2, s17
	v_add_u32_e32 v1, v5, v1
	v_lshrrev_b32_e32 v1, s15, v1
	v_mul_lo_u32 v8, v1, s13
	v_sub_u32_e32 v3, v3, v6
	v_mul_lo_u32 v3, v3, s18
	v_add3_u32 v0, v4, v0, v2
	v_sub_u32_e32 v5, v5, v8
	v_mul_lo_u32 v5, v5, s19
	v_add3_u32 v0, v3, v0, v5
	s_cbranch_scc0 .LBB117_192
	s_branch .LBB117_212
.LBB117_193:
                                        ; implicit-def: $vgpr0
	s_branch .LBB117_216
.LBB117_194:
	v_mov_b32_e32 v0, 0
	s_branch .LBB117_215
.LBB117_195:
	v_mov_b32_e32 v0, 0
	s_mov_b32 s50, 0
	v_mov_b32_e32 v1, v7
.LBB117_196:
	s_and_b32 s4, s51, 3
	s_cmp_eq_u32 s4, 0
	s_cbranch_scc1 .LBB117_199
; %bb.197:
	s_lshl_b32 s0, s50, 2
	s_add_u32 s0, s20, s0
	s_addc_u32 s1, s21, 0
	s_add_u32 s0, s0, 0xc4
	s_addc_u32 s1, s1, 0
	s_mul_i32 s2, s50, 12
	s_add_u32 s2, s20, s2
	s_addc_u32 s3, s21, 0
.LBB117_198:                            ; =>This Inner Loop Header: Depth=1
	s_load_dwordx2 s[6:7], s[2:3], 0x4
	s_load_dword s5, s[2:3], 0xc
	s_add_u32 s2, s2, 12
	s_addc_u32 s3, s3, 0
	s_waitcnt lgkmcnt(0)
	v_mul_hi_u32 v2, s7, v1
	s_load_dword s7, s[0:1], 0x0
	s_add_u32 s0, s0, 4
	s_addc_u32 s1, s1, 0
	v_add_u32_e32 v2, v1, v2
	v_lshrrev_b32_e32 v2, s5, v2
	v_mul_lo_u32 v3, v2, s6
	s_add_i32 s4, s4, -1
	s_cmp_lg_u32 s4, 0
	v_sub_u32_e32 v1, v1, v3
	s_waitcnt lgkmcnt(0)
	v_mad_u64_u32 v[0:1], s[6:7], v1, s7, v[0:1]
	v_mov_b32_e32 v1, v2
	s_cbranch_scc1 .LBB117_198
.LBB117_199:
	s_cbranch_execnz .LBB117_202
.LBB117_200:
	s_waitcnt lgkmcnt(0)
	v_mul_hi_u32 v0, s9, v7
	s_andn2_b64 vcc, exec, s[34:35]
	v_add_u32_e32 v0, v7, v0
	v_lshrrev_b32_e32 v1, s10, v0
	v_mul_lo_u32 v0, v1, s8
	v_sub_u32_e32 v0, v7, v0
	v_mul_lo_u32 v0, v0, s28
	s_cbranch_vccnz .LBB117_202
; %bb.201:
	v_mul_hi_u32 v2, s30, v1
	v_add_u32_e32 v2, v1, v2
	v_lshrrev_b32_e32 v2, s31, v2
	v_mul_lo_u32 v2, v2, s11
	v_sub_u32_e32 v1, v1, v2
	v_mad_u64_u32 v[0:1], s[0:1], v1, s29, v[0:1]
.LBB117_202:
	s_waitcnt lgkmcnt(0)
	v_mov_b32_e32 v1, s47
	v_add_u32_e32 v7, 0x80, v7
	global_store_byte v0, v1, s[26:27]
	s_or_b64 exec, exec, s[40:41]
	v_cmp_gt_i32_e32 vcc, s48, v7
	s_and_saveexec_b64 s[40:41], vcc
	s_cbranch_execnz .LBB117_188
.LBB117_203:
	s_or_b64 exec, exec, s[40:41]
	v_cmp_gt_i32_e32 vcc, s48, v7
	s_and_saveexec_b64 s[40:41], vcc
	s_cbranch_execz .LBB117_219
.LBB117_204:
	s_andn2_b64 vcc, exec, s[22:23]
	s_cbranch_vccnz .LBB117_209
; %bb.205:
	s_andn2_b64 vcc, exec, s[38:39]
	s_cbranch_vccnz .LBB117_210
; %bb.206:
	s_add_i32 s51, s49, 1
	s_cmp_eq_u32 s46, 2
	s_cbranch_scc1 .LBB117_222
; %bb.207:
	s_and_b32 s50, s51, 28
	s_mov_b32 s52, 0
	v_mov_b32_e32 v0, 0
	s_mov_b64 s[42:43], s[20:21]
	s_mov_b64 s[44:45], s[36:37]
	v_mov_b32_e32 v1, v7
.LBB117_208:                            ; =>This Inner Loop Header: Depth=1
	s_load_dwordx8 s[0:7], s[42:43], 0x4
	s_load_dwordx4 s[12:15], s[42:43], 0x24
	s_load_dwordx4 s[16:19], s[44:45], 0x0
	s_add_u32 s42, s42, 48
	s_addc_u32 s43, s43, 0
	s_waitcnt lgkmcnt(0)
	v_mul_hi_u32 v2, s1, v1
	s_add_i32 s52, s52, 4
	s_add_u32 s44, s44, 16
	s_addc_u32 s45, s45, 0
	v_add_u32_e32 v2, v1, v2
	v_lshrrev_b32_e32 v2, s2, v2
	v_mul_lo_u32 v3, v2, s0
	v_mul_hi_u32 v4, s4, v2
	s_cmp_eq_u32 s50, s52
	v_sub_u32_e32 v1, v1, v3
	v_add_u32_e32 v3, v2, v4
	v_lshrrev_b32_e32 v3, s5, v3
	v_mul_lo_u32 v4, v1, s16
	v_mul_hi_u32 v1, s7, v3
	v_mul_lo_u32 v6, v3, s3
	v_add_u32_e32 v1, v3, v1
	v_lshrrev_b32_e32 v5, s12, v1
	v_mul_hi_u32 v1, s14, v5
	v_sub_u32_e32 v2, v2, v6
	v_mul_lo_u32 v6, v5, s6
	v_mul_lo_u32 v2, v2, s17
	v_add_u32_e32 v1, v5, v1
	v_lshrrev_b32_e32 v1, s15, v1
	v_mul_lo_u32 v8, v1, s13
	v_sub_u32_e32 v3, v3, v6
	v_mul_lo_u32 v3, v3, s18
	v_add3_u32 v0, v4, v0, v2
	v_sub_u32_e32 v5, v5, v8
	v_mul_lo_u32 v5, v5, s19
	v_add3_u32 v0, v3, v0, v5
	s_cbranch_scc0 .LBB117_208
	s_branch .LBB117_223
.LBB117_209:
                                        ; implicit-def: $vgpr0
	s_branch .LBB117_227
.LBB117_210:
	v_mov_b32_e32 v0, 0
	s_branch .LBB117_226
.LBB117_211:
	v_mov_b32_e32 v0, 0
	s_mov_b32 s50, 0
	v_mov_b32_e32 v1, v7
.LBB117_212:
	s_and_b32 s4, s51, 3
	s_cmp_eq_u32 s4, 0
	s_cbranch_scc1 .LBB117_215
; %bb.213:
	s_lshl_b32 s0, s50, 2
	s_add_u32 s0, s20, s0
	s_addc_u32 s1, s21, 0
	s_add_u32 s0, s0, 0xc4
	s_addc_u32 s1, s1, 0
	s_mul_i32 s2, s50, 12
	s_add_u32 s2, s20, s2
	s_addc_u32 s3, s21, 0
.LBB117_214:                            ; =>This Inner Loop Header: Depth=1
	s_load_dwordx2 s[6:7], s[2:3], 0x4
	s_load_dword s5, s[2:3], 0xc
	s_add_u32 s2, s2, 12
	s_addc_u32 s3, s3, 0
	s_waitcnt lgkmcnt(0)
	v_mul_hi_u32 v2, s7, v1
	s_load_dword s7, s[0:1], 0x0
	s_add_u32 s0, s0, 4
	s_addc_u32 s1, s1, 0
	v_add_u32_e32 v2, v1, v2
	v_lshrrev_b32_e32 v2, s5, v2
	v_mul_lo_u32 v3, v2, s6
	s_add_i32 s4, s4, -1
	s_cmp_lg_u32 s4, 0
	v_sub_u32_e32 v1, v1, v3
	s_waitcnt lgkmcnt(0)
	v_mad_u64_u32 v[0:1], s[6:7], v1, s7, v[0:1]
	v_mov_b32_e32 v1, v2
	s_cbranch_scc1 .LBB117_214
.LBB117_215:
	s_cbranch_execnz .LBB117_218
.LBB117_216:
	s_waitcnt lgkmcnt(0)
	v_mul_hi_u32 v0, s9, v7
	s_andn2_b64 vcc, exec, s[34:35]
	v_add_u32_e32 v0, v7, v0
	v_lshrrev_b32_e32 v1, s10, v0
	v_mul_lo_u32 v0, v1, s8
	v_sub_u32_e32 v0, v7, v0
	v_mul_lo_u32 v0, v0, s28
	s_cbranch_vccnz .LBB117_218
; %bb.217:
	v_mul_hi_u32 v2, s30, v1
	v_add_u32_e32 v2, v1, v2
	v_lshrrev_b32_e32 v2, s31, v2
	v_mul_lo_u32 v2, v2, s11
	v_sub_u32_e32 v1, v1, v2
	v_mad_u64_u32 v[0:1], s[0:1], v1, s29, v[0:1]
.LBB117_218:
	s_waitcnt lgkmcnt(0)
	v_mov_b32_e32 v1, s47
	v_add_u32_e32 v7, 0x80, v7
	global_store_byte v0, v1, s[26:27]
	s_or_b64 exec, exec, s[40:41]
	v_cmp_gt_i32_e32 vcc, s48, v7
	s_and_saveexec_b64 s[40:41], vcc
	s_cbranch_execnz .LBB117_204
.LBB117_219:
	s_or_b64 exec, exec, s[40:41]
	v_cmp_gt_i32_e32 vcc, s48, v7
	s_and_saveexec_b64 s[40:41], vcc
	s_cbranch_execnz .LBB117_230
.LBB117_220:
	s_or_b64 exec, exec, s[40:41]
                                        ; implicit-def: $vgpr9
                                        ; implicit-def: $vgpr7
	s_andn2_saveexec_b64 s[0:1], s[24:25]
	s_cbranch_execnz .LBB117_8
.LBB117_221:
	s_endpgm
.LBB117_222:
	v_mov_b32_e32 v0, 0
	s_mov_b32 s50, 0
	v_mov_b32_e32 v1, v7
.LBB117_223:
	s_and_b32 s4, s51, 3
	s_cmp_eq_u32 s4, 0
	s_cbranch_scc1 .LBB117_226
; %bb.224:
	s_lshl_b32 s0, s50, 2
	s_add_u32 s0, s20, s0
	s_addc_u32 s1, s21, 0
	s_add_u32 s0, s0, 0xc4
	s_addc_u32 s1, s1, 0
	s_mul_i32 s2, s50, 12
	s_add_u32 s2, s20, s2
	s_addc_u32 s3, s21, 0
.LBB117_225:                            ; =>This Inner Loop Header: Depth=1
	s_load_dwordx2 s[6:7], s[2:3], 0x4
	s_load_dword s5, s[2:3], 0xc
	s_add_u32 s2, s2, 12
	s_addc_u32 s3, s3, 0
	s_waitcnt lgkmcnt(0)
	v_mul_hi_u32 v2, s7, v1
	s_load_dword s7, s[0:1], 0x0
	s_add_u32 s0, s0, 4
	s_addc_u32 s1, s1, 0
	v_add_u32_e32 v2, v1, v2
	v_lshrrev_b32_e32 v2, s5, v2
	v_mul_lo_u32 v3, v2, s6
	s_add_i32 s4, s4, -1
	s_cmp_lg_u32 s4, 0
	v_sub_u32_e32 v1, v1, v3
	s_waitcnt lgkmcnt(0)
	v_mad_u64_u32 v[0:1], s[6:7], v1, s7, v[0:1]
	v_mov_b32_e32 v1, v2
	s_cbranch_scc1 .LBB117_225
.LBB117_226:
	s_cbranch_execnz .LBB117_229
.LBB117_227:
	s_waitcnt lgkmcnt(0)
	v_mul_hi_u32 v0, s9, v7
	s_andn2_b64 vcc, exec, s[34:35]
	v_add_u32_e32 v0, v7, v0
	v_lshrrev_b32_e32 v1, s10, v0
	v_mul_lo_u32 v0, v1, s8
	v_sub_u32_e32 v0, v7, v0
	v_mul_lo_u32 v0, v0, s28
	s_cbranch_vccnz .LBB117_229
; %bb.228:
	v_mul_hi_u32 v2, s30, v1
	v_add_u32_e32 v2, v1, v2
	v_lshrrev_b32_e32 v2, s31, v2
	v_mul_lo_u32 v2, v2, s11
	v_sub_u32_e32 v1, v1, v2
	v_mad_u64_u32 v[0:1], s[0:1], v1, s29, v[0:1]
.LBB117_229:
	s_waitcnt lgkmcnt(0)
	v_mov_b32_e32 v1, s47
	v_add_u32_e32 v7, 0x80, v7
	global_store_byte v0, v1, s[26:27]
	s_or_b64 exec, exec, s[40:41]
	v_cmp_gt_i32_e32 vcc, s48, v7
	s_and_saveexec_b64 s[40:41], vcc
	s_cbranch_execz .LBB117_220
.LBB117_230:
	s_andn2_b64 vcc, exec, s[22:23]
	s_cbranch_vccnz .LBB117_235
; %bb.231:
	s_andn2_b64 vcc, exec, s[38:39]
	s_cbranch_vccnz .LBB117_236
; %bb.232:
	s_add_i32 s49, s49, 1
	s_cmp_eq_u32 s46, 2
	s_cbranch_scc1 .LBB117_237
; %bb.233:
	s_and_b32 s42, s49, 28
	s_mov_b32 s43, 0
	v_mov_b32_e32 v0, 0
	s_mov_b64 s[38:39], s[20:21]
	v_mov_b32_e32 v1, v7
.LBB117_234:                            ; =>This Inner Loop Header: Depth=1
	s_load_dwordx8 s[0:7], s[38:39], 0x4
	s_load_dwordx4 s[12:15], s[38:39], 0x24
	s_load_dwordx4 s[16:19], s[36:37], 0x0
	s_add_u32 s38, s38, 48
	s_addc_u32 s39, s39, 0
	s_waitcnt lgkmcnt(0)
	v_mul_hi_u32 v2, s1, v1
	s_add_i32 s43, s43, 4
	s_add_u32 s36, s36, 16
	s_addc_u32 s37, s37, 0
	v_add_u32_e32 v2, v1, v2
	v_lshrrev_b32_e32 v2, s2, v2
	v_mul_lo_u32 v3, v2, s0
	v_mul_hi_u32 v4, s4, v2
	s_cmp_eq_u32 s42, s43
	v_sub_u32_e32 v1, v1, v3
	v_add_u32_e32 v3, v2, v4
	v_lshrrev_b32_e32 v3, s5, v3
	v_mul_lo_u32 v4, v1, s16
	v_mul_hi_u32 v1, s7, v3
	v_mul_lo_u32 v6, v3, s3
	v_add_u32_e32 v1, v3, v1
	v_lshrrev_b32_e32 v5, s12, v1
	v_mul_hi_u32 v1, s14, v5
	v_sub_u32_e32 v2, v2, v6
	v_mul_lo_u32 v6, v5, s6
	v_mul_lo_u32 v2, v2, s17
	v_add_u32_e32 v1, v5, v1
	v_lshrrev_b32_e32 v1, s15, v1
	v_mul_lo_u32 v8, v1, s13
	v_sub_u32_e32 v3, v3, v6
	v_mul_lo_u32 v3, v3, s18
	v_add3_u32 v0, v4, v0, v2
	v_sub_u32_e32 v5, v5, v8
	v_mul_lo_u32 v5, v5, s19
	v_add3_u32 v0, v3, v0, v5
	s_cbranch_scc0 .LBB117_234
	s_branch .LBB117_238
.LBB117_235:
                                        ; implicit-def: $vgpr0
	s_branch .LBB117_242
.LBB117_236:
	v_mov_b32_e32 v0, 0
	s_branch .LBB117_241
.LBB117_237:
	v_mov_b32_e32 v0, 0
	s_mov_b32 s42, 0
	v_mov_b32_e32 v1, v7
.LBB117_238:
	s_and_b32 s4, s49, 3
	s_cmp_eq_u32 s4, 0
	s_cbranch_scc1 .LBB117_241
; %bb.239:
	s_lshl_b32 s0, s42, 2
	s_add_u32 s0, s20, s0
	s_addc_u32 s1, s21, 0
	s_add_u32 s0, s0, 0xc4
	s_addc_u32 s1, s1, 0
	s_mul_i32 s2, s42, 12
	s_add_u32 s2, s20, s2
	s_addc_u32 s3, s21, 0
.LBB117_240:                            ; =>This Inner Loop Header: Depth=1
	s_load_dwordx2 s[6:7], s[2:3], 0x4
	s_load_dword s5, s[2:3], 0xc
	s_add_u32 s2, s2, 12
	s_addc_u32 s3, s3, 0
	s_waitcnt lgkmcnt(0)
	v_mul_hi_u32 v2, s7, v1
	s_load_dword s7, s[0:1], 0x0
	s_add_u32 s0, s0, 4
	s_addc_u32 s1, s1, 0
	v_add_u32_e32 v2, v1, v2
	v_lshrrev_b32_e32 v2, s5, v2
	v_mul_lo_u32 v3, v2, s6
	s_add_i32 s4, s4, -1
	s_cmp_lg_u32 s4, 0
	v_sub_u32_e32 v1, v1, v3
	s_waitcnt lgkmcnt(0)
	v_mad_u64_u32 v[0:1], s[6:7], v1, s7, v[0:1]
	v_mov_b32_e32 v1, v2
	s_cbranch_scc1 .LBB117_240
.LBB117_241:
	s_cbranch_execnz .LBB117_244
.LBB117_242:
	s_waitcnt lgkmcnt(0)
	v_mul_hi_u32 v0, s9, v7
	s_andn2_b64 vcc, exec, s[34:35]
	v_add_u32_e32 v0, v7, v0
	v_lshrrev_b32_e32 v1, s10, v0
	v_mul_lo_u32 v0, v1, s8
	v_sub_u32_e32 v0, v7, v0
	v_mul_lo_u32 v0, v0, s28
	s_cbranch_vccnz .LBB117_244
; %bb.243:
	v_mul_hi_u32 v2, s30, v1
	v_add_u32_e32 v2, v1, v2
	v_lshrrev_b32_e32 v2, s31, v2
	v_mul_lo_u32 v2, v2, s11
	v_sub_u32_e32 v1, v1, v2
	v_mad_u64_u32 v[0:1], s[0:1], v1, s29, v[0:1]
.LBB117_244:
	s_waitcnt lgkmcnt(0)
	v_mov_b32_e32 v1, s47
	global_store_byte v0, v1, s[26:27]
	s_or_b64 exec, exec, s[40:41]
                                        ; implicit-def: $vgpr9
                                        ; implicit-def: $vgpr7
	s_andn2_saveexec_b64 s[0:1], s[24:25]
	s_cbranch_execz .LBB117_221
	s_branch .LBB117_8
	.section	.rodata,"a",@progbits
	.p2align	6, 0x0
	.amdhsa_kernel _ZN2at6native32elementwise_kernel_manual_unrollILi128ELi8EZNS0_22gpu_kernel_impl_nocastINS0_11FillFunctorIN3c1011Float8_e5m2EEEEEvRNS_18TensorIteratorBaseERKT_EUlibE_EEviT1_
		.amdhsa_group_segment_fixed_size 0
		.amdhsa_private_segment_fixed_size 0
		.amdhsa_kernarg_size 288
		.amdhsa_user_sgpr_count 6
		.amdhsa_user_sgpr_private_segment_buffer 1
		.amdhsa_user_sgpr_dispatch_ptr 0
		.amdhsa_user_sgpr_queue_ptr 0
		.amdhsa_user_sgpr_kernarg_segment_ptr 1
		.amdhsa_user_sgpr_dispatch_id 0
		.amdhsa_user_sgpr_flat_scratch_init 0
		.amdhsa_user_sgpr_private_segment_size 0
		.amdhsa_uses_dynamic_stack 0
		.amdhsa_system_sgpr_private_segment_wavefront_offset 0
		.amdhsa_system_sgpr_workgroup_id_x 1
		.amdhsa_system_sgpr_workgroup_id_y 0
		.amdhsa_system_sgpr_workgroup_id_z 0
		.amdhsa_system_sgpr_workgroup_info 0
		.amdhsa_system_vgpr_workitem_id 0
		.amdhsa_next_free_vgpr 16
		.amdhsa_next_free_sgpr 53
		.amdhsa_reserve_vcc 1
		.amdhsa_reserve_flat_scratch 0
		.amdhsa_float_round_mode_32 0
		.amdhsa_float_round_mode_16_64 0
		.amdhsa_float_denorm_mode_32 3
		.amdhsa_float_denorm_mode_16_64 3
		.amdhsa_dx10_clamp 1
		.amdhsa_ieee_mode 1
		.amdhsa_fp16_overflow 0
		.amdhsa_exception_fp_ieee_invalid_op 0
		.amdhsa_exception_fp_denorm_src 0
		.amdhsa_exception_fp_ieee_div_zero 0
		.amdhsa_exception_fp_ieee_overflow 0
		.amdhsa_exception_fp_ieee_underflow 0
		.amdhsa_exception_fp_ieee_inexact 0
		.amdhsa_exception_int_div_zero 0
	.end_amdhsa_kernel
	.section	.text._ZN2at6native32elementwise_kernel_manual_unrollILi128ELi8EZNS0_22gpu_kernel_impl_nocastINS0_11FillFunctorIN3c1011Float8_e5m2EEEEEvRNS_18TensorIteratorBaseERKT_EUlibE_EEviT1_,"axG",@progbits,_ZN2at6native32elementwise_kernel_manual_unrollILi128ELi8EZNS0_22gpu_kernel_impl_nocastINS0_11FillFunctorIN3c1011Float8_e5m2EEEEEvRNS_18TensorIteratorBaseERKT_EUlibE_EEviT1_,comdat
.Lfunc_end117:
	.size	_ZN2at6native32elementwise_kernel_manual_unrollILi128ELi8EZNS0_22gpu_kernel_impl_nocastINS0_11FillFunctorIN3c1011Float8_e5m2EEEEEvRNS_18TensorIteratorBaseERKT_EUlibE_EEviT1_, .Lfunc_end117-_ZN2at6native32elementwise_kernel_manual_unrollILi128ELi8EZNS0_22gpu_kernel_impl_nocastINS0_11FillFunctorIN3c1011Float8_e5m2EEEEEvRNS_18TensorIteratorBaseERKT_EUlibE_EEviT1_
                                        ; -- End function
	.set _ZN2at6native32elementwise_kernel_manual_unrollILi128ELi8EZNS0_22gpu_kernel_impl_nocastINS0_11FillFunctorIN3c1011Float8_e5m2EEEEEvRNS_18TensorIteratorBaseERKT_EUlibE_EEviT1_.num_vgpr, 16
	.set _ZN2at6native32elementwise_kernel_manual_unrollILi128ELi8EZNS0_22gpu_kernel_impl_nocastINS0_11FillFunctorIN3c1011Float8_e5m2EEEEEvRNS_18TensorIteratorBaseERKT_EUlibE_EEviT1_.num_agpr, 0
	.set _ZN2at6native32elementwise_kernel_manual_unrollILi128ELi8EZNS0_22gpu_kernel_impl_nocastINS0_11FillFunctorIN3c1011Float8_e5m2EEEEEvRNS_18TensorIteratorBaseERKT_EUlibE_EEviT1_.numbered_sgpr, 53
	.set _ZN2at6native32elementwise_kernel_manual_unrollILi128ELi8EZNS0_22gpu_kernel_impl_nocastINS0_11FillFunctorIN3c1011Float8_e5m2EEEEEvRNS_18TensorIteratorBaseERKT_EUlibE_EEviT1_.num_named_barrier, 0
	.set _ZN2at6native32elementwise_kernel_manual_unrollILi128ELi8EZNS0_22gpu_kernel_impl_nocastINS0_11FillFunctorIN3c1011Float8_e5m2EEEEEvRNS_18TensorIteratorBaseERKT_EUlibE_EEviT1_.private_seg_size, 0
	.set _ZN2at6native32elementwise_kernel_manual_unrollILi128ELi8EZNS0_22gpu_kernel_impl_nocastINS0_11FillFunctorIN3c1011Float8_e5m2EEEEEvRNS_18TensorIteratorBaseERKT_EUlibE_EEviT1_.uses_vcc, 1
	.set _ZN2at6native32elementwise_kernel_manual_unrollILi128ELi8EZNS0_22gpu_kernel_impl_nocastINS0_11FillFunctorIN3c1011Float8_e5m2EEEEEvRNS_18TensorIteratorBaseERKT_EUlibE_EEviT1_.uses_flat_scratch, 0
	.set _ZN2at6native32elementwise_kernel_manual_unrollILi128ELi8EZNS0_22gpu_kernel_impl_nocastINS0_11FillFunctorIN3c1011Float8_e5m2EEEEEvRNS_18TensorIteratorBaseERKT_EUlibE_EEviT1_.has_dyn_sized_stack, 0
	.set _ZN2at6native32elementwise_kernel_manual_unrollILi128ELi8EZNS0_22gpu_kernel_impl_nocastINS0_11FillFunctorIN3c1011Float8_e5m2EEEEEvRNS_18TensorIteratorBaseERKT_EUlibE_EEviT1_.has_recursion, 0
	.set _ZN2at6native32elementwise_kernel_manual_unrollILi128ELi8EZNS0_22gpu_kernel_impl_nocastINS0_11FillFunctorIN3c1011Float8_e5m2EEEEEvRNS_18TensorIteratorBaseERKT_EUlibE_EEviT1_.has_indirect_call, 0
	.section	.AMDGPU.csdata,"",@progbits
; Kernel info:
; codeLenInByte = 9820
; TotalNumSgprs: 57
; NumVgprs: 16
; ScratchSize: 0
; MemoryBound: 0
; FloatMode: 240
; IeeeMode: 1
; LDSByteSize: 0 bytes/workgroup (compile time only)
; SGPRBlocks: 7
; VGPRBlocks: 3
; NumSGPRsForWavesPerEU: 57
; NumVGPRsForWavesPerEU: 16
; Occupancy: 10
; WaveLimiterHint : 1
; COMPUTE_PGM_RSRC2:SCRATCH_EN: 0
; COMPUTE_PGM_RSRC2:USER_SGPR: 6
; COMPUTE_PGM_RSRC2:TRAP_HANDLER: 0
; COMPUTE_PGM_RSRC2:TGID_X_EN: 1
; COMPUTE_PGM_RSRC2:TGID_Y_EN: 0
; COMPUTE_PGM_RSRC2:TGID_Z_EN: 0
; COMPUTE_PGM_RSRC2:TIDIG_COMP_CNT: 0
	.section	.text._ZN2at6native32elementwise_kernel_manual_unrollILi128ELi4EZNS0_15gpu_kernel_implINS0_11FillFunctorIN3c1011Float8_e5m2EEEEEvRNS_18TensorIteratorBaseERKT_EUlibE_EEviT1_,"axG",@progbits,_ZN2at6native32elementwise_kernel_manual_unrollILi128ELi4EZNS0_15gpu_kernel_implINS0_11FillFunctorIN3c1011Float8_e5m2EEEEEvRNS_18TensorIteratorBaseERKT_EUlibE_EEviT1_,comdat
	.protected	_ZN2at6native32elementwise_kernel_manual_unrollILi128ELi4EZNS0_15gpu_kernel_implINS0_11FillFunctorIN3c1011Float8_e5m2EEEEEvRNS_18TensorIteratorBaseERKT_EUlibE_EEviT1_ ; -- Begin function _ZN2at6native32elementwise_kernel_manual_unrollILi128ELi4EZNS0_15gpu_kernel_implINS0_11FillFunctorIN3c1011Float8_e5m2EEEEEvRNS_18TensorIteratorBaseERKT_EUlibE_EEviT1_
	.globl	_ZN2at6native32elementwise_kernel_manual_unrollILi128ELi4EZNS0_15gpu_kernel_implINS0_11FillFunctorIN3c1011Float8_e5m2EEEEEvRNS_18TensorIteratorBaseERKT_EUlibE_EEviT1_
	.p2align	8
	.type	_ZN2at6native32elementwise_kernel_manual_unrollILi128ELi4EZNS0_15gpu_kernel_implINS0_11FillFunctorIN3c1011Float8_e5m2EEEEEvRNS_18TensorIteratorBaseERKT_EUlibE_EEviT1_,@function
_ZN2at6native32elementwise_kernel_manual_unrollILi128ELi4EZNS0_15gpu_kernel_implINS0_11FillFunctorIN3c1011Float8_e5m2EEEEEvRNS_18TensorIteratorBaseERKT_EUlibE_EEviT1_: ; @_ZN2at6native32elementwise_kernel_manual_unrollILi128ELi4EZNS0_15gpu_kernel_implINS0_11FillFunctorIN3c1011Float8_e5m2EEEEEvRNS_18TensorIteratorBaseERKT_EUlibE_EEviT1_
; %bb.0:
	s_load_dwordx4 s[8:11], s[4:5], 0x8
	s_load_dword s44, s[4:5], 0x0
	v_lshl_or_b32 v19, s6, 9, v0
	v_or_b32_e32 v0, 0x180, v19
	s_mov_b64 s[6:7], 0
	s_waitcnt lgkmcnt(0)
	s_bfe_u32 s33, s11, 0x80008
	v_cmp_le_i32_e32 vcc, s44, v0
	s_mov_b64 s[0:1], 0
	s_and_saveexec_b64 s[2:3], vcc
	s_xor_b64 s[12:13], exec, s[2:3]
	s_cbranch_execz .LBB118_404
; %bb.1:
	s_lshl_b32 s0, s11, 25
	s_lshr_b32 s1, s0, 4
	s_or_b32 s1, s1, 0x70000000
	s_cmp_lt_u32 s0, 0x8000000
	v_mov_b32_e32 v0, 0x7800000
	v_mul_f32_e32 v0, s1, v0
	s_cselect_b64 vcc, -1, 0
	s_lshl_b32 s1, s11, 8
	s_and_b32 s1, s1, 0x7f00
	s_or_b32 s1, s1, 0.5
	v_add_f32_e64 v1, s1, -0.5
	s_lshl_b32 s0, s11, 24
	v_cndmask_b32_e32 v0, v0, v1, vcc
	s_and_b32 s0, s0, 0x80000000
	v_readfirstlane_b32 s14, v0
	s_or_b32 s48, s0, s14
	v_trunc_f32_e32 v2, s48
	v_mul_f32_e32 v1, 0x2f800000, v2
	v_floor_f32_e32 v1, v1
	v_mov_b32_e32 v3, v2
	v_fmac_f32_e32 v3, 0xcf800000, v1
	v_and_b32_e32 v4, 0x400000, v0
	v_cvt_u32_f32_e32 v6, v3
	v_bfe_u32 v3, v0, 23, 8
	s_movk_i32 s0, 0xff
	v_cmp_ne_u32_e32 vcc, 0, v4
	v_and_b32_e32 v4, 0x3fffff, v0
	v_cmp_eq_u32_e64 s[4:5], s0, v3
	v_or_b32_e32 v3, v3, v4
	v_cmp_ne_u32_e64 s[0:1], 0, v3
	s_and_b64 s[0:1], vcc, s[0:1]
	v_cvt_u32_f32_e32 v7, v1
	v_lshrrev_b32_e32 v1, 23, v0
	v_cndmask_b32_e64 v3, 0, 1, s[0:1]
	v_add_u32_e32 v18, v1, v3
	s_and_b32 s28, s48, 0x7fffffff
	v_mov_b32_e32 v1, 0x46000000
	s_cmp_lt_u32 s28, 0x43800000
	v_add_f32_e64 v16, |s48|, v1
	v_bfe_u32 v1, v0, 21, 1
	s_cselect_b64 s[22:23], -1, 0
	s_cmp_gt_u32 s28, 0x3bffffff
	v_add_u32_e32 v1, s48, v1
	s_cselect_b64 s[2:3], -1, 0
	s_bfe_u32 s0, s14, 0x10014
	v_add_u32_e32 v1, 0x88fffff, v1
	s_add_i32 s29, s48, s0
	v_lshrrev_b32_e32 v14, 21, v1
	v_mov_b32_e32 v1, 0x42800000
	s_add_i32 s0, s29, 0x487ffff
	v_add_f32_e64 v15, |s48|, v1
	v_mov_b32_e32 v1, 0x46800000
	s_lshr_b32 s53, s0, 20
	v_readfirstlane_b32 s0, v16
	v_add_f32_e64 v1, |s48|, v1
	s_and_b32 s0, s0, 0xff
	v_readfirstlane_b32 s51, v1
	v_bfe_u32 v1, v0, 16, 1
	s_cmp_lg_u32 s0, 0
	v_add_u32_e32 v1, s48, v1
	s_cselect_b64 s[24:25], -1, 0
	s_lshr_b32 s0, s48, 24
	v_add_u32_e32 v1, 0x7fff, v1
	s_mov_b32 s26, 0x2f800000
	s_and_b32 s49, s0, 0x80
	v_lshrrev_b32_e32 v1, 16, v1
	v_mov_b32_e32 v3, 0x7fc0
	v_cmp_o_f32_e64 vcc, s48, s48
	s_cmp_lt_u32 s28, 0x47800000
	v_cndmask_b32_e32 v13, v3, v1, vcc
	v_mul_f32_e64 v3, |v2|, s26
	s_mov_b32 s27, 0xcf800000
	s_cselect_b64 s[18:19], -1, 0
	s_cmp_gt_u32 s28, 0x37ffffff
	v_readfirstlane_b32 s14, v15
	v_floor_f32_e32 v3, v3
	s_cselect_b64 s[0:1], -1, 0
	s_and_b32 s14, s14, 0xff
	v_fma_f32 v4, v3, s27, |v2|
	s_cmp_lg_u32 s14, 0
	v_cvt_u32_f32_e32 v4, v4
	s_cselect_b64 s[20:21], -1, 0
	s_cmp_gt_u32 s28, 0x43efffff
	v_cvt_u32_f32_e32 v3, v3
	s_cselect_b64 s[14:15], -1, 0
	s_cmp_lt_u32 s28, 0x3c800000
	s_cselect_b64 s[16:17], -1, 0
	s_add_i32 s29, s29, 0x407ffff
	v_ashrrev_i32_e32 v2, 31, v2
	v_cvt_u32_f32_e32 v17, s48
	s_lshr_b32 s30, s29, 20
	s_and_b32 s29, s29, 0xff00000
	v_cmp_neq_f32_e32 vcc, 0, v0
	v_cvt_f64_f32_e32 v[0:1], s48
	v_cvt_f16_f32_e32 v11, s48
	v_xor_b32_e32 v4, v4, v2
	v_cvt_i32_f32_e32 v10, s48
	s_cmp_lg_u32 s29, 0x7f00000
	v_cndmask_b32_e64 v12, 0, 1, vcc
	v_xor_b32_e32 v3, v3, v2
	v_sub_co_u32_e32 v4, vcc, v4, v2
	s_cselect_b32 s50, s30, 0x7e
	s_cmp_gt_u32 s28, 0x7f800000
	s_movk_i32 s28, 0x7f
	v_subb_co_u32_e32 v5, vcc, v3, v2, vcc
	s_cselect_b32 s52, s28, 0x7e
	v_cmp_gt_i32_e32 vcc, s44, v19
	s_mov_b64 s[30:31], -1
	s_mov_b64 s[34:35], 0
	s_mov_b64 s[26:27], 0
	s_and_saveexec_b64 s[28:29], vcc
	s_cbranch_execz .LBB118_100
; %bb.2:
	v_mul_lo_u32 v2, v19, s10
	v_mov_b32_e32 v3, s9
	s_and_b32 s38, 0xffff, s33
	s_cmp_lt_i32 s38, 11
	v_ashrrev_i32_e32 v9, 31, v2
	v_add_co_u32_e32 v8, vcc, s8, v2
	v_addc_co_u32_e32 v9, vcc, v3, v9, vcc
	s_cbranch_scc1 .LBB118_9
; %bb.3:
	s_cmp_gt_i32 s38, 25
	s_cbranch_scc0 .LBB118_12
; %bb.4:
	s_cmp_gt_i32 s38, 28
	s_cbranch_scc0 .LBB118_13
	;; [unrolled: 3-line block ×4, first 2 shown]
; %bb.7:
	s_mov_b64 s[36:37], 0
	s_mov_b64 s[26:27], -1
	s_cmp_eq_u32 s38, 46
	s_mov_b64 s[30:31], 0
	s_cbranch_scc0 .LBB118_16
; %bb.8:
	global_store_dword v[8:9], v13, off
	s_mov_b64 s[30:31], -1
	s_mov_b64 s[26:27], 0
	s_branch .LBB118_16
.LBB118_9:
	s_mov_b64 s[30:31], 0
	s_cbranch_execnz .LBB118_60
.LBB118_10:
	s_andn2_b64 vcc, exec, s[30:31]
	s_cbranch_vccnz .LBB118_98
.LBB118_11:
	v_add_u32_e32 v19, 0x80, v19
	s_mov_b64 s[30:31], -1
	s_branch .LBB118_99
.LBB118_12:
	s_mov_b64 s[30:31], 0
	s_cbranch_execnz .LBB118_38
	s_branch .LBB118_59
.LBB118_13:
	s_mov_b64 s[36:37], -1
	s_mov_b64 s[30:31], 0
	s_branch .LBB118_24
.LBB118_14:
	s_mov_b64 s[36:37], -1
	s_mov_b64 s[30:31], 0
	s_branch .LBB118_20
.LBB118_15:
	s_mov_b64 s[36:37], -1
	s_mov_b64 s[30:31], 0
.LBB118_16:
	s_and_b64 vcc, exec, s[36:37]
	s_cbranch_vccz .LBB118_19
; %bb.17:
	s_cmp_eq_u32 s38, 44
	s_mov_b64 s[26:27], -1
	s_cbranch_scc0 .LBB118_19
; %bb.18:
	v_mov_b32_e32 v2, 0xffff
	v_cndmask_b32_e64 v2, v18, v2, s[4:5]
	global_store_byte v[8:9], v2, off
	s_mov_b64 s[30:31], -1
	s_mov_b64 s[26:27], 0
.LBB118_19:
	s_mov_b64 s[36:37], 0
.LBB118_20:
	s_and_b64 vcc, exec, s[36:37]
	s_cbranch_vccz .LBB118_23
; %bb.21:
	s_cmp_eq_u32 s38, 29
	s_mov_b64 s[26:27], -1
	s_cbranch_scc0 .LBB118_23
; %bb.22:
	global_store_dwordx2 v[8:9], v[6:7], off
	s_mov_b64 s[30:31], -1
	s_mov_b64 s[26:27], 0
.LBB118_23:
	s_mov_b64 s[36:37], 0
.LBB118_24:
	s_and_b64 vcc, exec, s[36:37]
	s_cbranch_vccz .LBB118_37
; %bb.25:
	s_cmp_lt_i32 s38, 27
	s_mov_b64 s[30:31], -1
	s_cbranch_scc1 .LBB118_31
; %bb.26:
	s_cmp_gt_i32 s38, 27
	s_cbranch_scc0 .LBB118_28
; %bb.27:
	s_mov_b64 s[30:31], 0
	global_store_dword v[8:9], v17, off
.LBB118_28:
	s_andn2_b64 vcc, exec, s[30:31]
	s_cbranch_vccnz .LBB118_30
; %bb.29:
	global_store_short v[8:9], v17, off
.LBB118_30:
	s_mov_b64 s[30:31], 0
.LBB118_31:
	s_andn2_b64 vcc, exec, s[30:31]
	s_cbranch_vccnz .LBB118_36
; %bb.32:
	s_andn2_b64 vcc, exec, s[22:23]
	v_mov_b32_e32 v2, 0x80
	s_cbranch_vccnz .LBB118_35
; %bb.33:
	s_or_b64 s[30:31], s[2:3], s[24:25]
	s_andn2_b64 vcc, exec, s[30:31]
	v_mov_b32_e32 v2, 0
	s_cbranch_vccnz .LBB118_35
; %bb.34:
	v_mov_b32_e32 v2, s53
	v_cndmask_b32_e64 v2, v16, v2, s[2:3]
	v_or_b32_e32 v2, s49, v2
.LBB118_35:
	global_store_byte v[8:9], v2, off
.LBB118_36:
	s_mov_b64 s[30:31], -1
.LBB118_37:
	s_branch .LBB118_59
.LBB118_38:
	s_cmp_gt_i32 s38, 22
	s_mov_b64 s[36:37], -1
	s_cbranch_scc0 .LBB118_51
; %bb.39:
	s_cmp_lt_i32 s38, 24
	s_mov_b64 s[30:31], -1
	s_cbranch_scc1 .LBB118_48
; %bb.40:
	s_cmp_gt_i32 s38, 24
	s_cbranch_scc0 .LBB118_45
; %bb.41:
	s_andn2_b64 vcc, exec, s[18:19]
	v_mov_b32_e32 v2, 0x80
	s_cbranch_vccnz .LBB118_44
; %bb.42:
	s_or_b64 s[30:31], s[0:1], s[20:21]
	s_andn2_b64 vcc, exec, s[30:31]
	v_mov_b32_e32 v2, 0
	s_cbranch_vccnz .LBB118_44
; %bb.43:
	v_cndmask_b32_e64 v2, v15, v14, s[0:1]
	v_or_b32_e32 v2, s49, v2
.LBB118_44:
	s_mov_b64 s[30:31], 0
	global_store_byte v[8:9], v2, off
.LBB118_45:
	s_and_b64 vcc, exec, s[30:31]
	s_cbranch_vccz .LBB118_47
; %bb.46:
	s_and_b64 s[30:31], s[16:17], exec
	s_cselect_b32 s36, s51, s50
	s_and_b64 s[30:31], s[14:15], exec
	s_cselect_b32 s30, s52, s36
	s_or_b32 s30, s30, s49
	v_mov_b32_e32 v2, s30
	global_store_byte v[8:9], v2, off
.LBB118_47:
	s_mov_b64 s[30:31], 0
.LBB118_48:
	s_andn2_b64 vcc, exec, s[30:31]
	s_cbranch_vccnz .LBB118_50
; %bb.49:
	v_mov_b32_e32 v2, s11
	global_store_byte v[8:9], v2, off
.LBB118_50:
	s_mov_b64 s[36:37], 0
	s_mov_b64 s[30:31], -1
.LBB118_51:
	s_andn2_b64 vcc, exec, s[36:37]
	s_cbranch_vccnz .LBB118_59
; %bb.52:
	s_cmp_gt_i32 s38, 14
	s_mov_b64 s[36:37], -1
	s_cbranch_scc0 .LBB118_56
; %bb.53:
	s_cmp_eq_u32 s38, 15
	s_mov_b64 s[26:27], -1
	s_cbranch_scc0 .LBB118_55
; %bb.54:
	global_store_short v[8:9], v13, off
	s_mov_b64 s[30:31], -1
	s_mov_b64 s[26:27], 0
.LBB118_55:
	s_mov_b64 s[36:37], 0
.LBB118_56:
	s_and_b64 vcc, exec, s[36:37]
	s_cbranch_vccz .LBB118_59
; %bb.57:
	s_cmp_eq_u32 s38, 11
	s_mov_b64 s[26:27], -1
	s_cbranch_scc0 .LBB118_59
; %bb.58:
	s_mov_b64 s[30:31], -1
	s_mov_b64 s[26:27], 0
	global_store_byte v[8:9], v12, off
.LBB118_59:
	s_branch .LBB118_10
.LBB118_60:
	s_cmp_lt_i32 s38, 5
	s_mov_b64 s[30:31], -1
	s_cbranch_scc1 .LBB118_81
; %bb.61:
	s_cmp_lt_i32 s38, 8
	s_cbranch_scc1 .LBB118_71
; %bb.62:
	s_cmp_lt_i32 s38, 9
	s_cbranch_scc1 .LBB118_68
; %bb.63:
	s_cmp_gt_i32 s38, 9
	s_cbranch_scc0 .LBB118_65
; %bb.64:
	v_mov_b32_e32 v2, 0
	v_mov_b32_e32 v3, v2
	global_store_dwordx4 v[8:9], v[0:3], off
	s_mov_b64 s[30:31], 0
.LBB118_65:
	s_andn2_b64 vcc, exec, s[30:31]
	s_cbranch_vccnz .LBB118_67
; %bb.66:
	v_mov_b32_e32 v2, s48
	v_mov_b32_e32 v3, 0
	global_store_dwordx2 v[8:9], v[2:3], off
.LBB118_67:
	s_mov_b64 s[30:31], 0
.LBB118_68:
	s_andn2_b64 vcc, exec, s[30:31]
	s_cbranch_vccnz .LBB118_70
; %bb.69:
	global_store_dword v[8:9], v11, off
.LBB118_70:
	s_mov_b64 s[30:31], 0
.LBB118_71:
	s_andn2_b64 vcc, exec, s[30:31]
	s_cbranch_vccnz .LBB118_80
; %bb.72:
	s_cmp_lt_i32 s38, 6
	s_mov_b64 s[30:31], -1
	s_cbranch_scc1 .LBB118_78
; %bb.73:
	s_cmp_gt_i32 s38, 6
	s_cbranch_scc0 .LBB118_75
; %bb.74:
	global_store_dwordx2 v[8:9], v[0:1], off
	s_mov_b64 s[30:31], 0
.LBB118_75:
	s_andn2_b64 vcc, exec, s[30:31]
	s_cbranch_vccnz .LBB118_77
; %bb.76:
	v_mov_b32_e32 v2, s48
	global_store_dword v[8:9], v2, off
.LBB118_77:
	s_mov_b64 s[30:31], 0
.LBB118_78:
	s_andn2_b64 vcc, exec, s[30:31]
	s_cbranch_vccnz .LBB118_80
; %bb.79:
	global_store_short v[8:9], v11, off
.LBB118_80:
	s_mov_b64 s[30:31], 0
.LBB118_81:
	s_andn2_b64 vcc, exec, s[30:31]
	s_cbranch_vccnz .LBB118_97
; %bb.82:
	s_cmp_lt_i32 s38, 2
	s_mov_b64 s[30:31], -1
	s_cbranch_scc1 .LBB118_92
; %bb.83:
	s_cmp_lt_i32 s38, 3
	s_cbranch_scc1 .LBB118_89
; %bb.84:
	s_cmp_gt_i32 s38, 3
	s_cbranch_scc0 .LBB118_86
; %bb.85:
	global_store_dwordx2 v[8:9], v[4:5], off
	s_mov_b64 s[30:31], 0
.LBB118_86:
	s_andn2_b64 vcc, exec, s[30:31]
	s_cbranch_vccnz .LBB118_88
; %bb.87:
	global_store_dword v[8:9], v10, off
.LBB118_88:
	s_mov_b64 s[30:31], 0
.LBB118_89:
	s_andn2_b64 vcc, exec, s[30:31]
	s_cbranch_vccnz .LBB118_91
; %bb.90:
	global_store_short v[8:9], v10, off
.LBB118_91:
	s_mov_b64 s[30:31], 0
.LBB118_92:
	s_andn2_b64 vcc, exec, s[30:31]
	s_cbranch_vccnz .LBB118_97
; %bb.93:
	s_cmp_gt_i32 s38, 0
	s_mov_b64 s[30:31], -1
	s_cbranch_scc0 .LBB118_95
; %bb.94:
	global_store_byte v[8:9], v10, off
	s_mov_b64 s[30:31], 0
.LBB118_95:
	s_andn2_b64 vcc, exec, s[30:31]
	s_cbranch_vccnz .LBB118_97
; %bb.96:
	global_store_byte v[8:9], v4, off
.LBB118_97:
	s_branch .LBB118_11
.LBB118_98:
	s_mov_b64 s[30:31], 0
                                        ; implicit-def: $vgpr19
.LBB118_99:
	s_and_b64 s[26:27], s[26:27], exec
	s_orn2_b64 s[30:31], s[30:31], exec
.LBB118_100:
	s_or_b64 exec, exec, s[28:29]
	s_mov_b64 s[36:37], 0
                                        ; implicit-def: $vgpr8_vgpr9
	s_and_saveexec_b64 s[28:29], s[30:31]
	s_cbranch_execz .LBB118_109
; %bb.101:
	v_cmp_gt_i32_e32 vcc, s44, v19
	s_mov_b64 s[38:39], -1
	s_mov_b64 s[30:31], s[26:27]
	s_and_saveexec_b64 s[34:35], vcc
	s_cbranch_execz .LBB118_204
; %bb.102:
	v_mul_lo_u32 v2, v19, s10
	v_mov_b32_e32 v3, s9
	s_and_b32 s40, 0xffff, s33
	s_cmp_lt_i32 s40, 11
	v_ashrrev_i32_e32 v9, 31, v2
	v_add_co_u32_e32 v8, vcc, s8, v2
	v_addc_co_u32_e32 v9, vcc, v3, v9, vcc
	s_cbranch_scc1 .LBB118_112
; %bb.103:
	s_cmp_gt_i32 s40, 25
	s_cbranch_scc0 .LBB118_115
; %bb.104:
	s_cmp_gt_i32 s40, 28
	s_cbranch_scc0 .LBB118_116
	;; [unrolled: 3-line block ×4, first 2 shown]
; %bb.107:
	s_mov_b64 s[38:39], 0
	s_mov_b64 s[30:31], -1
	s_cmp_eq_u32 s40, 46
	s_cbranch_scc0 .LBB118_119
; %bb.108:
	global_store_dword v[8:9], v13, off
	s_mov_b64 s[36:37], -1
	s_mov_b64 s[30:31], 0
	s_branch .LBB118_119
.LBB118_109:
	s_or_b64 exec, exec, s[28:29]
	s_mov_b64 s[0:1], 0
	s_and_saveexec_b64 s[2:3], s[26:27]
	s_cbranch_execnz .LBB118_364
.LBB118_110:
	s_or_b64 exec, exec, s[2:3]
	s_and_saveexec_b64 s[2:3], s[34:35]
	s_xor_b64 s[2:3], exec, s[2:3]
	s_cbranch_execz .LBB118_365
.LBB118_111:
	global_store_byte v[8:9], v12, off
	s_or_b64 exec, exec, s[2:3]
	s_and_saveexec_b64 s[2:3], s[36:37]
	s_xor_b64 s[2:3], exec, s[2:3]
	s_cbranch_execz .LBB118_403
	s_branch .LBB118_366
.LBB118_112:
	s_mov_b64 s[30:31], s[26:27]
	s_and_b64 vcc, exec, s[38:39]
	s_cbranch_vccnz .LBB118_164
.LBB118_113:
	s_andn2_b64 vcc, exec, s[36:37]
	s_cbranch_vccnz .LBB118_202
.LBB118_114:
	v_add_u32_e32 v19, 0x80, v19
	s_mov_b64 s[36:37], -1
	s_branch .LBB118_203
.LBB118_115:
	s_mov_b64 s[30:31], s[26:27]
	s_branch .LBB118_141
.LBB118_116:
	s_mov_b64 s[30:31], s[26:27]
	s_branch .LBB118_127
.LBB118_117:
	s_mov_b64 s[30:31], s[26:27]
	s_branch .LBB118_123
.LBB118_118:
	s_mov_b64 s[30:31], s[26:27]
.LBB118_119:
	s_and_b64 vcc, exec, s[38:39]
	s_cbranch_vccz .LBB118_122
; %bb.120:
	s_cmp_eq_u32 s40, 44
	s_mov_b64 s[30:31], -1
	s_cbranch_scc0 .LBB118_122
; %bb.121:
	v_mov_b32_e32 v2, 0xffff
	v_cndmask_b32_e64 v2, v18, v2, s[4:5]
	s_mov_b64 s[36:37], -1
	s_mov_b64 s[30:31], 0
	global_store_byte v[8:9], v2, off
.LBB118_122:
	s_mov_b64 s[38:39], 0
.LBB118_123:
	s_and_b64 vcc, exec, s[38:39]
	s_cbranch_vccz .LBB118_126
; %bb.124:
	s_cmp_eq_u32 s40, 29
	s_mov_b64 s[30:31], -1
	s_cbranch_scc0 .LBB118_126
; %bb.125:
	global_store_dwordx2 v[8:9], v[6:7], off
	s_mov_b64 s[36:37], -1
	s_mov_b64 s[30:31], 0
.LBB118_126:
	s_mov_b64 s[38:39], 0
.LBB118_127:
	s_and_b64 vcc, exec, s[38:39]
	s_cbranch_vccz .LBB118_140
; %bb.128:
	s_cmp_lt_i32 s40, 27
	s_mov_b64 s[36:37], -1
	s_cbranch_scc1 .LBB118_134
; %bb.129:
	s_cmp_gt_i32 s40, 27
	s_cbranch_scc0 .LBB118_131
; %bb.130:
	s_mov_b64 s[36:37], 0
	global_store_dword v[8:9], v17, off
.LBB118_131:
	s_andn2_b64 vcc, exec, s[36:37]
	s_cbranch_vccnz .LBB118_133
; %bb.132:
	global_store_short v[8:9], v17, off
.LBB118_133:
	s_mov_b64 s[36:37], 0
.LBB118_134:
	s_andn2_b64 vcc, exec, s[36:37]
	s_cbranch_vccnz .LBB118_139
; %bb.135:
	s_andn2_b64 vcc, exec, s[22:23]
	v_mov_b32_e32 v2, 0x80
	s_cbranch_vccnz .LBB118_138
; %bb.136:
	s_or_b64 s[36:37], s[2:3], s[24:25]
	s_andn2_b64 vcc, exec, s[36:37]
	v_mov_b32_e32 v2, 0
	s_cbranch_vccnz .LBB118_138
; %bb.137:
	v_mov_b32_e32 v2, s53
	v_cndmask_b32_e64 v2, v16, v2, s[2:3]
	v_or_b32_e32 v2, s49, v2
.LBB118_138:
	global_store_byte v[8:9], v2, off
.LBB118_139:
	s_mov_b64 s[36:37], -1
.LBB118_140:
	s_mov_b64 s[38:39], 0
.LBB118_141:
	s_and_b64 vcc, exec, s[38:39]
	s_cbranch_vccz .LBB118_163
; %bb.142:
	s_cmp_gt_i32 s40, 22
	s_mov_b64 s[38:39], -1
	s_cbranch_scc0 .LBB118_155
; %bb.143:
	s_cmp_lt_i32 s40, 24
	s_mov_b64 s[36:37], -1
	s_cbranch_scc1 .LBB118_152
; %bb.144:
	s_cmp_gt_i32 s40, 24
	s_cbranch_scc0 .LBB118_149
; %bb.145:
	s_andn2_b64 vcc, exec, s[18:19]
	v_mov_b32_e32 v2, 0x80
	s_cbranch_vccnz .LBB118_148
; %bb.146:
	s_or_b64 s[36:37], s[0:1], s[20:21]
	s_andn2_b64 vcc, exec, s[36:37]
	v_mov_b32_e32 v2, 0
	s_cbranch_vccnz .LBB118_148
; %bb.147:
	v_cndmask_b32_e64 v2, v15, v14, s[0:1]
	v_or_b32_e32 v2, s49, v2
.LBB118_148:
	s_mov_b64 s[36:37], 0
	global_store_byte v[8:9], v2, off
.LBB118_149:
	s_and_b64 vcc, exec, s[36:37]
	s_cbranch_vccz .LBB118_151
; %bb.150:
	s_and_b64 s[36:37], s[16:17], exec
	s_cselect_b32 s38, s51, s50
	s_and_b64 s[36:37], s[14:15], exec
	s_cselect_b32 s36, s52, s38
	s_or_b32 s36, s36, s49
	v_mov_b32_e32 v2, s36
	global_store_byte v[8:9], v2, off
.LBB118_151:
	s_mov_b64 s[36:37], 0
.LBB118_152:
	s_andn2_b64 vcc, exec, s[36:37]
	s_cbranch_vccnz .LBB118_154
; %bb.153:
	v_mov_b32_e32 v2, s11
	global_store_byte v[8:9], v2, off
.LBB118_154:
	s_mov_b64 s[38:39], 0
	s_mov_b64 s[36:37], -1
.LBB118_155:
	s_andn2_b64 vcc, exec, s[38:39]
	s_cbranch_vccnz .LBB118_163
; %bb.156:
	s_cmp_gt_i32 s40, 14
	s_mov_b64 s[38:39], -1
	s_cbranch_scc0 .LBB118_160
; %bb.157:
	s_cmp_eq_u32 s40, 15
	s_mov_b64 s[30:31], -1
	s_cbranch_scc0 .LBB118_159
; %bb.158:
	global_store_short v[8:9], v13, off
	s_mov_b64 s[36:37], -1
	s_mov_b64 s[30:31], 0
.LBB118_159:
	s_mov_b64 s[38:39], 0
.LBB118_160:
	s_and_b64 vcc, exec, s[38:39]
	s_cbranch_vccz .LBB118_163
; %bb.161:
	s_cmp_eq_u32 s40, 11
	s_mov_b64 s[30:31], -1
	s_cbranch_scc0 .LBB118_163
; %bb.162:
	s_mov_b64 s[36:37], -1
	s_mov_b64 s[30:31], 0
	global_store_byte v[8:9], v12, off
.LBB118_163:
	s_branch .LBB118_113
.LBB118_164:
	s_cmp_lt_i32 s40, 5
	s_mov_b64 s[36:37], -1
	s_cbranch_scc1 .LBB118_185
; %bb.165:
	s_cmp_lt_i32 s40, 8
	s_cbranch_scc1 .LBB118_175
; %bb.166:
	s_cmp_lt_i32 s40, 9
	s_cbranch_scc1 .LBB118_172
; %bb.167:
	s_cmp_gt_i32 s40, 9
	s_cbranch_scc0 .LBB118_169
; %bb.168:
	v_mov_b32_e32 v2, 0
	v_mov_b32_e32 v3, v2
	s_mov_b64 s[36:37], 0
	global_store_dwordx4 v[8:9], v[0:3], off
.LBB118_169:
	s_andn2_b64 vcc, exec, s[36:37]
	s_cbranch_vccnz .LBB118_171
; %bb.170:
	v_mov_b32_e32 v2, s48
	v_mov_b32_e32 v3, 0
	global_store_dwordx2 v[8:9], v[2:3], off
.LBB118_171:
	s_mov_b64 s[36:37], 0
.LBB118_172:
	s_andn2_b64 vcc, exec, s[36:37]
	s_cbranch_vccnz .LBB118_174
; %bb.173:
	global_store_dword v[8:9], v11, off
.LBB118_174:
	s_mov_b64 s[36:37], 0
.LBB118_175:
	s_andn2_b64 vcc, exec, s[36:37]
	s_cbranch_vccnz .LBB118_184
; %bb.176:
	s_cmp_lt_i32 s40, 6
	s_mov_b64 s[36:37], -1
	s_cbranch_scc1 .LBB118_182
; %bb.177:
	s_cmp_gt_i32 s40, 6
	s_cbranch_scc0 .LBB118_179
; %bb.178:
	s_mov_b64 s[36:37], 0
	global_store_dwordx2 v[8:9], v[0:1], off
.LBB118_179:
	s_andn2_b64 vcc, exec, s[36:37]
	s_cbranch_vccnz .LBB118_181
; %bb.180:
	v_mov_b32_e32 v2, s48
	global_store_dword v[8:9], v2, off
.LBB118_181:
	s_mov_b64 s[36:37], 0
.LBB118_182:
	s_andn2_b64 vcc, exec, s[36:37]
	s_cbranch_vccnz .LBB118_184
; %bb.183:
	global_store_short v[8:9], v11, off
.LBB118_184:
	s_mov_b64 s[36:37], 0
.LBB118_185:
	s_andn2_b64 vcc, exec, s[36:37]
	s_cbranch_vccnz .LBB118_201
; %bb.186:
	s_cmp_lt_i32 s40, 2
	s_mov_b64 s[36:37], -1
	s_cbranch_scc1 .LBB118_196
; %bb.187:
	s_cmp_lt_i32 s40, 3
	s_cbranch_scc1 .LBB118_193
; %bb.188:
	s_cmp_gt_i32 s40, 3
	s_cbranch_scc0 .LBB118_190
; %bb.189:
	s_mov_b64 s[36:37], 0
	global_store_dwordx2 v[8:9], v[4:5], off
.LBB118_190:
	s_andn2_b64 vcc, exec, s[36:37]
	s_cbranch_vccnz .LBB118_192
; %bb.191:
	global_store_dword v[8:9], v10, off
.LBB118_192:
	s_mov_b64 s[36:37], 0
.LBB118_193:
	s_andn2_b64 vcc, exec, s[36:37]
	s_cbranch_vccnz .LBB118_195
; %bb.194:
	global_store_short v[8:9], v10, off
.LBB118_195:
	s_mov_b64 s[36:37], 0
.LBB118_196:
	s_andn2_b64 vcc, exec, s[36:37]
	s_cbranch_vccnz .LBB118_201
; %bb.197:
	s_cmp_gt_i32 s40, 0
	s_mov_b64 s[36:37], -1
	s_cbranch_scc0 .LBB118_199
; %bb.198:
	s_mov_b64 s[36:37], 0
	global_store_byte v[8:9], v10, off
.LBB118_199:
	s_andn2_b64 vcc, exec, s[36:37]
	s_cbranch_vccnz .LBB118_201
; %bb.200:
	global_store_byte v[8:9], v4, off
.LBB118_201:
	s_branch .LBB118_114
.LBB118_202:
	s_mov_b64 s[36:37], 0
                                        ; implicit-def: $vgpr19
.LBB118_203:
	s_andn2_b64 s[38:39], s[26:27], exec
	s_and_b64 s[30:31], s[30:31], exec
	s_or_b64 s[30:31], s[38:39], s[30:31]
	s_orn2_b64 s[38:39], s[36:37], exec
.LBB118_204:
	s_or_b64 exec, exec, s[34:35]
	s_mov_b64 s[40:41], 0
	s_mov_b64 s[36:37], 0
                                        ; implicit-def: $vgpr8_vgpr9
	s_and_saveexec_b64 s[34:35], s[38:39]
	s_cbranch_execz .LBB118_363
; %bb.205:
	v_cmp_gt_i32_e32 vcc, s44, v19
	s_mov_b64 s[42:43], -1
	s_mov_b64 s[38:39], s[30:31]
	s_and_saveexec_b64 s[36:37], vcc
	s_cbranch_execz .LBB118_306
; %bb.206:
	v_mul_lo_u32 v2, v19, s10
	v_mov_b32_e32 v3, s9
	s_and_b32 s45, 0xffff, s33
	s_cmp_lt_i32 s45, 11
	v_ashrrev_i32_e32 v9, 31, v2
	v_add_co_u32_e32 v8, vcc, s8, v2
	v_addc_co_u32_e32 v9, vcc, v3, v9, vcc
	s_cbranch_scc1 .LBB118_213
; %bb.207:
	s_cmp_gt_i32 s45, 25
	s_cbranch_scc0 .LBB118_214
; %bb.208:
	s_cmp_gt_i32 s45, 28
	s_cbranch_scc0 .LBB118_215
	;; [unrolled: 3-line block ×4, first 2 shown]
; %bb.211:
	s_mov_b64 s[42:43], 0
	s_mov_b64 s[38:39], -1
	s_cmp_eq_u32 s45, 46
	s_cbranch_scc0 .LBB118_218
; %bb.212:
	global_store_dword v[8:9], v13, off
	s_mov_b64 s[40:41], -1
	s_mov_b64 s[38:39], 0
	s_branch .LBB118_218
.LBB118_213:
	s_mov_b64 s[38:39], s[30:31]
	s_branch .LBB118_263
.LBB118_214:
	s_mov_b64 s[38:39], s[30:31]
	s_branch .LBB118_240
.LBB118_215:
	s_mov_b64 s[38:39], s[30:31]
	s_branch .LBB118_226
.LBB118_216:
	s_mov_b64 s[38:39], s[30:31]
	s_branch .LBB118_222
.LBB118_217:
	s_mov_b64 s[38:39], s[30:31]
.LBB118_218:
	s_and_b64 vcc, exec, s[42:43]
	s_cbranch_vccz .LBB118_221
; %bb.219:
	s_cmp_eq_u32 s45, 44
	s_mov_b64 s[38:39], -1
	s_cbranch_scc0 .LBB118_221
; %bb.220:
	v_mov_b32_e32 v2, 0xffff
	v_cndmask_b32_e64 v2, v18, v2, s[4:5]
	s_mov_b64 s[40:41], -1
	s_mov_b64 s[38:39], 0
	global_store_byte v[8:9], v2, off
.LBB118_221:
	s_mov_b64 s[42:43], 0
.LBB118_222:
	s_and_b64 vcc, exec, s[42:43]
	s_cbranch_vccz .LBB118_225
; %bb.223:
	s_cmp_eq_u32 s45, 29
	s_mov_b64 s[38:39], -1
	s_cbranch_scc0 .LBB118_225
; %bb.224:
	global_store_dwordx2 v[8:9], v[6:7], off
	s_mov_b64 s[40:41], -1
	s_mov_b64 s[38:39], 0
.LBB118_225:
	s_mov_b64 s[42:43], 0
.LBB118_226:
	s_and_b64 vcc, exec, s[42:43]
	s_cbranch_vccz .LBB118_239
; %bb.227:
	s_cmp_lt_i32 s45, 27
	s_mov_b64 s[40:41], -1
	s_cbranch_scc1 .LBB118_233
; %bb.228:
	s_cmp_gt_i32 s45, 27
	s_cbranch_scc0 .LBB118_230
; %bb.229:
	s_mov_b64 s[40:41], 0
	global_store_dword v[8:9], v17, off
.LBB118_230:
	s_andn2_b64 vcc, exec, s[40:41]
	s_cbranch_vccnz .LBB118_232
; %bb.231:
	global_store_short v[8:9], v17, off
.LBB118_232:
	s_mov_b64 s[40:41], 0
.LBB118_233:
	s_andn2_b64 vcc, exec, s[40:41]
	s_cbranch_vccnz .LBB118_238
; %bb.234:
	s_andn2_b64 vcc, exec, s[22:23]
	v_mov_b32_e32 v2, 0x80
	s_cbranch_vccnz .LBB118_237
; %bb.235:
	s_or_b64 s[40:41], s[2:3], s[24:25]
	s_andn2_b64 vcc, exec, s[40:41]
	v_mov_b32_e32 v2, 0
	s_cbranch_vccnz .LBB118_237
; %bb.236:
	v_mov_b32_e32 v2, s53
	v_cndmask_b32_e64 v2, v16, v2, s[2:3]
	v_or_b32_e32 v2, s49, v2
.LBB118_237:
	global_store_byte v[8:9], v2, off
.LBB118_238:
	s_mov_b64 s[40:41], -1
.LBB118_239:
	s_mov_b64 s[42:43], 0
.LBB118_240:
	s_and_b64 vcc, exec, s[42:43]
	s_cbranch_vccz .LBB118_262
; %bb.241:
	s_cmp_gt_i32 s45, 22
	s_mov_b64 s[42:43], -1
	s_cbranch_scc0 .LBB118_254
; %bb.242:
	s_cmp_lt_i32 s45, 24
	s_mov_b64 s[40:41], -1
	s_cbranch_scc1 .LBB118_251
; %bb.243:
	s_cmp_gt_i32 s45, 24
	s_cbranch_scc0 .LBB118_248
; %bb.244:
	s_andn2_b64 vcc, exec, s[18:19]
	v_mov_b32_e32 v2, 0x80
	s_cbranch_vccnz .LBB118_247
; %bb.245:
	s_or_b64 s[40:41], s[0:1], s[20:21]
	s_andn2_b64 vcc, exec, s[40:41]
	v_mov_b32_e32 v2, 0
	s_cbranch_vccnz .LBB118_247
; %bb.246:
	v_cndmask_b32_e64 v2, v15, v14, s[0:1]
	v_or_b32_e32 v2, s49, v2
.LBB118_247:
	s_mov_b64 s[40:41], 0
	global_store_byte v[8:9], v2, off
.LBB118_248:
	s_and_b64 vcc, exec, s[40:41]
	s_cbranch_vccz .LBB118_250
; %bb.249:
	s_and_b64 s[40:41], s[16:17], exec
	s_cselect_b32 s42, s51, s50
	s_and_b64 s[40:41], s[14:15], exec
	s_cselect_b32 s40, s52, s42
	s_or_b32 s40, s40, s49
	v_mov_b32_e32 v2, s40
	global_store_byte v[8:9], v2, off
.LBB118_250:
	s_mov_b64 s[40:41], 0
.LBB118_251:
	s_andn2_b64 vcc, exec, s[40:41]
	s_cbranch_vccnz .LBB118_253
; %bb.252:
	v_mov_b32_e32 v2, s11
	global_store_byte v[8:9], v2, off
.LBB118_253:
	s_mov_b64 s[42:43], 0
	s_mov_b64 s[40:41], -1
.LBB118_254:
	s_andn2_b64 vcc, exec, s[42:43]
	s_cbranch_vccnz .LBB118_262
; %bb.255:
	s_cmp_gt_i32 s45, 14
	s_mov_b64 s[42:43], -1
	s_cbranch_scc0 .LBB118_259
; %bb.256:
	s_cmp_eq_u32 s45, 15
	s_mov_b64 s[38:39], -1
	s_cbranch_scc0 .LBB118_258
; %bb.257:
	global_store_short v[8:9], v13, off
	s_mov_b64 s[40:41], -1
	s_mov_b64 s[38:39], 0
.LBB118_258:
	s_mov_b64 s[42:43], 0
.LBB118_259:
	s_and_b64 vcc, exec, s[42:43]
	s_cbranch_vccz .LBB118_262
; %bb.260:
	s_cmp_eq_u32 s45, 11
	s_mov_b64 s[38:39], -1
	s_cbranch_scc0 .LBB118_262
; %bb.261:
	s_mov_b64 s[40:41], -1
	s_mov_b64 s[38:39], 0
	global_store_byte v[8:9], v12, off
.LBB118_262:
	s_mov_b64 s[42:43], 0
.LBB118_263:
	s_and_b64 vcc, exec, s[42:43]
	s_cbranch_vccz .LBB118_302
; %bb.264:
	s_cmp_lt_i32 s45, 5
	s_mov_b64 s[40:41], -1
	s_cbranch_scc1 .LBB118_285
; %bb.265:
	s_cmp_lt_i32 s45, 8
	s_cbranch_scc1 .LBB118_275
; %bb.266:
	s_cmp_lt_i32 s45, 9
	s_cbranch_scc1 .LBB118_272
; %bb.267:
	s_cmp_gt_i32 s45, 9
	s_cbranch_scc0 .LBB118_269
; %bb.268:
	v_mov_b32_e32 v2, 0
	v_mov_b32_e32 v3, v2
	s_mov_b64 s[40:41], 0
	global_store_dwordx4 v[8:9], v[0:3], off
.LBB118_269:
	s_andn2_b64 vcc, exec, s[40:41]
	s_cbranch_vccnz .LBB118_271
; %bb.270:
	v_mov_b32_e32 v2, s48
	v_mov_b32_e32 v3, 0
	global_store_dwordx2 v[8:9], v[2:3], off
.LBB118_271:
	s_mov_b64 s[40:41], 0
.LBB118_272:
	s_andn2_b64 vcc, exec, s[40:41]
	s_cbranch_vccnz .LBB118_274
; %bb.273:
	global_store_dword v[8:9], v11, off
.LBB118_274:
	s_mov_b64 s[40:41], 0
.LBB118_275:
	s_andn2_b64 vcc, exec, s[40:41]
	s_cbranch_vccnz .LBB118_284
; %bb.276:
	s_cmp_lt_i32 s45, 6
	s_mov_b64 s[40:41], -1
	s_cbranch_scc1 .LBB118_282
; %bb.277:
	s_cmp_gt_i32 s45, 6
	s_cbranch_scc0 .LBB118_279
; %bb.278:
	s_mov_b64 s[40:41], 0
	global_store_dwordx2 v[8:9], v[0:1], off
.LBB118_279:
	s_andn2_b64 vcc, exec, s[40:41]
	s_cbranch_vccnz .LBB118_281
; %bb.280:
	v_mov_b32_e32 v2, s48
	global_store_dword v[8:9], v2, off
.LBB118_281:
	s_mov_b64 s[40:41], 0
.LBB118_282:
	s_andn2_b64 vcc, exec, s[40:41]
	s_cbranch_vccnz .LBB118_284
; %bb.283:
	global_store_short v[8:9], v11, off
.LBB118_284:
	s_mov_b64 s[40:41], 0
.LBB118_285:
	s_andn2_b64 vcc, exec, s[40:41]
	s_cbranch_vccnz .LBB118_301
; %bb.286:
	s_cmp_lt_i32 s45, 2
	s_mov_b64 s[40:41], -1
	s_cbranch_scc1 .LBB118_296
; %bb.287:
	s_cmp_lt_i32 s45, 3
	s_cbranch_scc1 .LBB118_293
; %bb.288:
	s_cmp_gt_i32 s45, 3
	s_cbranch_scc0 .LBB118_290
; %bb.289:
	s_mov_b64 s[40:41], 0
	global_store_dwordx2 v[8:9], v[4:5], off
.LBB118_290:
	s_andn2_b64 vcc, exec, s[40:41]
	s_cbranch_vccnz .LBB118_292
; %bb.291:
	global_store_dword v[8:9], v10, off
.LBB118_292:
	s_mov_b64 s[40:41], 0
.LBB118_293:
	s_andn2_b64 vcc, exec, s[40:41]
	s_cbranch_vccnz .LBB118_295
; %bb.294:
	global_store_short v[8:9], v10, off
.LBB118_295:
	s_mov_b64 s[40:41], 0
.LBB118_296:
	s_andn2_b64 vcc, exec, s[40:41]
	s_cbranch_vccnz .LBB118_301
; %bb.297:
	s_cmp_gt_i32 s45, 0
	s_mov_b64 s[40:41], -1
	s_cbranch_scc0 .LBB118_299
; %bb.298:
	s_mov_b64 s[40:41], 0
	global_store_byte v[8:9], v10, off
.LBB118_299:
	s_andn2_b64 vcc, exec, s[40:41]
	s_cbranch_vccnz .LBB118_301
; %bb.300:
	global_store_byte v[8:9], v4, off
.LBB118_301:
	s_mov_b64 s[40:41], -1
.LBB118_302:
	s_andn2_b64 vcc, exec, s[40:41]
	s_cbranch_vccnz .LBB118_304
; %bb.303:
	v_add_u32_e32 v19, 0x80, v19
	s_mov_b64 s[40:41], -1
	s_branch .LBB118_305
.LBB118_304:
	s_mov_b64 s[40:41], 0
                                        ; implicit-def: $vgpr19
.LBB118_305:
	s_andn2_b64 s[42:43], s[30:31], exec
	s_and_b64 s[38:39], s[38:39], exec
	s_or_b64 s[38:39], s[42:43], s[38:39]
	s_orn2_b64 s[42:43], s[40:41], exec
.LBB118_306:
	s_or_b64 exec, exec, s[36:37]
	s_mov_b64 s[40:41], 0
	s_mov_b64 s[46:47], 0
                                        ; implicit-def: $vgpr8_vgpr9
	s_and_saveexec_b64 s[36:37], s[42:43]
	s_cbranch_execz .LBB118_362
; %bb.307:
	v_cmp_gt_i32_e32 vcc, s44, v19
	s_mov_b64 s[44:45], 0
	s_mov_b64 s[42:43], s[38:39]
                                        ; implicit-def: $vgpr8_vgpr9
	s_and_saveexec_b64 s[40:41], vcc
	s_cbranch_execz .LBB118_361
; %bb.308:
	v_mul_lo_u32 v2, v19, s10
	v_mov_b32_e32 v3, s9
	s_and_b32 s46, 0xffff, s33
	s_cmp_lt_i32 s46, 11
	v_ashrrev_i32_e32 v9, 31, v2
	v_add_co_u32_e32 v8, vcc, s8, v2
	v_addc_co_u32_e32 v9, vcc, v3, v9, vcc
	s_cbranch_scc1 .LBB118_358
; %bb.309:
	s_mov_b64 s[44:45], -1
	s_cmp_gt_i32 s46, 25
	s_mov_b64 s[42:43], s[38:39]
	s_cbranch_scc0 .LBB118_337
; %bb.310:
	s_cmp_gt_i32 s46, 28
	s_mov_b64 s[42:43], s[38:39]
	s_cbranch_scc0 .LBB118_324
; %bb.311:
	;; [unrolled: 4-line block ×4, first 2 shown]
	s_cmp_eq_u32 s46, 46
	s_mov_b64 s[42:43], -1
	s_cbranch_scc0 .LBB118_315
; %bb.314:
	global_store_dword v[8:9], v13, off
	s_mov_b64 s[42:43], 0
.LBB118_315:
	s_mov_b64 s[44:45], 0
.LBB118_316:
	s_and_b64 vcc, exec, s[44:45]
	s_cbranch_vccz .LBB118_319
; %bb.317:
	s_cmp_eq_u32 s46, 44
	s_mov_b64 s[42:43], -1
	s_cbranch_scc0 .LBB118_319
; %bb.318:
	v_mov_b32_e32 v2, 0xffff
	v_cndmask_b32_e64 v2, v18, v2, s[4:5]
	global_store_byte v[8:9], v2, off
	s_mov_b64 s[42:43], 0
.LBB118_319:
	s_mov_b64 s[44:45], 0
.LBB118_320:
	s_and_b64 vcc, exec, s[44:45]
	s_cbranch_vccz .LBB118_323
; %bb.321:
	s_cmp_eq_u32 s46, 29
	s_mov_b64 s[42:43], -1
	s_cbranch_scc0 .LBB118_323
; %bb.322:
	global_store_dwordx2 v[8:9], v[6:7], off
	s_mov_b64 s[42:43], 0
.LBB118_323:
	s_mov_b64 s[44:45], 0
.LBB118_324:
	s_and_b64 vcc, exec, s[44:45]
	s_cbranch_vccz .LBB118_336
; %bb.325:
	s_cmp_lt_i32 s46, 27
	s_mov_b64 s[4:5], -1
	s_cbranch_scc1 .LBB118_331
; %bb.326:
	s_cmp_gt_i32 s46, 27
	s_cbranch_scc0 .LBB118_328
; %bb.327:
	s_mov_b64 s[4:5], 0
	global_store_dword v[8:9], v17, off
.LBB118_328:
	s_andn2_b64 vcc, exec, s[4:5]
	s_cbranch_vccnz .LBB118_330
; %bb.329:
	global_store_short v[8:9], v17, off
.LBB118_330:
	s_mov_b64 s[4:5], 0
.LBB118_331:
	s_andn2_b64 vcc, exec, s[4:5]
	s_cbranch_vccnz .LBB118_336
; %bb.332:
	s_andn2_b64 vcc, exec, s[22:23]
	v_mov_b32_e32 v2, 0x80
	s_cbranch_vccnz .LBB118_335
; %bb.333:
	s_or_b64 s[4:5], s[2:3], s[24:25]
	s_andn2_b64 vcc, exec, s[4:5]
	v_mov_b32_e32 v2, 0
	s_cbranch_vccnz .LBB118_335
; %bb.334:
	v_mov_b32_e32 v2, s53
	v_cndmask_b32_e64 v2, v16, v2, s[2:3]
	v_or_b32_e32 v2, s49, v2
.LBB118_335:
	global_store_byte v[8:9], v2, off
.LBB118_336:
	s_mov_b64 s[44:45], 0
.LBB118_337:
	s_mov_b64 s[2:3], 0
	s_and_b64 vcc, exec, s[44:45]
	s_cbranch_vccz .LBB118_359
; %bb.338:
	s_cmp_gt_i32 s46, 22
	s_mov_b64 s[4:5], -1
	s_cbranch_scc0 .LBB118_351
; %bb.339:
	s_cmp_lt_i32 s46, 24
	s_cbranch_scc1 .LBB118_348
; %bb.340:
	s_cmp_gt_i32 s46, 24
	s_cbranch_scc0 .LBB118_345
; %bb.341:
	s_andn2_b64 vcc, exec, s[18:19]
	v_mov_b32_e32 v2, 0x80
	s_cbranch_vccnz .LBB118_344
; %bb.342:
	s_or_b64 s[4:5], s[0:1], s[20:21]
	s_andn2_b64 vcc, exec, s[4:5]
	v_mov_b32_e32 v2, 0
	s_cbranch_vccnz .LBB118_344
; %bb.343:
	v_cndmask_b32_e64 v2, v15, v14, s[0:1]
	v_or_b32_e32 v2, s49, v2
.LBB118_344:
	s_mov_b64 s[4:5], 0
	global_store_byte v[8:9], v2, off
.LBB118_345:
	s_and_b64 vcc, exec, s[4:5]
	s_cbranch_vccz .LBB118_347
; %bb.346:
	s_and_b64 s[0:1], s[16:17], exec
	s_cselect_b32 s4, s51, s50
	s_and_b64 s[0:1], s[14:15], exec
	s_cselect_b32 s0, s52, s4
	s_or_b32 s0, s0, s49
	v_mov_b32_e32 v2, s0
	global_store_byte v[8:9], v2, off
.LBB118_347:
	s_mov_b64 s[4:5], 0
.LBB118_348:
	s_andn2_b64 vcc, exec, s[4:5]
	s_cbranch_vccnz .LBB118_350
; %bb.349:
	v_mov_b32_e32 v2, s11
	global_store_byte v[8:9], v2, off
.LBB118_350:
	s_mov_b64 s[4:5], 0
.LBB118_351:
	s_andn2_b64 vcc, exec, s[4:5]
	s_mov_b64 s[0:1], 0
	s_cbranch_vccnz .LBB118_360
; %bb.352:
	s_cmp_gt_i32 s46, 14
	s_mov_b64 s[4:5], -1
	s_cbranch_scc0 .LBB118_356
; %bb.353:
	s_cmp_eq_u32 s46, 15
	s_mov_b64 s[42:43], -1
	s_cbranch_scc0 .LBB118_355
; %bb.354:
	global_store_short v[8:9], v13, off
	s_mov_b64 s[42:43], 0
.LBB118_355:
	s_mov_b64 s[4:5], 0
.LBB118_356:
	s_and_b64 vcc, exec, s[4:5]
	s_cbranch_vccz .LBB118_360
; %bb.357:
	s_cmp_lg_u32 s46, 11
	s_cselect_b64 s[4:5], -1, 0
	s_andn2_b64 s[14:15], s[42:43], exec
	s_and_b64 s[4:5], s[4:5], exec
	s_mov_b64 s[0:1], -1
	s_or_b64 s[42:43], s[14:15], s[4:5]
	s_branch .LBB118_360
.LBB118_358:
	s_mov_b64 s[0:1], 0
	s_mov_b64 s[2:3], -1
	s_mov_b64 s[42:43], s[38:39]
	s_branch .LBB118_360
.LBB118_359:
	s_mov_b64 s[0:1], 0
.LBB118_360:
	s_and_b64 s[46:47], s[2:3], exec
	s_and_b64 s[44:45], s[0:1], exec
	s_andn2_b64 s[0:1], s[38:39], exec
	s_and_b64 s[2:3], s[42:43], exec
	s_or_b64 s[42:43], s[0:1], s[2:3]
.LBB118_361:
	s_or_b64 exec, exec, s[40:41]
	s_andn2_b64 s[0:1], s[38:39], exec
	s_and_b64 s[2:3], s[42:43], exec
	s_and_b64 s[46:47], s[46:47], exec
	;; [unrolled: 1-line block ×3, first 2 shown]
	s_or_b64 s[38:39], s[0:1], s[2:3]
.LBB118_362:
	s_or_b64 exec, exec, s[36:37]
	s_andn2_b64 s[0:1], s[30:31], exec
	s_and_b64 s[2:3], s[38:39], exec
	s_and_b64 s[36:37], s[46:47], exec
	;; [unrolled: 1-line block ×3, first 2 shown]
	s_or_b64 s[30:31], s[0:1], s[2:3]
.LBB118_363:
	s_or_b64 exec, exec, s[34:35]
	s_andn2_b64 s[0:1], s[26:27], exec
	s_and_b64 s[2:3], s[30:31], exec
	s_and_b64 s[36:37], s[36:37], exec
	;; [unrolled: 1-line block ×3, first 2 shown]
	s_or_b64 s[26:27], s[0:1], s[2:3]
	s_or_b64 exec, exec, s[28:29]
	s_mov_b64 s[0:1], 0
	s_and_saveexec_b64 s[2:3], s[26:27]
	s_cbranch_execz .LBB118_110
.LBB118_364:
	s_mov_b64 s[0:1], exec
	s_andn2_b64 s[34:35], s[34:35], exec
	s_trap 2
	s_or_b64 exec, exec, s[2:3]
	s_and_saveexec_b64 s[2:3], s[34:35]
	s_xor_b64 s[2:3], exec, s[2:3]
	s_cbranch_execnz .LBB118_111
.LBB118_365:
	s_or_b64 exec, exec, s[2:3]
	s_and_saveexec_b64 s[2:3], s[36:37]
	s_xor_b64 s[2:3], exec, s[2:3]
	s_cbranch_execz .LBB118_403
.LBB118_366:
	s_sext_i32_i16 s14, s33
	s_cmp_lt_i32 s14, 5
	s_mov_b64 s[4:5], -1
	s_cbranch_scc1 .LBB118_387
; %bb.367:
	s_cmp_lt_i32 s14, 8
	s_cbranch_scc1 .LBB118_377
; %bb.368:
	s_cmp_lt_i32 s14, 9
	s_cbranch_scc1 .LBB118_374
; %bb.369:
	s_cmp_gt_i32 s14, 9
	s_cbranch_scc0 .LBB118_371
; %bb.370:
	v_mov_b32_e32 v2, 0
	v_mov_b32_e32 v3, v2
	s_mov_b64 s[4:5], 0
	global_store_dwordx4 v[8:9], v[0:3], off
.LBB118_371:
	s_andn2_b64 vcc, exec, s[4:5]
	s_cbranch_vccnz .LBB118_373
; %bb.372:
	v_mov_b32_e32 v2, s48
	v_mov_b32_e32 v3, 0
	global_store_dwordx2 v[8:9], v[2:3], off
.LBB118_373:
	s_mov_b64 s[4:5], 0
.LBB118_374:
	s_andn2_b64 vcc, exec, s[4:5]
	s_cbranch_vccnz .LBB118_376
; %bb.375:
	global_store_dword v[8:9], v11, off
.LBB118_376:
	s_mov_b64 s[4:5], 0
.LBB118_377:
	s_andn2_b64 vcc, exec, s[4:5]
	s_cbranch_vccnz .LBB118_386
; %bb.378:
	s_sext_i32_i16 s14, s33
	s_cmp_lt_i32 s14, 6
	s_mov_b64 s[4:5], -1
	s_cbranch_scc1 .LBB118_384
; %bb.379:
	s_cmp_gt_i32 s14, 6
	s_cbranch_scc0 .LBB118_381
; %bb.380:
	s_mov_b64 s[4:5], 0
	global_store_dwordx2 v[8:9], v[0:1], off
.LBB118_381:
	s_andn2_b64 vcc, exec, s[4:5]
	s_cbranch_vccnz .LBB118_383
; %bb.382:
	v_mov_b32_e32 v0, s48
	global_store_dword v[8:9], v0, off
.LBB118_383:
	s_mov_b64 s[4:5], 0
.LBB118_384:
	s_andn2_b64 vcc, exec, s[4:5]
	s_cbranch_vccnz .LBB118_386
; %bb.385:
	global_store_short v[8:9], v11, off
.LBB118_386:
	s_mov_b64 s[4:5], 0
.LBB118_387:
	s_andn2_b64 vcc, exec, s[4:5]
	s_cbranch_vccnz .LBB118_403
; %bb.388:
	s_sext_i32_i16 s14, s33
	s_cmp_lt_i32 s14, 2
	s_mov_b64 s[4:5], -1
	s_cbranch_scc1 .LBB118_398
; %bb.389:
	s_cmp_lt_i32 s14, 3
	s_cbranch_scc1 .LBB118_395
; %bb.390:
	s_cmp_gt_i32 s14, 3
	s_cbranch_scc0 .LBB118_392
; %bb.391:
	s_mov_b64 s[4:5], 0
	global_store_dwordx2 v[8:9], v[4:5], off
.LBB118_392:
	s_andn2_b64 vcc, exec, s[4:5]
	s_cbranch_vccnz .LBB118_394
; %bb.393:
	global_store_dword v[8:9], v10, off
.LBB118_394:
	s_mov_b64 s[4:5], 0
.LBB118_395:
	s_andn2_b64 vcc, exec, s[4:5]
	s_cbranch_vccnz .LBB118_397
; %bb.396:
	global_store_short v[8:9], v10, off
.LBB118_397:
	s_mov_b64 s[4:5], 0
.LBB118_398:
	s_andn2_b64 vcc, exec, s[4:5]
	s_cbranch_vccnz .LBB118_403
; %bb.399:
	s_sext_i32_i16 s4, s33
	s_cmp_gt_i32 s4, 0
	s_mov_b64 s[4:5], -1
	s_cbranch_scc0 .LBB118_401
; %bb.400:
	s_mov_b64 s[4:5], 0
	global_store_byte v[8:9], v10, off
.LBB118_401:
	s_andn2_b64 vcc, exec, s[4:5]
	s_cbranch_vccnz .LBB118_403
; %bb.402:
	global_store_byte v[8:9], v4, off
.LBB118_403:
	s_or_b64 exec, exec, s[2:3]
	s_and_b64 s[0:1], s[0:1], exec
                                        ; implicit-def: $vgpr19
.LBB118_404:
	s_or_saveexec_b64 s[2:3], s[12:13]
	s_mov_b64 s[12:13], 0
                                        ; implicit-def: $vgpr0_vgpr1
	s_xor_b64 exec, exec, s[2:3]
	s_cbranch_execz .LBB118_433
; %bb.405:
	v_mul_lo_u32 v2, s10, v19
	v_mov_b32_e32 v1, s9
	s_and_b32 s18, 0xffff, s33
	s_cmp_lt_i32 s18, 11
	v_ashrrev_i32_e32 v3, 31, v2
	v_add_co_u32_e32 v0, vcc, s8, v2
	v_addc_co_u32_e32 v1, vcc, v1, v3, vcc
	s_cbranch_scc1 .LBB118_436
; %bb.406:
	s_mov_b64 s[14:15], -1
	s_cmp_gt_i32 s18, 25
	s_mov_b64 s[4:5], 0
	s_cbranch_scc0 .LBB118_446
; %bb.407:
	s_cmp_gt_i32 s18, 28
	s_cbranch_scc0 .LBB118_422
; %bb.408:
	s_cmp_gt_i32 s18, 43
	;; [unrolled: 3-line block ×3, first 2 shown]
	s_cbranch_scc0 .LBB118_412
; %bb.410:
	s_mov_b64 s[4:5], -1
	s_mov_b64 s[14:15], 0
	s_cmp_eq_u32 s18, 46
	s_cbranch_scc0 .LBB118_412
; %bb.411:
	s_lshl_b32 s4, s11, 8
	s_lshl_b32 s5, s11, 25
	s_lshr_b32 s12, s5, 4
	s_and_b32 s4, s4, 0x7f00
	s_or_b32 s12, s12, 0x70000000
	s_or_b32 s4, s4, 0.5
	s_cmp_lt_u32 s5, 0x8000000
	v_mov_b32_e32 v4, 0x7800000
	v_add_f32_e64 v3, s4, -0.5
	v_mul_f32_e32 v4, s12, v4
	s_cselect_b64 vcc, -1, 0
	s_lshl_b32 s4, s11, 24
	v_cndmask_b32_e32 v3, v4, v3, vcc
	s_and_b32 s4, s4, 0x80000000
	v_or_b32_e32 v4, s4, v3
	v_bfe_u32 v3, v3, 16, 1
	v_add_u32_e32 v3, v4, v3
	v_add_u32_e32 v3, 0x7fff, v3
	v_cmp_o_f32_e32 vcc, v4, v4
	v_mov_b32_e32 v4, 0x7fc0
	v_cndmask_b32_sdwa v3, v4, v3, vcc dst_sel:DWORD dst_unused:UNUSED_PAD src0_sel:DWORD src1_sel:WORD_1
	global_store_dword v[0:1], v3, off
	s_mov_b64 s[4:5], 0
	s_mov_b64 s[12:13], -1
.LBB118_412:
	s_and_b64 vcc, exec, s[14:15]
	s_cbranch_vccz .LBB118_417
; %bb.413:
	s_cmp_eq_u32 s18, 44
	s_mov_b64 s[4:5], -1
	s_cbranch_scc0 .LBB118_417
; %bb.414:
	s_lshl_b32 s4, s11, 8
	s_lshl_b32 s5, s11, 25
	s_lshr_b32 s12, s5, 4
	s_and_b32 s4, s4, 0x7f00
	s_or_b32 s12, s12, 0x70000000
	s_or_b32 s4, s4, 0.5
	s_cmp_lt_u32 s5, 0x8000000
	v_mov_b32_e32 v4, 0x7800000
	v_add_f32_e64 v3, s4, -0.5
	v_mul_f32_e32 v4, s12, v4
	s_cselect_b64 vcc, -1, 0
	v_cndmask_b32_e32 v3, v4, v3, vcc
	v_readfirstlane_b32 s4, v3
	s_bfe_u32 s5, s4, 0x80017
	s_cmpk_eq_i32 s5, 0xff
	v_mov_b32_e32 v4, 0xff
	s_cbranch_scc1 .LBB118_416
; %bb.415:
	s_bitcmp1_b32 s4, 22
	s_cselect_b64 s[12:13], -1, 0
	s_and_b32 s4, s4, 0x3fffff
	s_or_b32 s4, s5, s4
	s_cmp_lg_u32 s4, 0
	s_cselect_b64 s[4:5], -1, 0
	s_and_b64 s[4:5], s[12:13], s[4:5]
	v_lshrrev_b32_e32 v3, 23, v3
	v_cndmask_b32_e64 v4, 0, 1, s[4:5]
	v_add_u32_e32 v4, v3, v4
.LBB118_416:
	s_mov_b64 s[4:5], 0
	s_mov_b64 s[12:13], -1
	global_store_byte v[0:1], v4, off
.LBB118_417:
	s_mov_b64 s[14:15], 0
.LBB118_418:
	s_and_b64 vcc, exec, s[14:15]
	s_cbranch_vccz .LBB118_421
; %bb.419:
	s_cmp_eq_u32 s18, 29
	s_mov_b64 s[4:5], -1
	s_cbranch_scc0 .LBB118_421
; %bb.420:
	s_lshl_b32 s4, s11, 8
	s_lshl_b32 s5, s11, 25
	s_lshr_b32 s12, s5, 4
	s_and_b32 s4, s4, 0x7f00
	s_or_b32 s12, s12, 0x70000000
	s_or_b32 s4, s4, 0.5
	s_cmp_lt_u32 s5, 0x8000000
	v_mov_b32_e32 v4, 0x7800000
	v_add_f32_e64 v3, s4, -0.5
	v_mul_f32_e32 v4, s12, v4
	s_cselect_b64 vcc, -1, 0
	s_lshl_b32 s4, s11, 24
	v_cndmask_b32_e32 v3, v4, v3, vcc
	s_and_b32 s4, s4, 0x80000000
	v_or_b32_e32 v3, s4, v3
	v_trunc_f32_e32 v3, v3
	v_mul_f32_e32 v4, 0x2f800000, v3
	v_floor_f32_e32 v4, v4
	v_fmac_f32_e32 v3, 0xcf800000, v4
	v_cvt_u32_f32_e32 v3, v3
	v_cvt_u32_f32_e32 v4, v4
	s_mov_b64 s[4:5], 0
	s_mov_b64 s[12:13], -1
	global_store_dwordx2 v[0:1], v[3:4], off
.LBB118_421:
	s_mov_b64 s[14:15], 0
.LBB118_422:
	s_and_b64 vcc, exec, s[14:15]
	s_cbranch_vccz .LBB118_445
; %bb.423:
	s_cmp_lt_i32 s18, 27
	s_mov_b64 s[12:13], -1
	s_cbranch_scc1 .LBB118_429
; %bb.424:
	s_cmp_gt_i32 s18, 27
	s_cbranch_scc0 .LBB118_426
; %bb.425:
	s_lshl_b32 s12, s11, 8
	s_lshl_b32 s13, s11, 25
	s_lshr_b32 s14, s13, 4
	s_and_b32 s12, s12, 0x7f00
	s_or_b32 s14, s14, 0x70000000
	s_or_b32 s12, s12, 0.5
	s_cmp_lt_u32 s13, 0x8000000
	v_mov_b32_e32 v4, 0x7800000
	v_add_f32_e64 v3, s12, -0.5
	v_mul_f32_e32 v4, s14, v4
	s_cselect_b64 vcc, -1, 0
	s_lshl_b32 s12, s11, 24
	v_cndmask_b32_e32 v3, v4, v3, vcc
	s_and_b32 s12, s12, 0x80000000
	v_or_b32_e32 v3, s12, v3
	v_cvt_u32_f32_e32 v3, v3
	s_mov_b64 s[12:13], 0
	global_store_dword v[0:1], v3, off
.LBB118_426:
	s_andn2_b64 vcc, exec, s[12:13]
	s_cbranch_vccnz .LBB118_428
; %bb.427:
	s_lshl_b32 s12, s11, 8
	s_lshl_b32 s13, s11, 25
	s_lshr_b32 s14, s13, 4
	s_and_b32 s12, s12, 0x7f00
	s_or_b32 s14, s14, 0x70000000
	s_or_b32 s12, s12, 0.5
	s_cmp_lt_u32 s13, 0x8000000
	v_mov_b32_e32 v4, 0x7800000
	v_add_f32_e64 v3, s12, -0.5
	v_mul_f32_e32 v4, s14, v4
	s_cselect_b64 vcc, -1, 0
	s_lshl_b32 s12, s11, 24
	v_cndmask_b32_e32 v3, v4, v3, vcc
	s_and_b32 s12, s12, 0x80000000
	v_or_b32_e32 v3, s12, v3
	v_cvt_u32_f32_e32 v3, v3
	global_store_short v[0:1], v3, off
.LBB118_428:
	s_mov_b64 s[12:13], 0
.LBB118_429:
	s_andn2_b64 vcc, exec, s[12:13]
	s_cbranch_vccnz .LBB118_444
; %bb.430:
	s_lshl_b32 s12, s11, 8
	s_lshl_b32 s13, s11, 25
	s_lshr_b32 s14, s13, 4
	s_and_b32 s12, s12, 0x7f00
	s_or_b32 s14, s14, 0x70000000
	s_or_b32 s12, s12, 0.5
	s_cmp_lt_u32 s13, 0x8000000
	v_mov_b32_e32 v4, 0x7800000
	v_add_f32_e64 v3, s12, -0.5
	v_mul_f32_e32 v4, s14, v4
	s_cselect_b64 vcc, -1, 0
	v_cndmask_b32_e32 v3, v4, v3, vcc
	s_lshl_b32 s12, s11, 24
	s_and_b32 s12, s12, 0x80000000
	v_readfirstlane_b32 s13, v3
	s_or_b32 s16, s12, s13
	s_and_b32 s12, s16, 0x7fffffff
	s_cmp_gt_u32 s12, 0x437fffff
	v_mov_b32_e32 v4, 0x80
	s_cbranch_scc1 .LBB118_443
; %bb.431:
	s_cmp_gt_u32 s12, 0x3bffffff
	s_cbranch_scc0 .LBB118_438
; %bb.432:
	v_bfe_u32 v3, v3, 20, 1
	v_add_u32_e32 v3, s16, v3
	v_add_u32_e32 v3, 0x487ffff, v3
	v_lshrrev_b32_e32 v3, 20, v3
	s_mov_b64 s[14:15], 0
	s_mov_b64 s[12:13], -1
	s_branch .LBB118_439
.LBB118_433:
	s_or_b64 exec, exec, s[2:3]
	s_and_saveexec_b64 s[2:3], s[0:1]
	s_cbranch_execz .LBB118_804
.LBB118_434:
	; divergent unreachable
	s_or_b64 exec, exec, s[2:3]
	s_and_saveexec_b64 s[0:1], s[6:7]
	s_xor_b64 s[0:1], exec, s[0:1]
	s_cbranch_execnz .LBB118_805
.LBB118_435:
	s_or_b64 exec, exec, s[0:1]
	s_and_saveexec_b64 s[0:1], s[12:13]
	s_cbranch_execnz .LBB118_806
	s_branch .LBB118_843
.LBB118_436:
	s_mov_b64 s[4:5], s[0:1]
	s_cbranch_execnz .LBB118_486
.LBB118_437:
	s_andn2_b64 vcc, exec, s[12:13]
	s_cbranch_vccz .LBB118_524
	s_branch .LBB118_802
.LBB118_438:
	s_mov_b64 s[14:15], -1
	s_mov_b64 s[12:13], 0
                                        ; implicit-def: $vgpr3
.LBB118_439:
	s_andn2_b64 vcc, exec, s[14:15]
	s_cbranch_vccnz .LBB118_441
; %bb.440:
	v_mov_b32_e32 v3, 0x46000000
	v_add_f32_e64 v3, |s16|, v3
	v_and_b32_e32 v3, 0xff, v3
	v_cmp_ne_u32_e64 s[12:13], 0, v3
.LBB118_441:
	s_andn2_b64 vcc, exec, s[12:13]
	v_mov_b32_e32 v4, 0
	s_cbranch_vccnz .LBB118_443
; %bb.442:
	s_lshr_b32 s12, s16, 24
	s_and_b32 s12, s12, 0x80
	v_or_b32_e32 v4, s12, v3
.LBB118_443:
	global_store_byte v[0:1], v4, off
.LBB118_444:
	s_mov_b64 s[12:13], -1
.LBB118_445:
	s_mov_b64 s[14:15], 0
.LBB118_446:
	s_and_b64 vcc, exec, s[14:15]
	s_cbranch_vccz .LBB118_482
; %bb.447:
	s_cmp_gt_i32 s18, 22
	s_mov_b64 s[6:7], -1
	s_cbranch_scc0 .LBB118_475
; %bb.448:
	s_cmp_lt_i32 s18, 24
	s_cbranch_scc1 .LBB118_472
; %bb.449:
	s_cmp_gt_i32 s18, 24
	s_cbranch_scc0 .LBB118_459
; %bb.450:
	s_lshl_b32 s6, s11, 8
	s_lshl_b32 s7, s11, 25
	s_lshr_b32 s12, s7, 4
	s_and_b32 s6, s6, 0x7f00
	s_or_b32 s12, s12, 0x70000000
	s_or_b32 s6, s6, 0.5
	s_cmp_lt_u32 s7, 0x8000000
	v_mov_b32_e32 v4, 0x7800000
	v_add_f32_e64 v3, s6, -0.5
	v_mul_f32_e32 v4, s12, v4
	s_cselect_b64 vcc, -1, 0
	v_cndmask_b32_e32 v3, v4, v3, vcc
	s_lshl_b32 s6, s11, 24
	s_and_b32 s6, s6, 0x80000000
	v_readfirstlane_b32 s7, v3
	s_or_b32 s14, s6, s7
	s_and_b32 s6, s14, 0x7fffffff
	s_cmp_gt_u32 s6, 0x477fffff
	v_mov_b32_e32 v4, 0x80
	s_cbranch_scc1 .LBB118_458
; %bb.451:
	s_cmp_gt_u32 s6, 0x37ffffff
	s_cbranch_scc0 .LBB118_453
; %bb.452:
	v_bfe_u32 v3, v3, 21, 1
	v_add_u32_e32 v3, s14, v3
	v_add_u32_e32 v3, 0x88fffff, v3
	v_lshrrev_b32_e32 v3, 21, v3
	s_mov_b64 s[12:13], 0
	s_mov_b64 s[6:7], -1
	s_branch .LBB118_454
.LBB118_453:
	s_mov_b64 s[12:13], -1
	s_mov_b64 s[6:7], 0
                                        ; implicit-def: $vgpr3
.LBB118_454:
	s_andn2_b64 vcc, exec, s[12:13]
	s_cbranch_vccnz .LBB118_456
; %bb.455:
	v_mov_b32_e32 v3, 0x42800000
	v_add_f32_e64 v3, |s14|, v3
	v_and_b32_e32 v3, 0xff, v3
	v_cmp_ne_u32_e64 s[6:7], 0, v3
.LBB118_456:
	s_andn2_b64 vcc, exec, s[6:7]
	v_mov_b32_e32 v4, 0
	s_cbranch_vccnz .LBB118_458
; %bb.457:
	s_lshr_b32 s6, s14, 24
	s_and_b32 s6, s6, 0x80
	v_or_b32_e32 v4, s6, v3
.LBB118_458:
	s_mov_b64 s[6:7], 0
	global_store_byte v[0:1], v4, off
.LBB118_459:
	s_and_b64 vcc, exec, s[6:7]
	s_cbranch_vccz .LBB118_471
; %bb.460:
	s_lshl_b32 s6, s11, 8
	s_lshl_b32 s7, s11, 25
	s_lshr_b32 s12, s7, 4
	s_and_b32 s6, s6, 0x7f00
	s_or_b32 s12, s12, 0x70000000
	s_or_b32 s6, s6, 0.5
	s_cmp_lt_u32 s7, 0x8000000
	v_mov_b32_e32 v4, 0x7800000
	v_add_f32_e64 v3, s6, -0.5
	v_mul_f32_e32 v4, s12, v4
	s_cselect_b64 vcc, -1, 0
	v_cndmask_b32_e32 v3, v4, v3, vcc
	s_lshl_b32 s7, s11, 24
	v_readfirstlane_b32 s6, v3
	s_and_b32 s7, s7, 0x80000000
	s_or_b32 s12, s7, s6
	s_and_b32 s13, s12, 0x7fffffff
	s_cmp_lt_u32 s13, 0x43f00000
	s_cbranch_scc0 .LBB118_463
; %bb.461:
	s_cmp_gt_u32 s13, 0x3c7fffff
	s_cbranch_scc0 .LBB118_464
; %bb.462:
	s_bfe_u32 s6, s6, 0x10014
	s_add_i32 s6, s12, s6
	s_add_i32 s6, s6, 0x407ffff
	s_lshr_b32 s7, s6, 20
	s_and_b32 s6, s6, 0xff00000
	s_cmp_lg_u32 s6, 0x7f00000
	s_cselect_b32 s14, s7, 0x7e
	s_mov_b64 s[6:7], 0
	s_branch .LBB118_465
.LBB118_463:
	s_mov_b64 s[6:7], -1
                                        ; implicit-def: $vgpr3
	s_branch .LBB118_468
.LBB118_464:
	s_mov_b64 s[6:7], -1
                                        ; implicit-def: $sgpr14
.LBB118_465:
	s_andn2_b64 vcc, exec, s[6:7]
	v_mov_b32_e32 v3, s14
	s_cbranch_vccnz .LBB118_467
; %bb.466:
	v_mov_b32_e32 v3, 0x46800000
	v_add_f32_e64 v3, |s12|, v3
.LBB118_467:
	s_mov_b64 s[6:7], 0
.LBB118_468:
	s_andn2_b64 vcc, exec, s[6:7]
	s_cbranch_vccnz .LBB118_470
; %bb.469:
	s_cmp_gt_u32 s13, 0x7f800000
	s_movk_i32 s6, 0x7f
	s_cselect_b32 s6, s6, 0x7e
	v_mov_b32_e32 v3, s6
.LBB118_470:
	s_lshr_b32 s6, s12, 24
	s_and_b32 s6, s6, 0x80
	v_or_b32_e32 v3, s6, v3
	global_store_byte v[0:1], v3, off
.LBB118_471:
	s_mov_b64 s[6:7], 0
.LBB118_472:
	s_andn2_b64 vcc, exec, s[6:7]
	s_cbranch_vccnz .LBB118_474
; %bb.473:
	v_mov_b32_e32 v3, s11
	global_store_byte v[0:1], v3, off
.LBB118_474:
	s_mov_b64 s[6:7], 0
	s_mov_b64 s[12:13], -1
.LBB118_475:
	s_andn2_b64 vcc, exec, s[6:7]
	s_mov_b64 s[6:7], 0
	s_cbranch_vccnz .LBB118_482
; %bb.476:
	s_cmp_gt_i32 s18, 14
	s_mov_b64 s[14:15], -1
	s_cbranch_scc0 .LBB118_480
; %bb.477:
	s_cmp_eq_u32 s18, 15
	s_mov_b64 s[4:5], -1
	s_cbranch_scc0 .LBB118_479
; %bb.478:
	s_lshl_b32 s4, s11, 8
	s_lshl_b32 s5, s11, 25
	s_lshr_b32 s6, s5, 4
	s_and_b32 s4, s4, 0x7f00
	s_or_b32 s6, s6, 0x70000000
	s_or_b32 s4, s4, 0.5
	s_cmp_lt_u32 s5, 0x8000000
	v_mov_b32_e32 v4, 0x7800000
	v_add_f32_e64 v3, s4, -0.5
	v_mul_f32_e32 v4, s6, v4
	s_cselect_b64 vcc, -1, 0
	s_lshl_b32 s4, s11, 24
	v_cndmask_b32_e32 v3, v4, v3, vcc
	s_and_b32 s4, s4, 0x80000000
	v_or_b32_e32 v4, s4, v3
	v_bfe_u32 v3, v3, 16, 1
	v_add_u32_e32 v3, v4, v3
	v_add_u32_e32 v3, 0x7fff, v3
	v_cmp_o_f32_e32 vcc, v4, v4
	v_mov_b32_e32 v4, 0x7fc0
	v_cndmask_b32_sdwa v3, v4, v3, vcc dst_sel:DWORD dst_unused:UNUSED_PAD src0_sel:DWORD src1_sel:WORD_1
	global_store_short v[0:1], v3, off
	s_mov_b64 s[4:5], 0
	s_mov_b64 s[12:13], -1
.LBB118_479:
	s_mov_b64 s[14:15], 0
.LBB118_480:
	s_mov_b64 s[6:7], 0
	s_and_b64 vcc, exec, s[14:15]
	s_cbranch_vccz .LBB118_482
; %bb.481:
	s_cmp_lg_u32 s18, 11
	s_mov_b64 s[6:7], -1
	s_cselect_b64 s[4:5], -1, 0
.LBB118_482:
	s_and_b64 vcc, exec, s[4:5]
	s_mov_b64 s[4:5], s[0:1]
	s_cbranch_vccnz .LBB118_554
; %bb.483:
	s_andn2_b64 vcc, exec, s[6:7]
	s_cbranch_vccnz .LBB118_485
.LBB118_484:
	s_lshl_b32 s6, s11, 8
	s_lshl_b32 s7, s11, 25
	s_lshr_b32 s12, s7, 4
	s_and_b32 s6, s6, 0x7f00
	s_or_b32 s12, s12, 0x70000000
	s_or_b32 s6, s6, 0.5
	s_cmp_lt_u32 s7, 0x8000000
	v_mov_b32_e32 v4, 0x7800000
	v_add_f32_e64 v3, s6, -0.5
	v_mul_f32_e32 v4, s12, v4
	s_cselect_b64 vcc, -1, 0
	v_cndmask_b32_e32 v3, v4, v3, vcc
	v_cmp_neq_f32_e32 vcc, 0, v3
	v_cndmask_b32_e64 v3, 0, 1, vcc
	s_mov_b64 s[12:13], -1
	global_store_byte v[0:1], v3, off
.LBB118_485:
	s_branch .LBB118_437
.LBB118_486:
	s_cmp_lt_i32 s18, 5
	s_mov_b64 s[6:7], -1
	s_cbranch_scc1 .LBB118_507
; %bb.487:
	s_cmp_lt_i32 s18, 8
	s_cbranch_scc1 .LBB118_497
; %bb.488:
	s_cmp_lt_i32 s18, 9
	s_cbranch_scc1 .LBB118_494
; %bb.489:
	s_cmp_gt_i32 s18, 9
	s_cbranch_scc0 .LBB118_491
; %bb.490:
	s_lshl_b32 s6, s11, 8
	s_lshl_b32 s7, s11, 25
	s_lshr_b32 s12, s7, 4
	s_and_b32 s6, s6, 0x7f00
	s_or_b32 s12, s12, 0x70000000
	s_or_b32 s6, s6, 0.5
	s_cmp_lt_u32 s7, 0x8000000
	v_mov_b32_e32 v4, 0x7800000
	v_add_f32_e64 v3, s6, -0.5
	v_mul_f32_e32 v4, s12, v4
	s_cselect_b64 vcc, -1, 0
	s_lshl_b32 s6, s11, 24
	v_cndmask_b32_e32 v3, v4, v3, vcc
	s_and_b32 s6, s6, 0x80000000
	v_or_b32_e32 v3, s6, v3
	v_cvt_f64_f32_e32 v[3:4], v3
	v_mov_b32_e32 v5, 0
	v_mov_b32_e32 v6, v5
	s_mov_b64 s[6:7], 0
	global_store_dwordx4 v[0:1], v[3:6], off
.LBB118_491:
	s_andn2_b64 vcc, exec, s[6:7]
	s_cbranch_vccnz .LBB118_493
; %bb.492:
	s_lshl_b32 s6, s11, 8
	s_lshl_b32 s7, s11, 25
	s_lshr_b32 s12, s7, 4
	s_and_b32 s6, s6, 0x7f00
	s_or_b32 s12, s12, 0x70000000
	s_or_b32 s6, s6, 0.5
	s_cmp_lt_u32 s7, 0x8000000
	v_mov_b32_e32 v4, 0x7800000
	v_add_f32_e64 v3, s6, -0.5
	v_mul_f32_e32 v4, s12, v4
	s_cselect_b64 vcc, -1, 0
	s_lshl_b32 s6, s11, 24
	v_cndmask_b32_e32 v3, v4, v3, vcc
	s_and_b32 s6, s6, 0x80000000
	v_or_b32_e32 v3, s6, v3
	v_mov_b32_e32 v4, 0
	global_store_dwordx2 v[0:1], v[3:4], off
.LBB118_493:
	s_mov_b64 s[6:7], 0
.LBB118_494:
	s_andn2_b64 vcc, exec, s[6:7]
	s_cbranch_vccnz .LBB118_496
; %bb.495:
	s_lshl_b32 s6, s11, 8
	s_lshl_b32 s7, s11, 25
	s_lshr_b32 s12, s7, 4
	s_and_b32 s6, s6, 0x7f00
	s_or_b32 s12, s12, 0x70000000
	s_or_b32 s6, s6, 0.5
	s_cmp_lt_u32 s7, 0x8000000
	v_mov_b32_e32 v4, 0x7800000
	v_add_f32_e64 v3, s6, -0.5
	v_mul_f32_e32 v4, s12, v4
	s_cselect_b64 vcc, -1, 0
	s_lshl_b32 s6, s11, 24
	v_cndmask_b32_e32 v3, v4, v3, vcc
	s_and_b32 s6, s6, 0x80000000
	v_or_b32_e32 v3, s6, v3
	v_cvt_f16_f32_e32 v3, v3
	global_store_dword v[0:1], v3, off
.LBB118_496:
	s_mov_b64 s[6:7], 0
.LBB118_497:
	s_andn2_b64 vcc, exec, s[6:7]
	s_cbranch_vccnz .LBB118_506
; %bb.498:
	s_cmp_lt_i32 s18, 6
	s_mov_b64 s[6:7], -1
	s_cbranch_scc1 .LBB118_504
; %bb.499:
	s_cmp_gt_i32 s18, 6
	s_cbranch_scc0 .LBB118_501
; %bb.500:
	s_lshl_b32 s6, s11, 8
	s_lshl_b32 s7, s11, 25
	s_lshr_b32 s12, s7, 4
	s_and_b32 s6, s6, 0x7f00
	s_or_b32 s12, s12, 0x70000000
	s_or_b32 s6, s6, 0.5
	s_cmp_lt_u32 s7, 0x8000000
	v_mov_b32_e32 v4, 0x7800000
	v_add_f32_e64 v3, s6, -0.5
	v_mul_f32_e32 v4, s12, v4
	s_cselect_b64 vcc, -1, 0
	s_lshl_b32 s6, s11, 24
	v_cndmask_b32_e32 v3, v4, v3, vcc
	s_and_b32 s6, s6, 0x80000000
	v_or_b32_e32 v3, s6, v3
	v_cvt_f64_f32_e32 v[3:4], v3
	s_mov_b64 s[6:7], 0
	global_store_dwordx2 v[0:1], v[3:4], off
.LBB118_501:
	s_andn2_b64 vcc, exec, s[6:7]
	s_cbranch_vccnz .LBB118_503
; %bb.502:
	s_lshl_b32 s6, s11, 8
	s_lshl_b32 s7, s11, 25
	s_lshr_b32 s12, s7, 4
	s_and_b32 s6, s6, 0x7f00
	s_or_b32 s12, s12, 0x70000000
	s_or_b32 s6, s6, 0.5
	s_cmp_lt_u32 s7, 0x8000000
	v_mov_b32_e32 v4, 0x7800000
	v_add_f32_e64 v3, s6, -0.5
	v_mul_f32_e32 v4, s12, v4
	s_cselect_b64 vcc, -1, 0
	s_lshl_b32 s6, s11, 24
	v_cndmask_b32_e32 v3, v4, v3, vcc
	s_and_b32 s6, s6, 0x80000000
	v_or_b32_e32 v3, s6, v3
	global_store_dword v[0:1], v3, off
.LBB118_503:
	s_mov_b64 s[6:7], 0
.LBB118_504:
	s_andn2_b64 vcc, exec, s[6:7]
	s_cbranch_vccnz .LBB118_506
; %bb.505:
	s_lshl_b32 s6, s11, 8
	s_lshl_b32 s7, s11, 25
	s_lshr_b32 s12, s7, 4
	s_and_b32 s6, s6, 0x7f00
	s_or_b32 s12, s12, 0x70000000
	s_or_b32 s6, s6, 0.5
	s_cmp_lt_u32 s7, 0x8000000
	v_mov_b32_e32 v4, 0x7800000
	v_add_f32_e64 v3, s6, -0.5
	v_mul_f32_e32 v4, s12, v4
	s_cselect_b64 vcc, -1, 0
	s_lshl_b32 s6, s11, 24
	v_cndmask_b32_e32 v3, v4, v3, vcc
	s_and_b32 s6, s6, 0x80000000
	v_or_b32_e32 v3, s6, v3
	v_cvt_f16_f32_e32 v3, v3
	global_store_short v[0:1], v3, off
.LBB118_506:
	s_mov_b64 s[6:7], 0
.LBB118_507:
	s_andn2_b64 vcc, exec, s[6:7]
	s_cbranch_vccnz .LBB118_523
; %bb.508:
	s_cmp_lt_i32 s18, 2
	s_mov_b64 s[6:7], -1
	s_cbranch_scc1 .LBB118_518
; %bb.509:
	s_cmp_lt_i32 s18, 3
	s_cbranch_scc1 .LBB118_515
; %bb.510:
	s_cmp_gt_i32 s18, 3
	s_cbranch_scc0 .LBB118_512
; %bb.511:
	s_lshl_b32 s6, s11, 8
	s_lshl_b32 s7, s11, 25
	s_lshr_b32 s12, s7, 4
	s_and_b32 s6, s6, 0x7f00
	s_or_b32 s12, s12, 0x70000000
	s_or_b32 s6, s6, 0.5
	s_cmp_lt_u32 s7, 0x8000000
	v_mov_b32_e32 v4, 0x7800000
	v_add_f32_e64 v3, s6, -0.5
	v_mul_f32_e32 v4, s12, v4
	s_cselect_b64 vcc, -1, 0
	s_lshl_b32 s6, s11, 24
	v_cndmask_b32_e32 v3, v4, v3, vcc
	s_and_b32 s6, s6, 0x80000000
	v_or_b32_e32 v3, s6, v3
	v_trunc_f32_e32 v3, v3
	s_mov_b32 s6, 0x2f800000
	v_mul_f32_e64 v4, |v3|, s6
	v_floor_f32_e32 v4, v4
	s_mov_b32 s6, 0xcf800000
	v_fma_f32 v5, v4, s6, |v3|
	v_cvt_u32_f32_e32 v5, v5
	v_cvt_u32_f32_e32 v4, v4
	v_ashrrev_i32_e32 v6, 31, v3
	s_mov_b64 s[6:7], 0
	v_xor_b32_e32 v3, v5, v6
	v_xor_b32_e32 v4, v4, v6
	v_sub_co_u32_e32 v3, vcc, v3, v6
	v_subb_co_u32_e32 v4, vcc, v4, v6, vcc
	global_store_dwordx2 v[0:1], v[3:4], off
.LBB118_512:
	s_andn2_b64 vcc, exec, s[6:7]
	s_cbranch_vccnz .LBB118_514
; %bb.513:
	s_lshl_b32 s6, s11, 8
	s_lshl_b32 s7, s11, 25
	s_lshr_b32 s12, s7, 4
	s_and_b32 s6, s6, 0x7f00
	s_or_b32 s12, s12, 0x70000000
	s_or_b32 s6, s6, 0.5
	s_cmp_lt_u32 s7, 0x8000000
	v_mov_b32_e32 v4, 0x7800000
	v_add_f32_e64 v3, s6, -0.5
	v_mul_f32_e32 v4, s12, v4
	s_cselect_b64 vcc, -1, 0
	s_lshl_b32 s6, s11, 24
	v_cndmask_b32_e32 v3, v4, v3, vcc
	s_and_b32 s6, s6, 0x80000000
	v_or_b32_e32 v3, s6, v3
	v_cvt_i32_f32_e32 v3, v3
	global_store_dword v[0:1], v3, off
.LBB118_514:
	s_mov_b64 s[6:7], 0
.LBB118_515:
	s_andn2_b64 vcc, exec, s[6:7]
	s_cbranch_vccnz .LBB118_517
; %bb.516:
	s_lshl_b32 s6, s11, 8
	s_lshl_b32 s7, s11, 25
	s_lshr_b32 s12, s7, 4
	s_and_b32 s6, s6, 0x7f00
	s_or_b32 s12, s12, 0x70000000
	s_or_b32 s6, s6, 0.5
	s_cmp_lt_u32 s7, 0x8000000
	v_mov_b32_e32 v4, 0x7800000
	v_add_f32_e64 v3, s6, -0.5
	v_mul_f32_e32 v4, s12, v4
	s_cselect_b64 vcc, -1, 0
	s_lshl_b32 s6, s11, 24
	v_cndmask_b32_e32 v3, v4, v3, vcc
	s_and_b32 s6, s6, 0x80000000
	v_or_b32_e32 v3, s6, v3
	v_cvt_i32_f32_e32 v3, v3
	global_store_short v[0:1], v3, off
.LBB118_517:
	s_mov_b64 s[6:7], 0
.LBB118_518:
	s_andn2_b64 vcc, exec, s[6:7]
	s_cbranch_vccnz .LBB118_523
; %bb.519:
	s_cmp_gt_i32 s18, 0
	s_mov_b64 s[6:7], -1
	s_cbranch_scc0 .LBB118_521
; %bb.520:
	s_lshl_b32 s6, s11, 8
	s_lshl_b32 s7, s11, 25
	s_lshr_b32 s12, s7, 4
	s_and_b32 s6, s6, 0x7f00
	s_or_b32 s12, s12, 0x70000000
	s_or_b32 s6, s6, 0.5
	s_cmp_lt_u32 s7, 0x8000000
	v_mov_b32_e32 v4, 0x7800000
	v_add_f32_e64 v3, s6, -0.5
	v_mul_f32_e32 v4, s12, v4
	s_cselect_b64 vcc, -1, 0
	s_lshl_b32 s6, s11, 24
	v_cndmask_b32_e32 v3, v4, v3, vcc
	s_and_b32 s6, s6, 0x80000000
	v_or_b32_e32 v3, s6, v3
	v_cvt_i32_f32_e32 v3, v3
	s_mov_b64 s[6:7], 0
	global_store_byte v[0:1], v3, off
.LBB118_521:
	s_andn2_b64 vcc, exec, s[6:7]
	s_cbranch_vccnz .LBB118_523
; %bb.522:
	s_lshl_b32 s6, s11, 8
	s_lshl_b32 s7, s11, 25
	s_lshr_b32 s12, s7, 4
	s_and_b32 s6, s6, 0x7f00
	s_or_b32 s12, s12, 0x70000000
	s_or_b32 s6, s6, 0.5
	s_cmp_lt_u32 s7, 0x8000000
	v_mov_b32_e32 v4, 0x7800000
	v_add_f32_e64 v3, s6, -0.5
	v_mul_f32_e32 v4, s12, v4
	s_cselect_b64 vcc, -1, 0
	s_lshl_b32 s6, s11, 24
	v_cndmask_b32_e32 v3, v4, v3, vcc
	s_and_b32 s6, s6, 0x80000000
	v_or_b32_e32 v3, s6, v3
	v_trunc_f32_e32 v3, v3
	s_mov_b32 s6, 0x2f800000
	v_mul_f32_e64 v4, |v3|, s6
	v_floor_f32_e32 v4, v4
	s_mov_b32 s6, 0xcf800000
	v_fma_f32 v4, v4, s6, |v3|
	v_cvt_u32_f32_e32 v4, v4
	v_ashrrev_i32_e32 v3, 31, v3
	v_xor_b32_e32 v4, v4, v3
	v_sub_u32_e32 v3, v4, v3
	global_store_byte v[0:1], v3, off
.LBB118_523:
.LBB118_524:
	s_lshl_b32 s10, s10, 7
	v_add_u32_e32 v2, s10, v2
	v_ashrrev_i32_e32 v1, 31, v2
	v_mov_b32_e32 v3, s9
	v_add_co_u32_e32 v0, vcc, s8, v2
	s_cmp_lt_i32 s18, 11
	v_addc_co_u32_e32 v1, vcc, v3, v1, vcc
	s_cbranch_scc1 .LBB118_552
; %bb.525:
	s_mov_b64 s[16:17], -1
	s_mov_b64 s[12:13], 0
	s_cmp_gt_i32 s18, 25
	s_mov_b64 s[14:15], 0
	s_mov_b64 s[6:7], 0
	s_cbranch_scc0 .LBB118_563
; %bb.526:
	s_cmp_gt_i32 s18, 28
	s_cbranch_scc0 .LBB118_541
; %bb.527:
	s_cmp_gt_i32 s18, 43
	;; [unrolled: 3-line block ×3, first 2 shown]
	s_cbranch_scc0 .LBB118_531
; %bb.529:
	s_mov_b64 s[6:7], -1
	s_mov_b64 s[16:17], 0
	s_cmp_eq_u32 s18, 46
	s_cbranch_scc0 .LBB118_531
; %bb.530:
	s_lshl_b32 s6, s11, 8
	s_lshl_b32 s7, s11, 25
	s_lshr_b32 s14, s7, 4
	s_and_b32 s6, s6, 0x7f00
	s_or_b32 s14, s14, 0x70000000
	s_or_b32 s6, s6, 0.5
	s_cmp_lt_u32 s7, 0x8000000
	v_mov_b32_e32 v4, 0x7800000
	v_add_f32_e64 v3, s6, -0.5
	v_mul_f32_e32 v4, s14, v4
	s_cselect_b64 vcc, -1, 0
	s_lshl_b32 s6, s11, 24
	v_cndmask_b32_e32 v3, v4, v3, vcc
	s_and_b32 s6, s6, 0x80000000
	v_or_b32_e32 v4, s6, v3
	v_bfe_u32 v3, v3, 16, 1
	v_add_u32_e32 v3, v4, v3
	v_add_u32_e32 v3, 0x7fff, v3
	v_cmp_o_f32_e32 vcc, v4, v4
	v_mov_b32_e32 v4, 0x7fc0
	v_cndmask_b32_sdwa v3, v4, v3, vcc dst_sel:DWORD dst_unused:UNUSED_PAD src0_sel:DWORD src1_sel:WORD_1
	global_store_dword v[0:1], v3, off
	s_mov_b64 s[6:7], 0
	s_mov_b64 s[14:15], -1
.LBB118_531:
	s_and_b64 vcc, exec, s[16:17]
	s_cbranch_vccz .LBB118_536
; %bb.532:
	s_cmp_eq_u32 s18, 44
	s_mov_b64 s[6:7], -1
	s_cbranch_scc0 .LBB118_536
; %bb.533:
	s_lshl_b32 s6, s11, 8
	s_lshl_b32 s7, s11, 25
	s_lshr_b32 s14, s7, 4
	s_and_b32 s6, s6, 0x7f00
	s_or_b32 s14, s14, 0x70000000
	s_or_b32 s6, s6, 0.5
	s_cmp_lt_u32 s7, 0x8000000
	v_mov_b32_e32 v4, 0x7800000
	v_add_f32_e64 v3, s6, -0.5
	v_mul_f32_e32 v4, s14, v4
	s_cselect_b64 vcc, -1, 0
	v_cndmask_b32_e32 v3, v4, v3, vcc
	v_readfirstlane_b32 s6, v3
	s_bfe_u32 s7, s6, 0x80017
	s_cmpk_eq_i32 s7, 0xff
	v_mov_b32_e32 v4, 0xff
	s_cbranch_scc1 .LBB118_535
; %bb.534:
	s_bitcmp1_b32 s6, 22
	s_cselect_b64 s[14:15], -1, 0
	s_and_b32 s6, s6, 0x3fffff
	s_or_b32 s6, s7, s6
	s_cmp_lg_u32 s6, 0
	s_cselect_b64 s[6:7], -1, 0
	s_and_b64 s[6:7], s[14:15], s[6:7]
	v_lshrrev_b32_e32 v3, 23, v3
	v_cndmask_b32_e64 v4, 0, 1, s[6:7]
	v_add_u32_e32 v4, v3, v4
.LBB118_535:
	s_mov_b64 s[6:7], 0
	s_mov_b64 s[14:15], -1
	global_store_byte v[0:1], v4, off
.LBB118_536:
	s_mov_b64 s[16:17], 0
.LBB118_537:
	s_and_b64 vcc, exec, s[16:17]
	s_cbranch_vccz .LBB118_540
; %bb.538:
	s_cmp_eq_u32 s18, 29
	s_mov_b64 s[6:7], -1
	s_cbranch_scc0 .LBB118_540
; %bb.539:
	s_lshl_b32 s6, s11, 8
	s_lshl_b32 s7, s11, 25
	s_lshr_b32 s14, s7, 4
	s_and_b32 s6, s6, 0x7f00
	s_or_b32 s14, s14, 0x70000000
	s_or_b32 s6, s6, 0.5
	s_cmp_lt_u32 s7, 0x8000000
	v_mov_b32_e32 v4, 0x7800000
	v_add_f32_e64 v3, s6, -0.5
	v_mul_f32_e32 v4, s14, v4
	s_cselect_b64 vcc, -1, 0
	s_lshl_b32 s6, s11, 24
	v_cndmask_b32_e32 v3, v4, v3, vcc
	s_and_b32 s6, s6, 0x80000000
	v_or_b32_e32 v3, s6, v3
	v_trunc_f32_e32 v3, v3
	v_mul_f32_e32 v4, 0x2f800000, v3
	v_floor_f32_e32 v4, v4
	v_fmac_f32_e32 v3, 0xcf800000, v4
	v_cvt_u32_f32_e32 v3, v3
	v_cvt_u32_f32_e32 v4, v4
	s_mov_b64 s[6:7], 0
	s_mov_b64 s[14:15], -1
	global_store_dwordx2 v[0:1], v[3:4], off
.LBB118_540:
	s_mov_b64 s[16:17], 0
.LBB118_541:
	s_and_b64 vcc, exec, s[16:17]
	s_cbranch_vccz .LBB118_562
; %bb.542:
	s_cmp_lt_i32 s18, 27
	s_mov_b64 s[14:15], -1
	s_cbranch_scc1 .LBB118_548
; %bb.543:
	s_cmp_gt_i32 s18, 27
	s_cbranch_scc0 .LBB118_545
; %bb.544:
	s_lshl_b32 s14, s11, 8
	s_lshl_b32 s15, s11, 25
	s_lshr_b32 s16, s15, 4
	s_and_b32 s14, s14, 0x7f00
	s_or_b32 s16, s16, 0x70000000
	s_or_b32 s14, s14, 0.5
	s_cmp_lt_u32 s15, 0x8000000
	v_mov_b32_e32 v4, 0x7800000
	v_add_f32_e64 v3, s14, -0.5
	v_mul_f32_e32 v4, s16, v4
	s_cselect_b64 vcc, -1, 0
	s_lshl_b32 s14, s11, 24
	v_cndmask_b32_e32 v3, v4, v3, vcc
	s_and_b32 s14, s14, 0x80000000
	v_or_b32_e32 v3, s14, v3
	v_cvt_u32_f32_e32 v3, v3
	s_mov_b64 s[14:15], 0
	global_store_dword v[0:1], v3, off
.LBB118_545:
	s_andn2_b64 vcc, exec, s[14:15]
	s_cbranch_vccnz .LBB118_547
; %bb.546:
	s_lshl_b32 s14, s11, 8
	s_lshl_b32 s15, s11, 25
	s_lshr_b32 s16, s15, 4
	s_and_b32 s14, s14, 0x7f00
	s_or_b32 s16, s16, 0x70000000
	s_or_b32 s14, s14, 0.5
	s_cmp_lt_u32 s15, 0x8000000
	v_mov_b32_e32 v4, 0x7800000
	v_add_f32_e64 v3, s14, -0.5
	v_mul_f32_e32 v4, s16, v4
	s_cselect_b64 vcc, -1, 0
	s_lshl_b32 s14, s11, 24
	v_cndmask_b32_e32 v3, v4, v3, vcc
	s_and_b32 s14, s14, 0x80000000
	v_or_b32_e32 v3, s14, v3
	v_cvt_u32_f32_e32 v3, v3
	global_store_short v[0:1], v3, off
.LBB118_547:
	s_mov_b64 s[14:15], 0
.LBB118_548:
	s_andn2_b64 vcc, exec, s[14:15]
	s_cbranch_vccnz .LBB118_561
; %bb.549:
	s_lshl_b32 s14, s11, 8
	s_lshl_b32 s15, s11, 25
	s_lshr_b32 s16, s15, 4
	s_and_b32 s14, s14, 0x7f00
	s_or_b32 s16, s16, 0x70000000
	s_or_b32 s14, s14, 0.5
	s_cmp_lt_u32 s15, 0x8000000
	v_mov_b32_e32 v4, 0x7800000
	v_add_f32_e64 v3, s14, -0.5
	v_mul_f32_e32 v4, s16, v4
	s_cselect_b64 vcc, -1, 0
	v_cndmask_b32_e32 v3, v4, v3, vcc
	s_lshl_b32 s14, s11, 24
	s_and_b32 s14, s14, 0x80000000
	v_readfirstlane_b32 s15, v3
	s_or_b32 s19, s14, s15
	s_and_b32 s14, s19, 0x7fffffff
	s_cmp_gt_u32 s14, 0x437fffff
	v_mov_b32_e32 v4, 0x80
	s_cbranch_scc1 .LBB118_560
; %bb.550:
	s_cmp_gt_u32 s14, 0x3bffffff
	s_cbranch_scc0 .LBB118_555
; %bb.551:
	v_bfe_u32 v3, v3, 20, 1
	v_add_u32_e32 v3, s19, v3
	v_add_u32_e32 v3, 0x487ffff, v3
	v_lshrrev_b32_e32 v3, 20, v3
	s_mov_b64 s[16:17], 0
	s_mov_b64 s[14:15], -1
	s_branch .LBB118_556
.LBB118_552:
	s_mov_b64 s[14:15], 0
	s_cbranch_execnz .LBB118_603
.LBB118_553:
	s_andn2_b64 vcc, exec, s[14:15]
	s_cbranch_vccz .LBB118_641
	s_branch .LBB118_802
.LBB118_554:
	s_or_b64 s[4:5], s[0:1], exec
	s_trap 2
	s_cbranch_execz .LBB118_484
	s_branch .LBB118_485
.LBB118_555:
	s_mov_b64 s[16:17], -1
	s_mov_b64 s[14:15], 0
                                        ; implicit-def: $vgpr3
.LBB118_556:
	s_andn2_b64 vcc, exec, s[16:17]
	s_cbranch_vccnz .LBB118_558
; %bb.557:
	v_mov_b32_e32 v3, 0x46000000
	v_add_f32_e64 v3, |s19|, v3
	v_and_b32_e32 v3, 0xff, v3
	v_cmp_ne_u32_e64 s[14:15], 0, v3
.LBB118_558:
	s_andn2_b64 vcc, exec, s[14:15]
	v_mov_b32_e32 v4, 0
	s_cbranch_vccnz .LBB118_560
; %bb.559:
	s_lshr_b32 s14, s19, 24
	s_and_b32 s14, s14, 0x80
	v_or_b32_e32 v4, s14, v3
.LBB118_560:
	global_store_byte v[0:1], v4, off
.LBB118_561:
	s_mov_b64 s[14:15], -1
.LBB118_562:
	s_mov_b64 s[16:17], 0
.LBB118_563:
	s_and_b64 vcc, exec, s[16:17]
	s_cbranch_vccz .LBB118_599
; %bb.564:
	s_cmp_gt_i32 s18, 22
	s_mov_b64 s[12:13], -1
	s_cbranch_scc0 .LBB118_592
; %bb.565:
	s_cmp_lt_i32 s18, 24
	s_cbranch_scc1 .LBB118_589
; %bb.566:
	s_cmp_gt_i32 s18, 24
	s_cbranch_scc0 .LBB118_576
; %bb.567:
	s_lshl_b32 s12, s11, 8
	s_lshl_b32 s13, s11, 25
	s_lshr_b32 s14, s13, 4
	s_and_b32 s12, s12, 0x7f00
	s_or_b32 s14, s14, 0x70000000
	s_or_b32 s12, s12, 0.5
	s_cmp_lt_u32 s13, 0x8000000
	v_mov_b32_e32 v4, 0x7800000
	v_add_f32_e64 v3, s12, -0.5
	v_mul_f32_e32 v4, s14, v4
	s_cselect_b64 vcc, -1, 0
	v_cndmask_b32_e32 v3, v4, v3, vcc
	s_lshl_b32 s12, s11, 24
	s_and_b32 s12, s12, 0x80000000
	v_readfirstlane_b32 s13, v3
	s_or_b32 s16, s12, s13
	s_and_b32 s12, s16, 0x7fffffff
	s_cmp_gt_u32 s12, 0x477fffff
	v_mov_b32_e32 v4, 0x80
	s_cbranch_scc1 .LBB118_575
; %bb.568:
	s_cmp_gt_u32 s12, 0x37ffffff
	s_cbranch_scc0 .LBB118_570
; %bb.569:
	v_bfe_u32 v3, v3, 21, 1
	v_add_u32_e32 v3, s16, v3
	v_add_u32_e32 v3, 0x88fffff, v3
	v_lshrrev_b32_e32 v3, 21, v3
	s_mov_b64 s[14:15], 0
	s_mov_b64 s[12:13], -1
	s_branch .LBB118_571
.LBB118_570:
	s_mov_b64 s[14:15], -1
	s_mov_b64 s[12:13], 0
                                        ; implicit-def: $vgpr3
.LBB118_571:
	s_andn2_b64 vcc, exec, s[14:15]
	s_cbranch_vccnz .LBB118_573
; %bb.572:
	v_mov_b32_e32 v3, 0x42800000
	v_add_f32_e64 v3, |s16|, v3
	v_and_b32_e32 v3, 0xff, v3
	v_cmp_ne_u32_e64 s[12:13], 0, v3
.LBB118_573:
	s_andn2_b64 vcc, exec, s[12:13]
	v_mov_b32_e32 v4, 0
	s_cbranch_vccnz .LBB118_575
; %bb.574:
	s_lshr_b32 s12, s16, 24
	s_and_b32 s12, s12, 0x80
	v_or_b32_e32 v4, s12, v3
.LBB118_575:
	s_mov_b64 s[12:13], 0
	global_store_byte v[0:1], v4, off
.LBB118_576:
	s_and_b64 vcc, exec, s[12:13]
	s_cbranch_vccz .LBB118_588
; %bb.577:
	s_lshl_b32 s12, s11, 8
	s_lshl_b32 s13, s11, 25
	s_lshr_b32 s14, s13, 4
	s_and_b32 s12, s12, 0x7f00
	s_or_b32 s14, s14, 0x70000000
	s_or_b32 s12, s12, 0.5
	s_cmp_lt_u32 s13, 0x8000000
	v_mov_b32_e32 v4, 0x7800000
	v_add_f32_e64 v3, s12, -0.5
	v_mul_f32_e32 v4, s14, v4
	s_cselect_b64 vcc, -1, 0
	v_cndmask_b32_e32 v3, v4, v3, vcc
	s_lshl_b32 s13, s11, 24
	v_readfirstlane_b32 s12, v3
	s_and_b32 s13, s13, 0x80000000
	s_or_b32 s14, s13, s12
	s_and_b32 s15, s14, 0x7fffffff
	s_cmp_lt_u32 s15, 0x43f00000
	s_cbranch_scc0 .LBB118_580
; %bb.578:
	s_cmp_gt_u32 s15, 0x3c7fffff
	s_cbranch_scc0 .LBB118_581
; %bb.579:
	s_bfe_u32 s12, s12, 0x10014
	s_add_i32 s12, s14, s12
	s_add_i32 s12, s12, 0x407ffff
	s_lshr_b32 s13, s12, 20
	s_and_b32 s12, s12, 0xff00000
	s_cmp_lg_u32 s12, 0x7f00000
	s_cselect_b32 s16, s13, 0x7e
	s_mov_b64 s[12:13], 0
	s_branch .LBB118_582
.LBB118_580:
	s_mov_b64 s[12:13], -1
                                        ; implicit-def: $vgpr3
	s_branch .LBB118_585
.LBB118_581:
	s_mov_b64 s[12:13], -1
                                        ; implicit-def: $sgpr16
.LBB118_582:
	s_andn2_b64 vcc, exec, s[12:13]
	v_mov_b32_e32 v3, s16
	s_cbranch_vccnz .LBB118_584
; %bb.583:
	v_mov_b32_e32 v3, 0x46800000
	v_add_f32_e64 v3, |s14|, v3
.LBB118_584:
	s_mov_b64 s[12:13], 0
.LBB118_585:
	s_andn2_b64 vcc, exec, s[12:13]
	s_cbranch_vccnz .LBB118_587
; %bb.586:
	s_cmp_gt_u32 s15, 0x7f800000
	s_movk_i32 s12, 0x7f
	s_cselect_b32 s12, s12, 0x7e
	v_mov_b32_e32 v3, s12
.LBB118_587:
	s_lshr_b32 s12, s14, 24
	s_and_b32 s12, s12, 0x80
	v_or_b32_e32 v3, s12, v3
	global_store_byte v[0:1], v3, off
.LBB118_588:
	s_mov_b64 s[12:13], 0
.LBB118_589:
	s_andn2_b64 vcc, exec, s[12:13]
	s_cbranch_vccnz .LBB118_591
; %bb.590:
	v_mov_b32_e32 v3, s11
	global_store_byte v[0:1], v3, off
.LBB118_591:
	s_mov_b64 s[12:13], 0
	s_mov_b64 s[14:15], -1
.LBB118_592:
	s_andn2_b64 vcc, exec, s[12:13]
	s_mov_b64 s[12:13], 0
	s_cbranch_vccnz .LBB118_599
; %bb.593:
	s_cmp_gt_i32 s18, 14
	s_mov_b64 s[16:17], -1
	s_cbranch_scc0 .LBB118_597
; %bb.594:
	s_cmp_eq_u32 s18, 15
	s_mov_b64 s[6:7], -1
	s_cbranch_scc0 .LBB118_596
; %bb.595:
	s_lshl_b32 s6, s11, 8
	s_lshl_b32 s7, s11, 25
	s_lshr_b32 s12, s7, 4
	s_and_b32 s6, s6, 0x7f00
	s_or_b32 s12, s12, 0x70000000
	s_or_b32 s6, s6, 0.5
	s_cmp_lt_u32 s7, 0x8000000
	v_mov_b32_e32 v4, 0x7800000
	v_add_f32_e64 v3, s6, -0.5
	v_mul_f32_e32 v4, s12, v4
	s_cselect_b64 vcc, -1, 0
	s_lshl_b32 s6, s11, 24
	v_cndmask_b32_e32 v3, v4, v3, vcc
	s_and_b32 s6, s6, 0x80000000
	v_or_b32_e32 v4, s6, v3
	v_bfe_u32 v3, v3, 16, 1
	v_add_u32_e32 v3, v4, v3
	v_add_u32_e32 v3, 0x7fff, v3
	v_cmp_o_f32_e32 vcc, v4, v4
	v_mov_b32_e32 v4, 0x7fc0
	v_cndmask_b32_sdwa v3, v4, v3, vcc dst_sel:DWORD dst_unused:UNUSED_PAD src0_sel:DWORD src1_sel:WORD_1
	global_store_short v[0:1], v3, off
	s_mov_b64 s[6:7], 0
	s_mov_b64 s[14:15], -1
.LBB118_596:
	s_mov_b64 s[16:17], 0
.LBB118_597:
	s_mov_b64 s[12:13], 0
	s_and_b64 vcc, exec, s[16:17]
	s_cbranch_vccz .LBB118_599
; %bb.598:
	s_cmp_lg_u32 s18, 11
	s_mov_b64 s[12:13], -1
	s_cselect_b64 s[6:7], -1, 0
.LBB118_599:
	s_and_b64 vcc, exec, s[6:7]
	s_cbranch_vccnz .LBB118_701
; %bb.600:
	s_andn2_b64 vcc, exec, s[12:13]
	s_cbranch_vccnz .LBB118_602
.LBB118_601:
	s_lshl_b32 s6, s11, 8
	s_lshl_b32 s7, s11, 25
	s_lshr_b32 s12, s7, 4
	s_and_b32 s6, s6, 0x7f00
	s_or_b32 s12, s12, 0x70000000
	s_or_b32 s6, s6, 0.5
	s_cmp_lt_u32 s7, 0x8000000
	v_mov_b32_e32 v4, 0x7800000
	v_add_f32_e64 v3, s6, -0.5
	v_mul_f32_e32 v4, s12, v4
	s_cselect_b64 vcc, -1, 0
	v_cndmask_b32_e32 v3, v4, v3, vcc
	v_cmp_neq_f32_e32 vcc, 0, v3
	v_cndmask_b32_e64 v3, 0, 1, vcc
	s_mov_b64 s[14:15], -1
	global_store_byte v[0:1], v3, off
.LBB118_602:
	s_branch .LBB118_553
.LBB118_603:
	s_cmp_lt_i32 s18, 5
	s_mov_b64 s[6:7], -1
	s_cbranch_scc1 .LBB118_624
; %bb.604:
	s_cmp_lt_i32 s18, 8
	s_cbranch_scc1 .LBB118_614
; %bb.605:
	s_cmp_lt_i32 s18, 9
	s_cbranch_scc1 .LBB118_611
; %bb.606:
	s_cmp_gt_i32 s18, 9
	s_cbranch_scc0 .LBB118_608
; %bb.607:
	s_lshl_b32 s6, s11, 8
	s_lshl_b32 s7, s11, 25
	s_lshr_b32 s12, s7, 4
	s_and_b32 s6, s6, 0x7f00
	s_or_b32 s12, s12, 0x70000000
	s_or_b32 s6, s6, 0.5
	s_cmp_lt_u32 s7, 0x8000000
	v_mov_b32_e32 v4, 0x7800000
	v_add_f32_e64 v3, s6, -0.5
	v_mul_f32_e32 v4, s12, v4
	s_cselect_b64 vcc, -1, 0
	s_lshl_b32 s6, s11, 24
	v_cndmask_b32_e32 v3, v4, v3, vcc
	s_and_b32 s6, s6, 0x80000000
	v_or_b32_e32 v3, s6, v3
	v_cvt_f64_f32_e32 v[3:4], v3
	v_mov_b32_e32 v5, 0
	v_mov_b32_e32 v6, v5
	s_mov_b64 s[6:7], 0
	global_store_dwordx4 v[0:1], v[3:6], off
.LBB118_608:
	s_andn2_b64 vcc, exec, s[6:7]
	s_cbranch_vccnz .LBB118_610
; %bb.609:
	s_lshl_b32 s6, s11, 8
	s_lshl_b32 s7, s11, 25
	s_lshr_b32 s12, s7, 4
	s_and_b32 s6, s6, 0x7f00
	s_or_b32 s12, s12, 0x70000000
	s_or_b32 s6, s6, 0.5
	s_cmp_lt_u32 s7, 0x8000000
	v_mov_b32_e32 v4, 0x7800000
	v_add_f32_e64 v3, s6, -0.5
	v_mul_f32_e32 v4, s12, v4
	s_cselect_b64 vcc, -1, 0
	s_lshl_b32 s6, s11, 24
	v_cndmask_b32_e32 v3, v4, v3, vcc
	s_and_b32 s6, s6, 0x80000000
	v_or_b32_e32 v3, s6, v3
	v_mov_b32_e32 v4, 0
	global_store_dwordx2 v[0:1], v[3:4], off
.LBB118_610:
	s_mov_b64 s[6:7], 0
.LBB118_611:
	s_andn2_b64 vcc, exec, s[6:7]
	s_cbranch_vccnz .LBB118_613
; %bb.612:
	s_lshl_b32 s6, s11, 8
	s_lshl_b32 s7, s11, 25
	s_lshr_b32 s12, s7, 4
	s_and_b32 s6, s6, 0x7f00
	s_or_b32 s12, s12, 0x70000000
	s_or_b32 s6, s6, 0.5
	s_cmp_lt_u32 s7, 0x8000000
	v_mov_b32_e32 v4, 0x7800000
	v_add_f32_e64 v3, s6, -0.5
	v_mul_f32_e32 v4, s12, v4
	s_cselect_b64 vcc, -1, 0
	s_lshl_b32 s6, s11, 24
	v_cndmask_b32_e32 v3, v4, v3, vcc
	s_and_b32 s6, s6, 0x80000000
	v_or_b32_e32 v3, s6, v3
	v_cvt_f16_f32_e32 v3, v3
	global_store_dword v[0:1], v3, off
.LBB118_613:
	s_mov_b64 s[6:7], 0
.LBB118_614:
	s_andn2_b64 vcc, exec, s[6:7]
	s_cbranch_vccnz .LBB118_623
; %bb.615:
	s_cmp_lt_i32 s18, 6
	s_mov_b64 s[6:7], -1
	s_cbranch_scc1 .LBB118_621
; %bb.616:
	s_cmp_gt_i32 s18, 6
	s_cbranch_scc0 .LBB118_618
; %bb.617:
	s_lshl_b32 s6, s11, 8
	s_lshl_b32 s7, s11, 25
	s_lshr_b32 s12, s7, 4
	s_and_b32 s6, s6, 0x7f00
	s_or_b32 s12, s12, 0x70000000
	s_or_b32 s6, s6, 0.5
	s_cmp_lt_u32 s7, 0x8000000
	v_mov_b32_e32 v4, 0x7800000
	v_add_f32_e64 v3, s6, -0.5
	v_mul_f32_e32 v4, s12, v4
	s_cselect_b64 vcc, -1, 0
	s_lshl_b32 s6, s11, 24
	v_cndmask_b32_e32 v3, v4, v3, vcc
	s_and_b32 s6, s6, 0x80000000
	v_or_b32_e32 v3, s6, v3
	v_cvt_f64_f32_e32 v[3:4], v3
	s_mov_b64 s[6:7], 0
	global_store_dwordx2 v[0:1], v[3:4], off
.LBB118_618:
	s_andn2_b64 vcc, exec, s[6:7]
	s_cbranch_vccnz .LBB118_620
; %bb.619:
	s_lshl_b32 s6, s11, 8
	s_lshl_b32 s7, s11, 25
	s_lshr_b32 s12, s7, 4
	s_and_b32 s6, s6, 0x7f00
	s_or_b32 s12, s12, 0x70000000
	s_or_b32 s6, s6, 0.5
	s_cmp_lt_u32 s7, 0x8000000
	v_mov_b32_e32 v4, 0x7800000
	v_add_f32_e64 v3, s6, -0.5
	v_mul_f32_e32 v4, s12, v4
	s_cselect_b64 vcc, -1, 0
	s_lshl_b32 s6, s11, 24
	v_cndmask_b32_e32 v3, v4, v3, vcc
	s_and_b32 s6, s6, 0x80000000
	v_or_b32_e32 v3, s6, v3
	global_store_dword v[0:1], v3, off
.LBB118_620:
	s_mov_b64 s[6:7], 0
.LBB118_621:
	s_andn2_b64 vcc, exec, s[6:7]
	s_cbranch_vccnz .LBB118_623
; %bb.622:
	s_lshl_b32 s6, s11, 8
	s_lshl_b32 s7, s11, 25
	s_lshr_b32 s12, s7, 4
	s_and_b32 s6, s6, 0x7f00
	s_or_b32 s12, s12, 0x70000000
	s_or_b32 s6, s6, 0.5
	s_cmp_lt_u32 s7, 0x8000000
	v_mov_b32_e32 v4, 0x7800000
	v_add_f32_e64 v3, s6, -0.5
	v_mul_f32_e32 v4, s12, v4
	s_cselect_b64 vcc, -1, 0
	s_lshl_b32 s6, s11, 24
	v_cndmask_b32_e32 v3, v4, v3, vcc
	s_and_b32 s6, s6, 0x80000000
	v_or_b32_e32 v3, s6, v3
	v_cvt_f16_f32_e32 v3, v3
	global_store_short v[0:1], v3, off
.LBB118_623:
	s_mov_b64 s[6:7], 0
.LBB118_624:
	s_andn2_b64 vcc, exec, s[6:7]
	s_cbranch_vccnz .LBB118_640
; %bb.625:
	s_cmp_lt_i32 s18, 2
	s_mov_b64 s[6:7], -1
	s_cbranch_scc1 .LBB118_635
; %bb.626:
	s_cmp_lt_i32 s18, 3
	s_cbranch_scc1 .LBB118_632
; %bb.627:
	s_cmp_gt_i32 s18, 3
	s_cbranch_scc0 .LBB118_629
; %bb.628:
	s_lshl_b32 s6, s11, 8
	s_lshl_b32 s7, s11, 25
	s_lshr_b32 s12, s7, 4
	s_and_b32 s6, s6, 0x7f00
	s_or_b32 s12, s12, 0x70000000
	s_or_b32 s6, s6, 0.5
	s_cmp_lt_u32 s7, 0x8000000
	v_mov_b32_e32 v4, 0x7800000
	v_add_f32_e64 v3, s6, -0.5
	v_mul_f32_e32 v4, s12, v4
	s_cselect_b64 vcc, -1, 0
	s_lshl_b32 s6, s11, 24
	v_cndmask_b32_e32 v3, v4, v3, vcc
	s_and_b32 s6, s6, 0x80000000
	v_or_b32_e32 v3, s6, v3
	v_trunc_f32_e32 v3, v3
	s_mov_b32 s6, 0x2f800000
	v_mul_f32_e64 v4, |v3|, s6
	v_floor_f32_e32 v4, v4
	s_mov_b32 s6, 0xcf800000
	v_fma_f32 v5, v4, s6, |v3|
	v_cvt_u32_f32_e32 v5, v5
	v_cvt_u32_f32_e32 v4, v4
	v_ashrrev_i32_e32 v6, 31, v3
	s_mov_b64 s[6:7], 0
	v_xor_b32_e32 v3, v5, v6
	v_xor_b32_e32 v4, v4, v6
	v_sub_co_u32_e32 v3, vcc, v3, v6
	v_subb_co_u32_e32 v4, vcc, v4, v6, vcc
	global_store_dwordx2 v[0:1], v[3:4], off
.LBB118_629:
	s_andn2_b64 vcc, exec, s[6:7]
	s_cbranch_vccnz .LBB118_631
; %bb.630:
	s_lshl_b32 s6, s11, 8
	s_lshl_b32 s7, s11, 25
	s_lshr_b32 s12, s7, 4
	s_and_b32 s6, s6, 0x7f00
	s_or_b32 s12, s12, 0x70000000
	s_or_b32 s6, s6, 0.5
	s_cmp_lt_u32 s7, 0x8000000
	v_mov_b32_e32 v4, 0x7800000
	v_add_f32_e64 v3, s6, -0.5
	v_mul_f32_e32 v4, s12, v4
	s_cselect_b64 vcc, -1, 0
	s_lshl_b32 s6, s11, 24
	v_cndmask_b32_e32 v3, v4, v3, vcc
	s_and_b32 s6, s6, 0x80000000
	v_or_b32_e32 v3, s6, v3
	v_cvt_i32_f32_e32 v3, v3
	global_store_dword v[0:1], v3, off
.LBB118_631:
	s_mov_b64 s[6:7], 0
.LBB118_632:
	s_andn2_b64 vcc, exec, s[6:7]
	s_cbranch_vccnz .LBB118_634
; %bb.633:
	s_lshl_b32 s6, s11, 8
	s_lshl_b32 s7, s11, 25
	s_lshr_b32 s12, s7, 4
	s_and_b32 s6, s6, 0x7f00
	s_or_b32 s12, s12, 0x70000000
	s_or_b32 s6, s6, 0.5
	s_cmp_lt_u32 s7, 0x8000000
	v_mov_b32_e32 v4, 0x7800000
	v_add_f32_e64 v3, s6, -0.5
	v_mul_f32_e32 v4, s12, v4
	s_cselect_b64 vcc, -1, 0
	s_lshl_b32 s6, s11, 24
	v_cndmask_b32_e32 v3, v4, v3, vcc
	s_and_b32 s6, s6, 0x80000000
	v_or_b32_e32 v3, s6, v3
	v_cvt_i32_f32_e32 v3, v3
	global_store_short v[0:1], v3, off
.LBB118_634:
	s_mov_b64 s[6:7], 0
.LBB118_635:
	s_andn2_b64 vcc, exec, s[6:7]
	s_cbranch_vccnz .LBB118_640
; %bb.636:
	s_cmp_gt_i32 s18, 0
	s_mov_b64 s[6:7], -1
	s_cbranch_scc0 .LBB118_638
; %bb.637:
	s_lshl_b32 s6, s11, 8
	s_lshl_b32 s7, s11, 25
	s_lshr_b32 s12, s7, 4
	s_and_b32 s6, s6, 0x7f00
	s_or_b32 s12, s12, 0x70000000
	s_or_b32 s6, s6, 0.5
	s_cmp_lt_u32 s7, 0x8000000
	v_mov_b32_e32 v4, 0x7800000
	v_add_f32_e64 v3, s6, -0.5
	v_mul_f32_e32 v4, s12, v4
	s_cselect_b64 vcc, -1, 0
	s_lshl_b32 s6, s11, 24
	v_cndmask_b32_e32 v3, v4, v3, vcc
	s_and_b32 s6, s6, 0x80000000
	v_or_b32_e32 v3, s6, v3
	v_cvt_i32_f32_e32 v3, v3
	s_mov_b64 s[6:7], 0
	global_store_byte v[0:1], v3, off
.LBB118_638:
	s_andn2_b64 vcc, exec, s[6:7]
	s_cbranch_vccnz .LBB118_640
; %bb.639:
	s_lshl_b32 s6, s11, 8
	s_lshl_b32 s7, s11, 25
	s_lshr_b32 s12, s7, 4
	s_and_b32 s6, s6, 0x7f00
	s_or_b32 s12, s12, 0x70000000
	s_or_b32 s6, s6, 0.5
	s_cmp_lt_u32 s7, 0x8000000
	v_mov_b32_e32 v4, 0x7800000
	v_add_f32_e64 v3, s6, -0.5
	v_mul_f32_e32 v4, s12, v4
	s_cselect_b64 vcc, -1, 0
	s_lshl_b32 s6, s11, 24
	v_cndmask_b32_e32 v3, v4, v3, vcc
	s_and_b32 s6, s6, 0x80000000
	v_or_b32_e32 v3, s6, v3
	v_trunc_f32_e32 v3, v3
	s_mov_b32 s6, 0x2f800000
	v_mul_f32_e64 v4, |v3|, s6
	v_floor_f32_e32 v4, v4
	s_mov_b32 s6, 0xcf800000
	v_fma_f32 v4, v4, s6, |v3|
	v_cvt_u32_f32_e32 v4, v4
	v_ashrrev_i32_e32 v3, 31, v3
	v_xor_b32_e32 v4, v4, v3
	v_sub_u32_e32 v3, v4, v3
	global_store_byte v[0:1], v3, off
.LBB118_640:
.LBB118_641:
	v_add_u32_e32 v2, s10, v2
	v_ashrrev_i32_e32 v1, 31, v2
	v_mov_b32_e32 v3, s9
	v_add_co_u32_e32 v0, vcc, s8, v2
	s_cmp_lt_i32 s18, 11
	v_addc_co_u32_e32 v1, vcc, v3, v1, vcc
	s_cbranch_scc1 .LBB118_669
; %bb.642:
	s_mov_b64 s[16:17], -1
	s_mov_b64 s[12:13], 0
	s_cmp_gt_i32 s18, 25
	s_mov_b64 s[14:15], 0
	s_mov_b64 s[6:7], 0
	s_cbranch_scc0 .LBB118_710
; %bb.643:
	s_cmp_gt_i32 s18, 28
	s_cbranch_scc0 .LBB118_658
; %bb.644:
	s_cmp_gt_i32 s18, 43
	;; [unrolled: 3-line block ×3, first 2 shown]
	s_cbranch_scc0 .LBB118_648
; %bb.646:
	s_mov_b64 s[6:7], -1
	s_mov_b64 s[16:17], 0
	s_cmp_eq_u32 s18, 46
	s_cbranch_scc0 .LBB118_648
; %bb.647:
	s_lshl_b32 s6, s11, 8
	s_lshl_b32 s7, s11, 25
	s_lshr_b32 s14, s7, 4
	s_and_b32 s6, s6, 0x7f00
	s_or_b32 s14, s14, 0x70000000
	s_or_b32 s6, s6, 0.5
	s_cmp_lt_u32 s7, 0x8000000
	v_mov_b32_e32 v4, 0x7800000
	v_add_f32_e64 v3, s6, -0.5
	v_mul_f32_e32 v4, s14, v4
	s_cselect_b64 vcc, -1, 0
	s_lshl_b32 s6, s11, 24
	v_cndmask_b32_e32 v3, v4, v3, vcc
	s_and_b32 s6, s6, 0x80000000
	v_or_b32_e32 v4, s6, v3
	v_bfe_u32 v3, v3, 16, 1
	v_add_u32_e32 v3, v4, v3
	v_add_u32_e32 v3, 0x7fff, v3
	v_cmp_o_f32_e32 vcc, v4, v4
	v_mov_b32_e32 v4, 0x7fc0
	v_cndmask_b32_sdwa v3, v4, v3, vcc dst_sel:DWORD dst_unused:UNUSED_PAD src0_sel:DWORD src1_sel:WORD_1
	global_store_dword v[0:1], v3, off
	s_mov_b64 s[6:7], 0
	s_mov_b64 s[14:15], -1
.LBB118_648:
	s_and_b64 vcc, exec, s[16:17]
	s_cbranch_vccz .LBB118_653
; %bb.649:
	s_cmp_eq_u32 s18, 44
	s_mov_b64 s[6:7], -1
	s_cbranch_scc0 .LBB118_653
; %bb.650:
	s_lshl_b32 s6, s11, 8
	s_lshl_b32 s7, s11, 25
	s_lshr_b32 s14, s7, 4
	s_and_b32 s6, s6, 0x7f00
	s_or_b32 s14, s14, 0x70000000
	s_or_b32 s6, s6, 0.5
	s_cmp_lt_u32 s7, 0x8000000
	v_mov_b32_e32 v4, 0x7800000
	v_add_f32_e64 v3, s6, -0.5
	v_mul_f32_e32 v4, s14, v4
	s_cselect_b64 vcc, -1, 0
	v_cndmask_b32_e32 v3, v4, v3, vcc
	v_readfirstlane_b32 s6, v3
	s_bfe_u32 s7, s6, 0x80017
	s_cmpk_eq_i32 s7, 0xff
	v_mov_b32_e32 v4, 0xff
	s_cbranch_scc1 .LBB118_652
; %bb.651:
	s_bitcmp1_b32 s6, 22
	s_cselect_b64 s[14:15], -1, 0
	s_and_b32 s6, s6, 0x3fffff
	s_or_b32 s6, s7, s6
	s_cmp_lg_u32 s6, 0
	s_cselect_b64 s[6:7], -1, 0
	s_and_b64 s[6:7], s[14:15], s[6:7]
	v_lshrrev_b32_e32 v3, 23, v3
	v_cndmask_b32_e64 v4, 0, 1, s[6:7]
	v_add_u32_e32 v4, v3, v4
.LBB118_652:
	s_mov_b64 s[6:7], 0
	s_mov_b64 s[14:15], -1
	global_store_byte v[0:1], v4, off
.LBB118_653:
	s_mov_b64 s[16:17], 0
.LBB118_654:
	s_and_b64 vcc, exec, s[16:17]
	s_cbranch_vccz .LBB118_657
; %bb.655:
	s_cmp_eq_u32 s18, 29
	s_mov_b64 s[6:7], -1
	s_cbranch_scc0 .LBB118_657
; %bb.656:
	s_lshl_b32 s6, s11, 8
	s_lshl_b32 s7, s11, 25
	s_lshr_b32 s14, s7, 4
	s_and_b32 s6, s6, 0x7f00
	s_or_b32 s14, s14, 0x70000000
	s_or_b32 s6, s6, 0.5
	s_cmp_lt_u32 s7, 0x8000000
	v_mov_b32_e32 v4, 0x7800000
	v_add_f32_e64 v3, s6, -0.5
	v_mul_f32_e32 v4, s14, v4
	s_cselect_b64 vcc, -1, 0
	s_lshl_b32 s6, s11, 24
	v_cndmask_b32_e32 v3, v4, v3, vcc
	s_and_b32 s6, s6, 0x80000000
	v_or_b32_e32 v3, s6, v3
	v_trunc_f32_e32 v3, v3
	v_mul_f32_e32 v4, 0x2f800000, v3
	v_floor_f32_e32 v4, v4
	v_fmac_f32_e32 v3, 0xcf800000, v4
	v_cvt_u32_f32_e32 v3, v3
	v_cvt_u32_f32_e32 v4, v4
	s_mov_b64 s[6:7], 0
	s_mov_b64 s[14:15], -1
	global_store_dwordx2 v[0:1], v[3:4], off
.LBB118_657:
	s_mov_b64 s[16:17], 0
.LBB118_658:
	s_and_b64 vcc, exec, s[16:17]
	s_cbranch_vccz .LBB118_709
; %bb.659:
	s_cmp_lt_i32 s18, 27
	s_mov_b64 s[14:15], -1
	s_cbranch_scc1 .LBB118_665
; %bb.660:
	s_cmp_gt_i32 s18, 27
	s_cbranch_scc0 .LBB118_662
; %bb.661:
	s_lshl_b32 s14, s11, 8
	s_lshl_b32 s15, s11, 25
	s_lshr_b32 s16, s15, 4
	s_and_b32 s14, s14, 0x7f00
	s_or_b32 s16, s16, 0x70000000
	s_or_b32 s14, s14, 0.5
	s_cmp_lt_u32 s15, 0x8000000
	v_mov_b32_e32 v4, 0x7800000
	v_add_f32_e64 v3, s14, -0.5
	v_mul_f32_e32 v4, s16, v4
	s_cselect_b64 vcc, -1, 0
	s_lshl_b32 s14, s11, 24
	v_cndmask_b32_e32 v3, v4, v3, vcc
	s_and_b32 s14, s14, 0x80000000
	v_or_b32_e32 v3, s14, v3
	v_cvt_u32_f32_e32 v3, v3
	s_mov_b64 s[14:15], 0
	global_store_dword v[0:1], v3, off
.LBB118_662:
	s_andn2_b64 vcc, exec, s[14:15]
	s_cbranch_vccnz .LBB118_664
; %bb.663:
	s_lshl_b32 s14, s11, 8
	s_lshl_b32 s15, s11, 25
	s_lshr_b32 s16, s15, 4
	s_and_b32 s14, s14, 0x7f00
	s_or_b32 s16, s16, 0x70000000
	s_or_b32 s14, s14, 0.5
	s_cmp_lt_u32 s15, 0x8000000
	v_mov_b32_e32 v4, 0x7800000
	v_add_f32_e64 v3, s14, -0.5
	v_mul_f32_e32 v4, s16, v4
	s_cselect_b64 vcc, -1, 0
	s_lshl_b32 s14, s11, 24
	v_cndmask_b32_e32 v3, v4, v3, vcc
	s_and_b32 s14, s14, 0x80000000
	v_or_b32_e32 v3, s14, v3
	v_cvt_u32_f32_e32 v3, v3
	global_store_short v[0:1], v3, off
.LBB118_664:
	s_mov_b64 s[14:15], 0
.LBB118_665:
	s_andn2_b64 vcc, exec, s[14:15]
	s_cbranch_vccnz .LBB118_708
; %bb.666:
	s_lshl_b32 s14, s11, 8
	s_lshl_b32 s15, s11, 25
	s_lshr_b32 s16, s15, 4
	s_and_b32 s14, s14, 0x7f00
	s_or_b32 s16, s16, 0x70000000
	s_or_b32 s14, s14, 0.5
	s_cmp_lt_u32 s15, 0x8000000
	v_mov_b32_e32 v4, 0x7800000
	v_add_f32_e64 v3, s14, -0.5
	v_mul_f32_e32 v4, s16, v4
	s_cselect_b64 vcc, -1, 0
	v_cndmask_b32_e32 v3, v4, v3, vcc
	s_lshl_b32 s14, s11, 24
	s_and_b32 s14, s14, 0x80000000
	v_readfirstlane_b32 s15, v3
	s_or_b32 s19, s14, s15
	s_and_b32 s14, s19, 0x7fffffff
	s_cmp_gt_u32 s14, 0x437fffff
	v_mov_b32_e32 v4, 0x80
	s_cbranch_scc1 .LBB118_707
; %bb.667:
	s_cmp_gt_u32 s14, 0x3bffffff
	s_cbranch_scc0 .LBB118_702
; %bb.668:
	v_bfe_u32 v3, v3, 20, 1
	v_add_u32_e32 v3, s19, v3
	v_add_u32_e32 v3, 0x487ffff, v3
	v_lshrrev_b32_e32 v3, 20, v3
	s_mov_b64 s[16:17], 0
	s_mov_b64 s[14:15], -1
	s_branch .LBB118_703
.LBB118_669:
	s_mov_b64 s[14:15], 0
	s_cbranch_execnz .LBB118_764
.LBB118_670:
	s_andn2_b64 vcc, exec, s[14:15]
	s_cbranch_vccnz .LBB118_802
.LBB118_671:
	v_add_u32_e32 v0, s10, v2
	v_ashrrev_i32_e32 v1, 31, v0
	v_mov_b32_e32 v2, s9
	v_add_co_u32_e32 v0, vcc, s8, v0
	s_cmp_lt_i32 s18, 11
	v_addc_co_u32_e32 v1, vcc, v2, v1, vcc
	s_cbranch_scc1 .LBB118_700
; %bb.672:
	s_mov_b64 s[12:13], -1
	s_mov_b64 s[8:9], 0
	s_cmp_gt_i32 s18, 25
	s_mov_b64 s[6:7], 0
	s_cbranch_scc0 .LBB118_724
; %bb.673:
	s_cmp_gt_i32 s18, 28
	s_cbranch_scc0 .LBB118_689
; %bb.674:
	s_cmp_gt_i32 s18, 43
	;; [unrolled: 3-line block ×3, first 2 shown]
	s_cbranch_scc0 .LBB118_679
; %bb.676:
	s_cmp_eq_u32 s18, 46
	s_mov_b64 s[6:7], -1
	s_cbranch_scc0 .LBB118_678
; %bb.677:
	s_lshl_b32 s6, s11, 8
	s_lshl_b32 s7, s11, 25
	s_lshr_b32 s10, s7, 4
	s_and_b32 s6, s6, 0x7f00
	s_or_b32 s10, s10, 0x70000000
	s_or_b32 s6, s6, 0.5
	s_cmp_lt_u32 s7, 0x8000000
	v_mov_b32_e32 v3, 0x7800000
	v_add_f32_e64 v2, s6, -0.5
	v_mul_f32_e32 v3, s10, v3
	s_cselect_b64 vcc, -1, 0
	s_lshl_b32 s6, s11, 24
	v_cndmask_b32_e32 v2, v3, v2, vcc
	s_and_b32 s6, s6, 0x80000000
	v_or_b32_e32 v3, s6, v2
	v_bfe_u32 v2, v2, 16, 1
	v_add_u32_e32 v2, v3, v2
	v_add_u32_e32 v2, 0x7fff, v2
	v_cmp_o_f32_e32 vcc, v3, v3
	v_mov_b32_e32 v3, 0x7fc0
	v_cndmask_b32_sdwa v2, v3, v2, vcc dst_sel:DWORD dst_unused:UNUSED_PAD src0_sel:DWORD src1_sel:WORD_1
	global_store_dword v[0:1], v2, off
	s_mov_b64 s[6:7], 0
.LBB118_678:
	s_mov_b64 s[12:13], 0
.LBB118_679:
	s_and_b64 vcc, exec, s[12:13]
	s_cbranch_vccz .LBB118_684
; %bb.680:
	s_cmp_eq_u32 s18, 44
	s_mov_b64 s[6:7], -1
	s_cbranch_scc0 .LBB118_684
; %bb.681:
	s_lshl_b32 s6, s11, 8
	s_lshl_b32 s7, s11, 25
	s_lshr_b32 s10, s7, 4
	s_and_b32 s6, s6, 0x7f00
	s_or_b32 s10, s10, 0x70000000
	s_or_b32 s6, s6, 0.5
	s_cmp_lt_u32 s7, 0x8000000
	v_mov_b32_e32 v3, 0x7800000
	v_add_f32_e64 v2, s6, -0.5
	v_mul_f32_e32 v3, s10, v3
	s_cselect_b64 vcc, -1, 0
	v_cndmask_b32_e32 v2, v3, v2, vcc
	v_readfirstlane_b32 s6, v2
	s_bfe_u32 s7, s6, 0x80017
	s_cmpk_eq_i32 s7, 0xff
	v_mov_b32_e32 v3, 0xff
	s_cbranch_scc1 .LBB118_683
; %bb.682:
	s_bitcmp1_b32 s6, 22
	s_cselect_b64 s[12:13], -1, 0
	s_and_b32 s6, s6, 0x3fffff
	s_or_b32 s6, s7, s6
	s_cmp_lg_u32 s6, 0
	s_cselect_b64 s[6:7], -1, 0
	s_and_b64 s[6:7], s[12:13], s[6:7]
	v_lshrrev_b32_e32 v2, 23, v2
	v_cndmask_b32_e64 v3, 0, 1, s[6:7]
	v_add_u32_e32 v3, v2, v3
.LBB118_683:
	s_mov_b64 s[6:7], 0
	global_store_byte v[0:1], v3, off
.LBB118_684:
	s_mov_b64 s[12:13], 0
.LBB118_685:
	s_and_b64 vcc, exec, s[12:13]
	s_cbranch_vccz .LBB118_688
; %bb.686:
	s_cmp_eq_u32 s18, 29
	s_mov_b64 s[6:7], -1
	s_cbranch_scc0 .LBB118_688
; %bb.687:
	s_lshl_b32 s6, s11, 8
	s_lshl_b32 s7, s11, 25
	s_lshr_b32 s10, s7, 4
	s_and_b32 s6, s6, 0x7f00
	s_or_b32 s10, s10, 0x70000000
	s_or_b32 s6, s6, 0.5
	s_cmp_lt_u32 s7, 0x8000000
	v_mov_b32_e32 v3, 0x7800000
	v_add_f32_e64 v2, s6, -0.5
	v_mul_f32_e32 v3, s10, v3
	s_cselect_b64 vcc, -1, 0
	s_lshl_b32 s6, s11, 24
	v_cndmask_b32_e32 v2, v3, v2, vcc
	s_and_b32 s6, s6, 0x80000000
	v_or_b32_e32 v2, s6, v2
	v_trunc_f32_e32 v2, v2
	v_mul_f32_e32 v3, 0x2f800000, v2
	v_floor_f32_e32 v3, v3
	v_fmac_f32_e32 v2, 0xcf800000, v3
	v_cvt_u32_f32_e32 v2, v2
	v_cvt_u32_f32_e32 v3, v3
	s_mov_b64 s[6:7], 0
	global_store_dwordx2 v[0:1], v[2:3], off
.LBB118_688:
	s_mov_b64 s[12:13], 0
.LBB118_689:
	s_and_b64 vcc, exec, s[12:13]
	s_cbranch_vccz .LBB118_723
; %bb.690:
	s_cmp_lt_i32 s18, 27
	s_mov_b64 s[12:13], -1
	s_cbranch_scc1 .LBB118_696
; %bb.691:
	s_cmp_gt_i32 s18, 27
	s_cbranch_scc0 .LBB118_693
; %bb.692:
	s_lshl_b32 s10, s11, 8
	s_lshl_b32 s12, s11, 25
	s_lshr_b32 s13, s12, 4
	s_and_b32 s10, s10, 0x7f00
	s_or_b32 s13, s13, 0x70000000
	s_or_b32 s10, s10, 0.5
	s_cmp_lt_u32 s12, 0x8000000
	v_mov_b32_e32 v3, 0x7800000
	v_add_f32_e64 v2, s10, -0.5
	v_mul_f32_e32 v3, s13, v3
	s_cselect_b64 vcc, -1, 0
	s_lshl_b32 s10, s11, 24
	v_cndmask_b32_e32 v2, v3, v2, vcc
	s_and_b32 s10, s10, 0x80000000
	v_or_b32_e32 v2, s10, v2
	v_cvt_u32_f32_e32 v2, v2
	s_mov_b64 s[12:13], 0
	global_store_dword v[0:1], v2, off
.LBB118_693:
	s_andn2_b64 vcc, exec, s[12:13]
	s_cbranch_vccnz .LBB118_695
; %bb.694:
	s_lshl_b32 s10, s11, 8
	s_lshl_b32 s12, s11, 25
	s_lshr_b32 s13, s12, 4
	s_and_b32 s10, s10, 0x7f00
	s_or_b32 s13, s13, 0x70000000
	s_or_b32 s10, s10, 0.5
	s_cmp_lt_u32 s12, 0x8000000
	v_mov_b32_e32 v3, 0x7800000
	v_add_f32_e64 v2, s10, -0.5
	v_mul_f32_e32 v3, s13, v3
	s_cselect_b64 vcc, -1, 0
	s_lshl_b32 s10, s11, 24
	v_cndmask_b32_e32 v2, v3, v2, vcc
	s_and_b32 s10, s10, 0x80000000
	v_or_b32_e32 v2, s10, v2
	v_cvt_u32_f32_e32 v2, v2
	global_store_short v[0:1], v2, off
.LBB118_695:
	s_mov_b64 s[12:13], 0
.LBB118_696:
	s_andn2_b64 vcc, exec, s[12:13]
	s_cbranch_vccnz .LBB118_723
; %bb.697:
	s_lshl_b32 s10, s11, 8
	s_lshl_b32 s12, s11, 25
	s_lshr_b32 s13, s12, 4
	s_and_b32 s10, s10, 0x7f00
	s_or_b32 s13, s13, 0x70000000
	s_or_b32 s10, s10, 0.5
	s_cmp_lt_u32 s12, 0x8000000
	v_mov_b32_e32 v3, 0x7800000
	v_add_f32_e64 v2, s10, -0.5
	v_mul_f32_e32 v3, s13, v3
	s_cselect_b64 vcc, -1, 0
	v_cndmask_b32_e32 v2, v3, v2, vcc
	s_lshl_b32 s10, s11, 24
	s_and_b32 s10, s10, 0x80000000
	v_readfirstlane_b32 s12, v2
	s_or_b32 s10, s10, s12
	s_and_b32 s12, s10, 0x7fffffff
	s_cmp_gt_u32 s12, 0x437fffff
	v_mov_b32_e32 v3, 0x80
	s_cbranch_scc1 .LBB118_722
; %bb.698:
	s_cmp_gt_u32 s12, 0x3bffffff
	s_cbranch_scc0 .LBB118_717
; %bb.699:
	v_bfe_u32 v2, v2, 20, 1
	v_add_u32_e32 v2, s10, v2
	v_add_u32_e32 v2, 0x487ffff, v2
	v_lshrrev_b32_e32 v2, 20, v2
	s_mov_b64 s[14:15], 0
	s_mov_b64 s[12:13], -1
	s_branch .LBB118_718
.LBB118_700:
	s_mov_b64 s[8:9], 0
	s_mov_b64 s[6:7], -1
	s_branch .LBB118_803
.LBB118_701:
	s_trap 2
	s_or_b64 s[4:5], s[4:5], exec
	s_cbranch_execz .LBB118_601
	s_branch .LBB118_602
.LBB118_702:
	s_mov_b64 s[16:17], -1
	s_mov_b64 s[14:15], 0
                                        ; implicit-def: $vgpr3
.LBB118_703:
	s_andn2_b64 vcc, exec, s[16:17]
	s_cbranch_vccnz .LBB118_705
; %bb.704:
	v_mov_b32_e32 v3, 0x46000000
	v_add_f32_e64 v3, |s19|, v3
	v_and_b32_e32 v3, 0xff, v3
	v_cmp_ne_u32_e64 s[14:15], 0, v3
.LBB118_705:
	s_andn2_b64 vcc, exec, s[14:15]
	v_mov_b32_e32 v4, 0
	s_cbranch_vccnz .LBB118_707
; %bb.706:
	s_lshr_b32 s14, s19, 24
	s_and_b32 s14, s14, 0x80
	v_or_b32_e32 v4, s14, v3
.LBB118_707:
	global_store_byte v[0:1], v4, off
.LBB118_708:
	s_mov_b64 s[14:15], -1
.LBB118_709:
	s_mov_b64 s[16:17], 0
.LBB118_710:
	s_and_b64 vcc, exec, s[16:17]
	s_cbranch_vccz .LBB118_760
; %bb.711:
	s_cmp_gt_i32 s18, 22
	s_mov_b64 s[12:13], -1
	s_cbranch_scc0 .LBB118_753
; %bb.712:
	s_cmp_lt_i32 s18, 24
	s_cbranch_scc1 .LBB118_750
; %bb.713:
	s_cmp_gt_i32 s18, 24
	s_cbranch_scc0 .LBB118_737
; %bb.714:
	s_lshl_b32 s12, s11, 8
	s_lshl_b32 s13, s11, 25
	s_lshr_b32 s14, s13, 4
	s_and_b32 s12, s12, 0x7f00
	s_or_b32 s14, s14, 0x70000000
	s_or_b32 s12, s12, 0.5
	s_cmp_lt_u32 s13, 0x8000000
	v_mov_b32_e32 v4, 0x7800000
	v_add_f32_e64 v3, s12, -0.5
	v_mul_f32_e32 v4, s14, v4
	s_cselect_b64 vcc, -1, 0
	v_cndmask_b32_e32 v3, v4, v3, vcc
	s_lshl_b32 s12, s11, 24
	s_and_b32 s12, s12, 0x80000000
	v_readfirstlane_b32 s13, v3
	s_or_b32 s16, s12, s13
	s_and_b32 s12, s16, 0x7fffffff
	s_cmp_gt_u32 s12, 0x477fffff
	v_mov_b32_e32 v4, 0x80
	s_cbranch_scc1 .LBB118_736
; %bb.715:
	s_cmp_gt_u32 s12, 0x37ffffff
	s_cbranch_scc0 .LBB118_731
; %bb.716:
	v_bfe_u32 v3, v3, 21, 1
	v_add_u32_e32 v3, s16, v3
	v_add_u32_e32 v3, 0x88fffff, v3
	v_lshrrev_b32_e32 v3, 21, v3
	s_mov_b64 s[14:15], 0
	s_mov_b64 s[12:13], -1
	s_branch .LBB118_732
.LBB118_717:
	s_mov_b64 s[14:15], -1
	s_mov_b64 s[12:13], 0
                                        ; implicit-def: $vgpr2
.LBB118_718:
	s_andn2_b64 vcc, exec, s[14:15]
	s_cbranch_vccnz .LBB118_720
; %bb.719:
	v_mov_b32_e32 v2, 0x46000000
	v_add_f32_e64 v2, |s10|, v2
	v_and_b32_e32 v2, 0xff, v2
	v_cmp_ne_u32_e64 s[12:13], 0, v2
.LBB118_720:
	s_andn2_b64 vcc, exec, s[12:13]
	v_mov_b32_e32 v3, 0
	s_cbranch_vccnz .LBB118_722
; %bb.721:
	s_lshr_b32 s10, s10, 24
	s_and_b32 s10, s10, 0x80
	v_or_b32_e32 v3, s10, v2
.LBB118_722:
	global_store_byte v[0:1], v3, off
.LBB118_723:
	s_mov_b64 s[12:13], 0
.LBB118_724:
	s_and_b64 vcc, exec, s[12:13]
	s_cbranch_vccz .LBB118_874
; %bb.725:
	s_cmp_gt_i32 s18, 22
	s_mov_b64 s[8:9], -1
	s_cbranch_scc0 .LBB118_867
; %bb.726:
	s_cmp_lt_i32 s18, 24
	s_cbranch_scc1 .LBB118_864
; %bb.727:
	s_cmp_gt_i32 s18, 24
	s_cbranch_scc0 .LBB118_851
; %bb.728:
	s_lshl_b32 s8, s11, 8
	s_lshl_b32 s9, s11, 25
	s_lshr_b32 s10, s9, 4
	s_and_b32 s8, s8, 0x7f00
	s_or_b32 s10, s10, 0x70000000
	s_or_b32 s8, s8, 0.5
	s_cmp_lt_u32 s9, 0x8000000
	v_mov_b32_e32 v3, 0x7800000
	v_add_f32_e64 v2, s8, -0.5
	v_mul_f32_e32 v3, s10, v3
	s_cselect_b64 vcc, -1, 0
	v_cndmask_b32_e32 v2, v3, v2, vcc
	s_lshl_b32 s8, s11, 24
	s_and_b32 s8, s8, 0x80000000
	v_readfirstlane_b32 s9, v2
	s_or_b32 s10, s8, s9
	s_and_b32 s8, s10, 0x7fffffff
	s_cmp_gt_u32 s8, 0x477fffff
	v_mov_b32_e32 v3, 0x80
	s_cbranch_scc1 .LBB118_850
; %bb.729:
	s_cmp_gt_u32 s8, 0x37ffffff
	s_cbranch_scc0 .LBB118_845
; %bb.730:
	v_bfe_u32 v2, v2, 21, 1
	v_add_u32_e32 v2, s10, v2
	v_add_u32_e32 v2, 0x88fffff, v2
	v_lshrrev_b32_e32 v2, 21, v2
	s_mov_b64 s[12:13], 0
	s_mov_b64 s[8:9], -1
	s_branch .LBB118_846
.LBB118_731:
	s_mov_b64 s[14:15], -1
	s_mov_b64 s[12:13], 0
                                        ; implicit-def: $vgpr3
.LBB118_732:
	s_andn2_b64 vcc, exec, s[14:15]
	s_cbranch_vccnz .LBB118_734
; %bb.733:
	v_mov_b32_e32 v3, 0x42800000
	v_add_f32_e64 v3, |s16|, v3
	v_and_b32_e32 v3, 0xff, v3
	v_cmp_ne_u32_e64 s[12:13], 0, v3
.LBB118_734:
	s_andn2_b64 vcc, exec, s[12:13]
	v_mov_b32_e32 v4, 0
	s_cbranch_vccnz .LBB118_736
; %bb.735:
	s_lshr_b32 s12, s16, 24
	s_and_b32 s12, s12, 0x80
	v_or_b32_e32 v4, s12, v3
.LBB118_736:
	s_mov_b64 s[12:13], 0
	global_store_byte v[0:1], v4, off
.LBB118_737:
	s_and_b64 vcc, exec, s[12:13]
	s_cbranch_vccz .LBB118_749
; %bb.738:
	s_lshl_b32 s12, s11, 8
	s_lshl_b32 s13, s11, 25
	s_lshr_b32 s14, s13, 4
	s_and_b32 s12, s12, 0x7f00
	s_or_b32 s14, s14, 0x70000000
	s_or_b32 s12, s12, 0.5
	s_cmp_lt_u32 s13, 0x8000000
	v_mov_b32_e32 v4, 0x7800000
	v_add_f32_e64 v3, s12, -0.5
	v_mul_f32_e32 v4, s14, v4
	s_cselect_b64 vcc, -1, 0
	v_cndmask_b32_e32 v3, v4, v3, vcc
	s_lshl_b32 s13, s11, 24
	v_readfirstlane_b32 s12, v3
	s_and_b32 s13, s13, 0x80000000
	s_or_b32 s14, s13, s12
	s_and_b32 s15, s14, 0x7fffffff
	s_cmp_lt_u32 s15, 0x43f00000
	s_cbranch_scc0 .LBB118_741
; %bb.739:
	s_cmp_gt_u32 s15, 0x3c7fffff
	s_cbranch_scc0 .LBB118_742
; %bb.740:
	s_bfe_u32 s12, s12, 0x10014
	s_add_i32 s12, s14, s12
	s_add_i32 s12, s12, 0x407ffff
	s_lshr_b32 s13, s12, 20
	s_and_b32 s12, s12, 0xff00000
	s_cmp_lg_u32 s12, 0x7f00000
	s_cselect_b32 s16, s13, 0x7e
	s_mov_b64 s[12:13], 0
	s_branch .LBB118_743
.LBB118_741:
	s_mov_b64 s[12:13], -1
                                        ; implicit-def: $vgpr3
	s_branch .LBB118_746
.LBB118_742:
	s_mov_b64 s[12:13], -1
                                        ; implicit-def: $sgpr16
.LBB118_743:
	s_andn2_b64 vcc, exec, s[12:13]
	v_mov_b32_e32 v3, s16
	s_cbranch_vccnz .LBB118_745
; %bb.744:
	v_mov_b32_e32 v3, 0x46800000
	v_add_f32_e64 v3, |s14|, v3
.LBB118_745:
	s_mov_b64 s[12:13], 0
.LBB118_746:
	s_andn2_b64 vcc, exec, s[12:13]
	s_cbranch_vccnz .LBB118_748
; %bb.747:
	s_cmp_gt_u32 s15, 0x7f800000
	s_movk_i32 s12, 0x7f
	s_cselect_b32 s12, s12, 0x7e
	v_mov_b32_e32 v3, s12
.LBB118_748:
	s_lshr_b32 s12, s14, 24
	s_and_b32 s12, s12, 0x80
	v_or_b32_e32 v3, s12, v3
	global_store_byte v[0:1], v3, off
.LBB118_749:
	s_mov_b64 s[12:13], 0
.LBB118_750:
	s_andn2_b64 vcc, exec, s[12:13]
	s_cbranch_vccnz .LBB118_752
; %bb.751:
	v_mov_b32_e32 v3, s11
	global_store_byte v[0:1], v3, off
.LBB118_752:
	s_mov_b64 s[12:13], 0
	s_mov_b64 s[14:15], -1
.LBB118_753:
	s_andn2_b64 vcc, exec, s[12:13]
	s_mov_b64 s[12:13], 0
	s_cbranch_vccnz .LBB118_760
; %bb.754:
	s_cmp_gt_i32 s18, 14
	s_mov_b64 s[16:17], -1
	s_cbranch_scc0 .LBB118_758
; %bb.755:
	s_cmp_eq_u32 s18, 15
	s_mov_b64 s[6:7], -1
	s_cbranch_scc0 .LBB118_757
; %bb.756:
	s_lshl_b32 s6, s11, 8
	s_lshl_b32 s7, s11, 25
	s_lshr_b32 s12, s7, 4
	s_and_b32 s6, s6, 0x7f00
	s_or_b32 s12, s12, 0x70000000
	s_or_b32 s6, s6, 0.5
	s_cmp_lt_u32 s7, 0x8000000
	v_mov_b32_e32 v4, 0x7800000
	v_add_f32_e64 v3, s6, -0.5
	v_mul_f32_e32 v4, s12, v4
	s_cselect_b64 vcc, -1, 0
	s_lshl_b32 s6, s11, 24
	v_cndmask_b32_e32 v3, v4, v3, vcc
	s_and_b32 s6, s6, 0x80000000
	v_or_b32_e32 v4, s6, v3
	v_bfe_u32 v3, v3, 16, 1
	v_add_u32_e32 v3, v4, v3
	v_add_u32_e32 v3, 0x7fff, v3
	v_cmp_o_f32_e32 vcc, v4, v4
	v_mov_b32_e32 v4, 0x7fc0
	v_cndmask_b32_sdwa v3, v4, v3, vcc dst_sel:DWORD dst_unused:UNUSED_PAD src0_sel:DWORD src1_sel:WORD_1
	global_store_short v[0:1], v3, off
	s_mov_b64 s[6:7], 0
	s_mov_b64 s[14:15], -1
.LBB118_757:
	s_mov_b64 s[16:17], 0
.LBB118_758:
	s_mov_b64 s[12:13], 0
	s_and_b64 vcc, exec, s[16:17]
	s_cbranch_vccz .LBB118_760
; %bb.759:
	s_cmp_lg_u32 s18, 11
	s_mov_b64 s[12:13], -1
	s_cselect_b64 s[6:7], -1, 0
.LBB118_760:
	s_and_b64 vcc, exec, s[6:7]
	s_cbranch_vccnz .LBB118_844
; %bb.761:
	s_andn2_b64 vcc, exec, s[12:13]
	s_cbranch_vccnz .LBB118_763
.LBB118_762:
	s_lshl_b32 s6, s11, 8
	s_lshl_b32 s7, s11, 25
	s_lshr_b32 s12, s7, 4
	s_and_b32 s6, s6, 0x7f00
	s_or_b32 s12, s12, 0x70000000
	s_or_b32 s6, s6, 0.5
	s_cmp_lt_u32 s7, 0x8000000
	v_mov_b32_e32 v4, 0x7800000
	v_add_f32_e64 v3, s6, -0.5
	v_mul_f32_e32 v4, s12, v4
	s_cselect_b64 vcc, -1, 0
	v_cndmask_b32_e32 v3, v4, v3, vcc
	v_cmp_neq_f32_e32 vcc, 0, v3
	v_cndmask_b32_e64 v3, 0, 1, vcc
	s_mov_b64 s[14:15], -1
	global_store_byte v[0:1], v3, off
.LBB118_763:
	s_branch .LBB118_670
.LBB118_764:
	s_cmp_lt_i32 s18, 5
	s_mov_b64 s[6:7], -1
	s_cbranch_scc1 .LBB118_785
; %bb.765:
	s_cmp_lt_i32 s18, 8
	s_cbranch_scc1 .LBB118_775
; %bb.766:
	s_cmp_lt_i32 s18, 9
	s_cbranch_scc1 .LBB118_772
; %bb.767:
	s_cmp_gt_i32 s18, 9
	s_cbranch_scc0 .LBB118_769
; %bb.768:
	s_lshl_b32 s6, s11, 8
	s_lshl_b32 s7, s11, 25
	s_lshr_b32 s12, s7, 4
	s_and_b32 s6, s6, 0x7f00
	s_or_b32 s12, s12, 0x70000000
	s_or_b32 s6, s6, 0.5
	s_cmp_lt_u32 s7, 0x8000000
	v_mov_b32_e32 v4, 0x7800000
	v_add_f32_e64 v3, s6, -0.5
	v_mul_f32_e32 v4, s12, v4
	s_cselect_b64 vcc, -1, 0
	s_lshl_b32 s6, s11, 24
	v_cndmask_b32_e32 v3, v4, v3, vcc
	s_and_b32 s6, s6, 0x80000000
	v_or_b32_e32 v3, s6, v3
	v_cvt_f64_f32_e32 v[3:4], v3
	v_mov_b32_e32 v5, 0
	v_mov_b32_e32 v6, v5
	s_mov_b64 s[6:7], 0
	global_store_dwordx4 v[0:1], v[3:6], off
.LBB118_769:
	s_andn2_b64 vcc, exec, s[6:7]
	s_cbranch_vccnz .LBB118_771
; %bb.770:
	s_lshl_b32 s6, s11, 8
	s_lshl_b32 s7, s11, 25
	s_lshr_b32 s12, s7, 4
	s_and_b32 s6, s6, 0x7f00
	s_or_b32 s12, s12, 0x70000000
	s_or_b32 s6, s6, 0.5
	s_cmp_lt_u32 s7, 0x8000000
	v_mov_b32_e32 v4, 0x7800000
	v_add_f32_e64 v3, s6, -0.5
	v_mul_f32_e32 v4, s12, v4
	s_cselect_b64 vcc, -1, 0
	s_lshl_b32 s6, s11, 24
	v_cndmask_b32_e32 v3, v4, v3, vcc
	s_and_b32 s6, s6, 0x80000000
	v_or_b32_e32 v3, s6, v3
	v_mov_b32_e32 v4, 0
	global_store_dwordx2 v[0:1], v[3:4], off
.LBB118_771:
	s_mov_b64 s[6:7], 0
.LBB118_772:
	s_andn2_b64 vcc, exec, s[6:7]
	s_cbranch_vccnz .LBB118_774
; %bb.773:
	s_lshl_b32 s6, s11, 8
	s_lshl_b32 s7, s11, 25
	s_lshr_b32 s12, s7, 4
	s_and_b32 s6, s6, 0x7f00
	s_or_b32 s12, s12, 0x70000000
	s_or_b32 s6, s6, 0.5
	s_cmp_lt_u32 s7, 0x8000000
	v_mov_b32_e32 v4, 0x7800000
	v_add_f32_e64 v3, s6, -0.5
	v_mul_f32_e32 v4, s12, v4
	s_cselect_b64 vcc, -1, 0
	s_lshl_b32 s6, s11, 24
	v_cndmask_b32_e32 v3, v4, v3, vcc
	s_and_b32 s6, s6, 0x80000000
	v_or_b32_e32 v3, s6, v3
	v_cvt_f16_f32_e32 v3, v3
	global_store_dword v[0:1], v3, off
.LBB118_774:
	s_mov_b64 s[6:7], 0
.LBB118_775:
	s_andn2_b64 vcc, exec, s[6:7]
	s_cbranch_vccnz .LBB118_784
; %bb.776:
	s_cmp_lt_i32 s18, 6
	s_mov_b64 s[6:7], -1
	s_cbranch_scc1 .LBB118_782
; %bb.777:
	s_cmp_gt_i32 s18, 6
	s_cbranch_scc0 .LBB118_779
; %bb.778:
	s_lshl_b32 s6, s11, 8
	s_lshl_b32 s7, s11, 25
	s_lshr_b32 s12, s7, 4
	s_and_b32 s6, s6, 0x7f00
	s_or_b32 s12, s12, 0x70000000
	s_or_b32 s6, s6, 0.5
	s_cmp_lt_u32 s7, 0x8000000
	v_mov_b32_e32 v4, 0x7800000
	v_add_f32_e64 v3, s6, -0.5
	v_mul_f32_e32 v4, s12, v4
	s_cselect_b64 vcc, -1, 0
	s_lshl_b32 s6, s11, 24
	v_cndmask_b32_e32 v3, v4, v3, vcc
	s_and_b32 s6, s6, 0x80000000
	v_or_b32_e32 v3, s6, v3
	v_cvt_f64_f32_e32 v[3:4], v3
	s_mov_b64 s[6:7], 0
	global_store_dwordx2 v[0:1], v[3:4], off
.LBB118_779:
	s_andn2_b64 vcc, exec, s[6:7]
	s_cbranch_vccnz .LBB118_781
; %bb.780:
	s_lshl_b32 s6, s11, 8
	s_lshl_b32 s7, s11, 25
	s_lshr_b32 s12, s7, 4
	s_and_b32 s6, s6, 0x7f00
	s_or_b32 s12, s12, 0x70000000
	s_or_b32 s6, s6, 0.5
	s_cmp_lt_u32 s7, 0x8000000
	v_mov_b32_e32 v4, 0x7800000
	v_add_f32_e64 v3, s6, -0.5
	v_mul_f32_e32 v4, s12, v4
	s_cselect_b64 vcc, -1, 0
	s_lshl_b32 s6, s11, 24
	v_cndmask_b32_e32 v3, v4, v3, vcc
	s_and_b32 s6, s6, 0x80000000
	v_or_b32_e32 v3, s6, v3
	global_store_dword v[0:1], v3, off
.LBB118_781:
	s_mov_b64 s[6:7], 0
.LBB118_782:
	s_andn2_b64 vcc, exec, s[6:7]
	s_cbranch_vccnz .LBB118_784
; %bb.783:
	s_lshl_b32 s6, s11, 8
	s_lshl_b32 s7, s11, 25
	s_lshr_b32 s12, s7, 4
	s_and_b32 s6, s6, 0x7f00
	s_or_b32 s12, s12, 0x70000000
	s_or_b32 s6, s6, 0.5
	s_cmp_lt_u32 s7, 0x8000000
	v_mov_b32_e32 v4, 0x7800000
	v_add_f32_e64 v3, s6, -0.5
	v_mul_f32_e32 v4, s12, v4
	s_cselect_b64 vcc, -1, 0
	s_lshl_b32 s6, s11, 24
	v_cndmask_b32_e32 v3, v4, v3, vcc
	s_and_b32 s6, s6, 0x80000000
	v_or_b32_e32 v3, s6, v3
	v_cvt_f16_f32_e32 v3, v3
	global_store_short v[0:1], v3, off
.LBB118_784:
	s_mov_b64 s[6:7], 0
.LBB118_785:
	s_andn2_b64 vcc, exec, s[6:7]
	s_cbranch_vccnz .LBB118_801
; %bb.786:
	s_cmp_lt_i32 s18, 2
	s_mov_b64 s[6:7], -1
	s_cbranch_scc1 .LBB118_796
; %bb.787:
	s_cmp_lt_i32 s18, 3
	s_cbranch_scc1 .LBB118_793
; %bb.788:
	s_cmp_gt_i32 s18, 3
	s_cbranch_scc0 .LBB118_790
; %bb.789:
	s_lshl_b32 s6, s11, 8
	s_lshl_b32 s7, s11, 25
	s_lshr_b32 s12, s7, 4
	s_and_b32 s6, s6, 0x7f00
	s_or_b32 s12, s12, 0x70000000
	s_or_b32 s6, s6, 0.5
	s_cmp_lt_u32 s7, 0x8000000
	v_mov_b32_e32 v4, 0x7800000
	v_add_f32_e64 v3, s6, -0.5
	v_mul_f32_e32 v4, s12, v4
	s_cselect_b64 vcc, -1, 0
	s_lshl_b32 s6, s11, 24
	v_cndmask_b32_e32 v3, v4, v3, vcc
	s_and_b32 s6, s6, 0x80000000
	v_or_b32_e32 v3, s6, v3
	v_trunc_f32_e32 v3, v3
	s_mov_b32 s6, 0x2f800000
	v_mul_f32_e64 v4, |v3|, s6
	v_floor_f32_e32 v4, v4
	s_mov_b32 s6, 0xcf800000
	v_fma_f32 v5, v4, s6, |v3|
	v_cvt_u32_f32_e32 v5, v5
	v_cvt_u32_f32_e32 v4, v4
	v_ashrrev_i32_e32 v6, 31, v3
	s_mov_b64 s[6:7], 0
	v_xor_b32_e32 v3, v5, v6
	v_xor_b32_e32 v4, v4, v6
	v_sub_co_u32_e32 v3, vcc, v3, v6
	v_subb_co_u32_e32 v4, vcc, v4, v6, vcc
	global_store_dwordx2 v[0:1], v[3:4], off
.LBB118_790:
	s_andn2_b64 vcc, exec, s[6:7]
	s_cbranch_vccnz .LBB118_792
; %bb.791:
	s_lshl_b32 s6, s11, 8
	s_lshl_b32 s7, s11, 25
	s_lshr_b32 s12, s7, 4
	s_and_b32 s6, s6, 0x7f00
	s_or_b32 s12, s12, 0x70000000
	s_or_b32 s6, s6, 0.5
	s_cmp_lt_u32 s7, 0x8000000
	v_mov_b32_e32 v4, 0x7800000
	v_add_f32_e64 v3, s6, -0.5
	v_mul_f32_e32 v4, s12, v4
	s_cselect_b64 vcc, -1, 0
	s_lshl_b32 s6, s11, 24
	v_cndmask_b32_e32 v3, v4, v3, vcc
	s_and_b32 s6, s6, 0x80000000
	v_or_b32_e32 v3, s6, v3
	v_cvt_i32_f32_e32 v3, v3
	global_store_dword v[0:1], v3, off
.LBB118_792:
	s_mov_b64 s[6:7], 0
.LBB118_793:
	s_andn2_b64 vcc, exec, s[6:7]
	s_cbranch_vccnz .LBB118_795
; %bb.794:
	s_lshl_b32 s6, s11, 8
	s_lshl_b32 s7, s11, 25
	s_lshr_b32 s12, s7, 4
	s_and_b32 s6, s6, 0x7f00
	s_or_b32 s12, s12, 0x70000000
	s_or_b32 s6, s6, 0.5
	s_cmp_lt_u32 s7, 0x8000000
	v_mov_b32_e32 v4, 0x7800000
	v_add_f32_e64 v3, s6, -0.5
	v_mul_f32_e32 v4, s12, v4
	s_cselect_b64 vcc, -1, 0
	s_lshl_b32 s6, s11, 24
	v_cndmask_b32_e32 v3, v4, v3, vcc
	s_and_b32 s6, s6, 0x80000000
	v_or_b32_e32 v3, s6, v3
	v_cvt_i32_f32_e32 v3, v3
	global_store_short v[0:1], v3, off
.LBB118_795:
	s_mov_b64 s[6:7], 0
.LBB118_796:
	s_andn2_b64 vcc, exec, s[6:7]
	s_cbranch_vccnz .LBB118_801
; %bb.797:
	s_cmp_gt_i32 s18, 0
	s_mov_b64 s[6:7], -1
	s_cbranch_scc0 .LBB118_799
; %bb.798:
	s_lshl_b32 s6, s11, 8
	s_lshl_b32 s7, s11, 25
	s_lshr_b32 s12, s7, 4
	s_and_b32 s6, s6, 0x7f00
	s_or_b32 s12, s12, 0x70000000
	s_or_b32 s6, s6, 0.5
	s_cmp_lt_u32 s7, 0x8000000
	v_mov_b32_e32 v4, 0x7800000
	v_add_f32_e64 v3, s6, -0.5
	v_mul_f32_e32 v4, s12, v4
	s_cselect_b64 vcc, -1, 0
	s_lshl_b32 s6, s11, 24
	v_cndmask_b32_e32 v3, v4, v3, vcc
	s_and_b32 s6, s6, 0x80000000
	v_or_b32_e32 v3, s6, v3
	v_cvt_i32_f32_e32 v3, v3
	s_mov_b64 s[6:7], 0
	global_store_byte v[0:1], v3, off
.LBB118_799:
	s_andn2_b64 vcc, exec, s[6:7]
	s_cbranch_vccnz .LBB118_801
; %bb.800:
	s_lshl_b32 s6, s11, 8
	s_lshl_b32 s7, s11, 25
	s_lshr_b32 s12, s7, 4
	s_and_b32 s6, s6, 0x7f00
	s_or_b32 s12, s12, 0x70000000
	s_or_b32 s6, s6, 0.5
	s_cmp_lt_u32 s7, 0x8000000
	v_mov_b32_e32 v4, 0x7800000
	v_add_f32_e64 v3, s6, -0.5
	v_mul_f32_e32 v4, s12, v4
	s_cselect_b64 vcc, -1, 0
	s_lshl_b32 s6, s11, 24
	v_cndmask_b32_e32 v3, v4, v3, vcc
	s_and_b32 s6, s6, 0x80000000
	v_or_b32_e32 v3, s6, v3
	v_trunc_f32_e32 v3, v3
	s_mov_b32 s6, 0x2f800000
	v_mul_f32_e64 v4, |v3|, s6
	v_floor_f32_e32 v4, v4
	s_mov_b32 s6, 0xcf800000
	v_fma_f32 v4, v4, s6, |v3|
	v_cvt_u32_f32_e32 v4, v4
	v_ashrrev_i32_e32 v3, 31, v3
	v_xor_b32_e32 v4, v4, v3
	v_sub_u32_e32 v3, v4, v3
	global_store_byte v[0:1], v3, off
.LBB118_801:
	s_branch .LBB118_671
.LBB118_802:
	s_mov_b64 s[6:7], 0
	s_mov_b64 s[8:9], 0
                                        ; implicit-def: $sgpr33
                                        ; implicit-def: $vgpr0_vgpr1
.LBB118_803:
	s_andn2_b64 s[0:1], s[0:1], exec
	s_and_b64 s[4:5], s[4:5], exec
	s_and_b64 s[12:13], s[6:7], exec
	;; [unrolled: 1-line block ×3, first 2 shown]
	s_or_b64 s[0:1], s[0:1], s[4:5]
	s_or_b64 exec, exec, s[2:3]
	s_and_saveexec_b64 s[2:3], s[0:1]
	s_cbranch_execnz .LBB118_434
.LBB118_804:
	s_or_b64 exec, exec, s[2:3]
	s_and_saveexec_b64 s[0:1], s[6:7]
	s_xor_b64 s[0:1], exec, s[0:1]
	s_cbranch_execz .LBB118_435
.LBB118_805:
	s_lshl_b32 s2, s11, 8
	s_lshl_b32 s3, s11, 25
	s_lshr_b32 s4, s3, 4
	s_and_b32 s2, s2, 0x7f00
	s_or_b32 s4, s4, 0x70000000
	s_or_b32 s2, s2, 0.5
	s_cmp_lt_u32 s3, 0x8000000
	v_mov_b32_e32 v3, 0x7800000
	v_add_f32_e64 v2, s2, -0.5
	v_mul_f32_e32 v3, s4, v3
	s_cselect_b64 vcc, -1, 0
	v_cndmask_b32_e32 v2, v3, v2, vcc
	v_cmp_neq_f32_e32 vcc, 0, v2
	v_cndmask_b32_e64 v2, 0, 1, vcc
	global_store_byte v[0:1], v2, off
	s_or_b64 exec, exec, s[0:1]
	s_and_saveexec_b64 s[0:1], s[12:13]
	s_cbranch_execz .LBB118_843
.LBB118_806:
	s_sext_i32_i16 s2, s33
	s_cmp_lt_i32 s2, 5
	s_mov_b64 s[0:1], -1
	s_cbranch_scc1 .LBB118_827
; %bb.807:
	s_cmp_lt_i32 s2, 8
	s_cbranch_scc1 .LBB118_817
; %bb.808:
	s_cmp_lt_i32 s2, 9
	s_cbranch_scc1 .LBB118_814
; %bb.809:
	s_cmp_gt_i32 s2, 9
	s_cbranch_scc0 .LBB118_811
; %bb.810:
	s_lshl_b32 s0, s11, 8
	s_lshl_b32 s1, s11, 25
	s_lshr_b32 s2, s1, 4
	s_and_b32 s0, s0, 0x7f00
	s_or_b32 s2, s2, 0x70000000
	s_or_b32 s0, s0, 0.5
	s_cmp_lt_u32 s1, 0x8000000
	v_mov_b32_e32 v3, 0x7800000
	v_add_f32_e64 v2, s0, -0.5
	v_mul_f32_e32 v3, s2, v3
	s_cselect_b64 vcc, -1, 0
	s_lshl_b32 s0, s11, 24
	v_cndmask_b32_e32 v2, v3, v2, vcc
	s_and_b32 s0, s0, 0x80000000
	v_or_b32_e32 v2, s0, v2
	v_cvt_f64_f32_e32 v[2:3], v2
	v_mov_b32_e32 v4, 0
	v_mov_b32_e32 v5, v4
	s_mov_b64 s[0:1], 0
	global_store_dwordx4 v[0:1], v[2:5], off
.LBB118_811:
	s_andn2_b64 vcc, exec, s[0:1]
	s_cbranch_vccnz .LBB118_813
; %bb.812:
	s_lshl_b32 s0, s11, 8
	s_lshl_b32 s1, s11, 25
	s_lshr_b32 s2, s1, 4
	s_and_b32 s0, s0, 0x7f00
	s_or_b32 s2, s2, 0x70000000
	s_or_b32 s0, s0, 0.5
	s_cmp_lt_u32 s1, 0x8000000
	v_mov_b32_e32 v3, 0x7800000
	v_add_f32_e64 v2, s0, -0.5
	v_mul_f32_e32 v3, s2, v3
	s_cselect_b64 vcc, -1, 0
	s_lshl_b32 s0, s11, 24
	v_cndmask_b32_e32 v2, v3, v2, vcc
	s_and_b32 s0, s0, 0x80000000
	v_or_b32_e32 v2, s0, v2
	v_mov_b32_e32 v3, 0
	global_store_dwordx2 v[0:1], v[2:3], off
.LBB118_813:
	s_mov_b64 s[0:1], 0
.LBB118_814:
	s_andn2_b64 vcc, exec, s[0:1]
	s_cbranch_vccnz .LBB118_816
; %bb.815:
	s_lshl_b32 s0, s11, 8
	s_lshl_b32 s1, s11, 25
	s_lshr_b32 s2, s1, 4
	s_and_b32 s0, s0, 0x7f00
	s_or_b32 s2, s2, 0x70000000
	s_or_b32 s0, s0, 0.5
	s_cmp_lt_u32 s1, 0x8000000
	v_mov_b32_e32 v3, 0x7800000
	v_add_f32_e64 v2, s0, -0.5
	v_mul_f32_e32 v3, s2, v3
	s_cselect_b64 vcc, -1, 0
	s_lshl_b32 s0, s11, 24
	v_cndmask_b32_e32 v2, v3, v2, vcc
	s_and_b32 s0, s0, 0x80000000
	v_or_b32_e32 v2, s0, v2
	v_cvt_f16_f32_e32 v2, v2
	global_store_dword v[0:1], v2, off
.LBB118_816:
	s_mov_b64 s[0:1], 0
.LBB118_817:
	s_andn2_b64 vcc, exec, s[0:1]
	s_cbranch_vccnz .LBB118_826
; %bb.818:
	s_sext_i32_i16 s2, s33
	s_cmp_lt_i32 s2, 6
	s_mov_b64 s[0:1], -1
	s_cbranch_scc1 .LBB118_824
; %bb.819:
	s_cmp_gt_i32 s2, 6
	s_cbranch_scc0 .LBB118_821
; %bb.820:
	s_lshl_b32 s0, s11, 8
	s_lshl_b32 s1, s11, 25
	s_lshr_b32 s2, s1, 4
	s_and_b32 s0, s0, 0x7f00
	s_or_b32 s2, s2, 0x70000000
	s_or_b32 s0, s0, 0.5
	s_cmp_lt_u32 s1, 0x8000000
	v_mov_b32_e32 v3, 0x7800000
	v_add_f32_e64 v2, s0, -0.5
	v_mul_f32_e32 v3, s2, v3
	s_cselect_b64 vcc, -1, 0
	s_lshl_b32 s0, s11, 24
	v_cndmask_b32_e32 v2, v3, v2, vcc
	s_and_b32 s0, s0, 0x80000000
	v_or_b32_e32 v2, s0, v2
	v_cvt_f64_f32_e32 v[2:3], v2
	s_mov_b64 s[0:1], 0
	global_store_dwordx2 v[0:1], v[2:3], off
.LBB118_821:
	s_andn2_b64 vcc, exec, s[0:1]
	s_cbranch_vccnz .LBB118_823
; %bb.822:
	s_lshl_b32 s0, s11, 8
	s_lshl_b32 s1, s11, 25
	s_lshr_b32 s2, s1, 4
	s_and_b32 s0, s0, 0x7f00
	s_or_b32 s2, s2, 0x70000000
	s_or_b32 s0, s0, 0.5
	s_cmp_lt_u32 s1, 0x8000000
	v_mov_b32_e32 v3, 0x7800000
	v_add_f32_e64 v2, s0, -0.5
	v_mul_f32_e32 v3, s2, v3
	s_cselect_b64 vcc, -1, 0
	s_lshl_b32 s0, s11, 24
	v_cndmask_b32_e32 v2, v3, v2, vcc
	s_and_b32 s0, s0, 0x80000000
	v_or_b32_e32 v2, s0, v2
	global_store_dword v[0:1], v2, off
.LBB118_823:
	s_mov_b64 s[0:1], 0
.LBB118_824:
	s_andn2_b64 vcc, exec, s[0:1]
	s_cbranch_vccnz .LBB118_826
; %bb.825:
	s_lshl_b32 s0, s11, 8
	s_lshl_b32 s1, s11, 25
	s_lshr_b32 s2, s1, 4
	s_and_b32 s0, s0, 0x7f00
	s_or_b32 s2, s2, 0x70000000
	s_or_b32 s0, s0, 0.5
	s_cmp_lt_u32 s1, 0x8000000
	v_mov_b32_e32 v3, 0x7800000
	v_add_f32_e64 v2, s0, -0.5
	v_mul_f32_e32 v3, s2, v3
	s_cselect_b64 vcc, -1, 0
	s_lshl_b32 s0, s11, 24
	v_cndmask_b32_e32 v2, v3, v2, vcc
	s_and_b32 s0, s0, 0x80000000
	v_or_b32_e32 v2, s0, v2
	v_cvt_f16_f32_e32 v2, v2
	global_store_short v[0:1], v2, off
.LBB118_826:
	s_mov_b64 s[0:1], 0
.LBB118_827:
	s_andn2_b64 vcc, exec, s[0:1]
	s_cbranch_vccnz .LBB118_843
; %bb.828:
	s_sext_i32_i16 s2, s33
	s_cmp_lt_i32 s2, 2
	s_mov_b64 s[0:1], -1
	s_cbranch_scc1 .LBB118_838
; %bb.829:
	s_cmp_lt_i32 s2, 3
	s_cbranch_scc1 .LBB118_835
; %bb.830:
	s_cmp_gt_i32 s2, 3
	s_cbranch_scc0 .LBB118_832
; %bb.831:
	s_lshl_b32 s0, s11, 8
	s_lshl_b32 s1, s11, 25
	s_lshr_b32 s2, s1, 4
	s_and_b32 s0, s0, 0x7f00
	s_or_b32 s2, s2, 0x70000000
	s_or_b32 s0, s0, 0.5
	s_cmp_lt_u32 s1, 0x8000000
	v_mov_b32_e32 v3, 0x7800000
	v_add_f32_e64 v2, s0, -0.5
	v_mul_f32_e32 v3, s2, v3
	s_cselect_b64 vcc, -1, 0
	s_lshl_b32 s0, s11, 24
	v_cndmask_b32_e32 v2, v3, v2, vcc
	s_and_b32 s0, s0, 0x80000000
	v_or_b32_e32 v2, s0, v2
	v_trunc_f32_e32 v2, v2
	s_mov_b32 s0, 0x2f800000
	v_mul_f32_e64 v3, |v2|, s0
	v_floor_f32_e32 v3, v3
	s_mov_b32 s0, 0xcf800000
	v_fma_f32 v4, v3, s0, |v2|
	v_cvt_u32_f32_e32 v4, v4
	v_cvt_u32_f32_e32 v3, v3
	v_ashrrev_i32_e32 v5, 31, v2
	s_mov_b64 s[0:1], 0
	v_xor_b32_e32 v2, v4, v5
	v_xor_b32_e32 v3, v3, v5
	v_sub_co_u32_e32 v2, vcc, v2, v5
	v_subb_co_u32_e32 v3, vcc, v3, v5, vcc
	global_store_dwordx2 v[0:1], v[2:3], off
.LBB118_832:
	s_andn2_b64 vcc, exec, s[0:1]
	s_cbranch_vccnz .LBB118_834
; %bb.833:
	s_lshl_b32 s0, s11, 8
	s_lshl_b32 s1, s11, 25
	s_lshr_b32 s2, s1, 4
	s_and_b32 s0, s0, 0x7f00
	s_or_b32 s2, s2, 0x70000000
	s_or_b32 s0, s0, 0.5
	s_cmp_lt_u32 s1, 0x8000000
	v_mov_b32_e32 v3, 0x7800000
	v_add_f32_e64 v2, s0, -0.5
	v_mul_f32_e32 v3, s2, v3
	s_cselect_b64 vcc, -1, 0
	s_lshl_b32 s0, s11, 24
	v_cndmask_b32_e32 v2, v3, v2, vcc
	s_and_b32 s0, s0, 0x80000000
	v_or_b32_e32 v2, s0, v2
	v_cvt_i32_f32_e32 v2, v2
	global_store_dword v[0:1], v2, off
.LBB118_834:
	s_mov_b64 s[0:1], 0
.LBB118_835:
	s_andn2_b64 vcc, exec, s[0:1]
	s_cbranch_vccnz .LBB118_837
; %bb.836:
	s_lshl_b32 s0, s11, 8
	s_lshl_b32 s1, s11, 25
	s_lshr_b32 s2, s1, 4
	s_and_b32 s0, s0, 0x7f00
	s_or_b32 s2, s2, 0x70000000
	s_or_b32 s0, s0, 0.5
	s_cmp_lt_u32 s1, 0x8000000
	v_mov_b32_e32 v3, 0x7800000
	v_add_f32_e64 v2, s0, -0.5
	v_mul_f32_e32 v3, s2, v3
	s_cselect_b64 vcc, -1, 0
	s_lshl_b32 s0, s11, 24
	v_cndmask_b32_e32 v2, v3, v2, vcc
	s_and_b32 s0, s0, 0x80000000
	v_or_b32_e32 v2, s0, v2
	v_cvt_i32_f32_e32 v2, v2
	global_store_short v[0:1], v2, off
.LBB118_837:
	s_mov_b64 s[0:1], 0
.LBB118_838:
	s_andn2_b64 vcc, exec, s[0:1]
	s_cbranch_vccnz .LBB118_843
; %bb.839:
	s_sext_i32_i16 s0, s33
	s_cmp_gt_i32 s0, 0
	s_mov_b64 s[0:1], -1
	s_cbranch_scc0 .LBB118_841
; %bb.840:
	s_lshl_b32 s0, s11, 8
	s_lshl_b32 s1, s11, 25
	s_lshr_b32 s2, s1, 4
	s_and_b32 s0, s0, 0x7f00
	s_or_b32 s2, s2, 0x70000000
	s_or_b32 s0, s0, 0.5
	s_cmp_lt_u32 s1, 0x8000000
	v_mov_b32_e32 v3, 0x7800000
	v_add_f32_e64 v2, s0, -0.5
	v_mul_f32_e32 v3, s2, v3
	s_cselect_b64 vcc, -1, 0
	s_lshl_b32 s0, s11, 24
	v_cndmask_b32_e32 v2, v3, v2, vcc
	s_and_b32 s0, s0, 0x80000000
	v_or_b32_e32 v2, s0, v2
	v_cvt_i32_f32_e32 v2, v2
	s_mov_b64 s[0:1], 0
	global_store_byte v[0:1], v2, off
.LBB118_841:
	s_andn2_b64 vcc, exec, s[0:1]
	s_cbranch_vccnz .LBB118_843
; %bb.842:
	s_lshl_b32 s0, s11, 8
	s_lshl_b32 s1, s11, 25
	s_lshr_b32 s2, s1, 4
	s_and_b32 s0, s0, 0x7f00
	s_or_b32 s2, s2, 0x70000000
	s_or_b32 s0, s0, 0.5
	s_cmp_lt_u32 s1, 0x8000000
	v_mov_b32_e32 v3, 0x7800000
	v_add_f32_e64 v2, s0, -0.5
	v_mul_f32_e32 v3, s2, v3
	s_cselect_b64 vcc, -1, 0
	s_lshl_b32 s0, s11, 24
	v_cndmask_b32_e32 v2, v3, v2, vcc
	s_and_b32 s0, s0, 0x80000000
	v_or_b32_e32 v2, s0, v2
	v_trunc_f32_e32 v2, v2
	s_mov_b32 s0, 0x2f800000
	v_mul_f32_e64 v3, |v2|, s0
	v_floor_f32_e32 v3, v3
	s_mov_b32 s0, 0xcf800000
	v_fma_f32 v3, v3, s0, |v2|
	v_cvt_u32_f32_e32 v3, v3
	v_ashrrev_i32_e32 v2, 31, v2
	v_xor_b32_e32 v3, v3, v2
	v_sub_u32_e32 v2, v3, v2
	global_store_byte v[0:1], v2, off
	s_endpgm
.LBB118_843:
	s_endpgm
.LBB118_844:
	s_trap 2
	s_or_b64 s[4:5], s[4:5], exec
	s_cbranch_execz .LBB118_762
	s_branch .LBB118_763
.LBB118_845:
	s_mov_b64 s[12:13], -1
	s_mov_b64 s[8:9], 0
                                        ; implicit-def: $vgpr2
.LBB118_846:
	s_andn2_b64 vcc, exec, s[12:13]
	s_cbranch_vccnz .LBB118_848
; %bb.847:
	v_mov_b32_e32 v2, 0x42800000
	v_add_f32_e64 v2, |s10|, v2
	v_and_b32_e32 v2, 0xff, v2
	v_cmp_ne_u32_e64 s[8:9], 0, v2
.LBB118_848:
	s_andn2_b64 vcc, exec, s[8:9]
	v_mov_b32_e32 v3, 0
	s_cbranch_vccnz .LBB118_850
; %bb.849:
	s_lshr_b32 s8, s10, 24
	s_and_b32 s8, s8, 0x80
	v_or_b32_e32 v3, s8, v2
.LBB118_850:
	s_mov_b64 s[8:9], 0
	global_store_byte v[0:1], v3, off
.LBB118_851:
	s_and_b64 vcc, exec, s[8:9]
	s_cbranch_vccz .LBB118_863
; %bb.852:
	s_lshl_b32 s8, s11, 8
	s_lshl_b32 s9, s11, 25
	s_lshr_b32 s10, s9, 4
	s_and_b32 s8, s8, 0x7f00
	s_or_b32 s10, s10, 0x70000000
	s_or_b32 s8, s8, 0.5
	s_cmp_lt_u32 s9, 0x8000000
	v_mov_b32_e32 v3, 0x7800000
	v_add_f32_e64 v2, s8, -0.5
	v_mul_f32_e32 v3, s10, v3
	s_cselect_b64 vcc, -1, 0
	v_cndmask_b32_e32 v2, v3, v2, vcc
	s_lshl_b32 s9, s11, 24
	v_readfirstlane_b32 s8, v2
	s_and_b32 s9, s9, 0x80000000
	s_or_b32 s10, s9, s8
	s_and_b32 s12, s10, 0x7fffffff
	s_cmp_lt_u32 s12, 0x43f00000
	s_cbranch_scc0 .LBB118_855
; %bb.853:
	s_cmp_gt_u32 s12, 0x3c7fffff
	s_cbranch_scc0 .LBB118_856
; %bb.854:
	s_bfe_u32 s8, s8, 0x10014
	s_add_i32 s8, s10, s8
	s_add_i32 s8, s8, 0x407ffff
	s_lshr_b32 s9, s8, 20
	s_and_b32 s8, s8, 0xff00000
	s_cmp_lg_u32 s8, 0x7f00000
	s_cselect_b32 s13, s9, 0x7e
	s_mov_b64 s[8:9], 0
	s_branch .LBB118_857
.LBB118_855:
	s_mov_b64 s[8:9], -1
                                        ; implicit-def: $vgpr2
	s_branch .LBB118_860
.LBB118_856:
	s_mov_b64 s[8:9], -1
                                        ; implicit-def: $sgpr13
.LBB118_857:
	s_andn2_b64 vcc, exec, s[8:9]
	v_mov_b32_e32 v2, s13
	s_cbranch_vccnz .LBB118_859
; %bb.858:
	v_mov_b32_e32 v2, 0x46800000
	v_add_f32_e64 v2, |s10|, v2
.LBB118_859:
	s_mov_b64 s[8:9], 0
.LBB118_860:
	s_andn2_b64 vcc, exec, s[8:9]
	s_cbranch_vccnz .LBB118_862
; %bb.861:
	s_cmp_gt_u32 s12, 0x7f800000
	s_movk_i32 s8, 0x7f
	s_cselect_b32 s8, s8, 0x7e
	v_mov_b32_e32 v2, s8
.LBB118_862:
	s_lshr_b32 s8, s10, 24
	s_and_b32 s8, s8, 0x80
	v_or_b32_e32 v2, s8, v2
	global_store_byte v[0:1], v2, off
.LBB118_863:
	s_mov_b64 s[8:9], 0
.LBB118_864:
	s_andn2_b64 vcc, exec, s[8:9]
	s_cbranch_vccnz .LBB118_866
; %bb.865:
	v_mov_b32_e32 v2, s11
	global_store_byte v[0:1], v2, off
.LBB118_866:
	s_mov_b64 s[8:9], 0
.LBB118_867:
	s_andn2_b64 vcc, exec, s[8:9]
	s_mov_b64 s[8:9], 0
	s_cbranch_vccnz .LBB118_874
; %bb.868:
	s_cmp_gt_i32 s18, 14
	s_mov_b64 s[12:13], -1
	s_cbranch_scc0 .LBB118_872
; %bb.869:
	s_cmp_eq_u32 s18, 15
	s_mov_b64 s[6:7], -1
	s_cbranch_scc0 .LBB118_871
; %bb.870:
	s_lshl_b32 s6, s11, 8
	s_lshl_b32 s7, s11, 25
	s_lshr_b32 s8, s7, 4
	s_and_b32 s6, s6, 0x7f00
	s_or_b32 s8, s8, 0x70000000
	s_or_b32 s6, s6, 0.5
	s_cmp_lt_u32 s7, 0x8000000
	v_mov_b32_e32 v3, 0x7800000
	v_add_f32_e64 v2, s6, -0.5
	v_mul_f32_e32 v3, s8, v3
	s_cselect_b64 vcc, -1, 0
	s_lshl_b32 s6, s11, 24
	v_cndmask_b32_e32 v2, v3, v2, vcc
	s_and_b32 s6, s6, 0x80000000
	v_or_b32_e32 v3, s6, v2
	v_bfe_u32 v2, v2, 16, 1
	v_add_u32_e32 v2, v3, v2
	v_add_u32_e32 v2, 0x7fff, v2
	v_cmp_o_f32_e32 vcc, v3, v3
	v_mov_b32_e32 v3, 0x7fc0
	v_cndmask_b32_sdwa v2, v3, v2, vcc dst_sel:DWORD dst_unused:UNUSED_PAD src0_sel:DWORD src1_sel:WORD_1
	global_store_short v[0:1], v2, off
	s_mov_b64 s[6:7], 0
.LBB118_871:
	s_mov_b64 s[12:13], 0
.LBB118_872:
	s_mov_b64 s[8:9], 0
	s_and_b64 vcc, exec, s[12:13]
	s_cbranch_vccz .LBB118_874
; %bb.873:
	s_cmp_lg_u32 s18, 11
	s_mov_b64 s[8:9], -1
	s_cselect_b64 s[6:7], -1, 0
.LBB118_874:
	s_and_b64 vcc, exec, s[6:7]
	s_cbranch_vccnz .LBB118_876
.LBB118_875:
	s_mov_b64 s[6:7], 0
	s_branch .LBB118_803
.LBB118_876:
	s_mov_b64 s[8:9], 0
	s_or_b64 s[4:5], s[4:5], exec
	s_trap 2
	s_branch .LBB118_875
	.section	.rodata,"a",@progbits
	.p2align	6, 0x0
	.amdhsa_kernel _ZN2at6native32elementwise_kernel_manual_unrollILi128ELi4EZNS0_15gpu_kernel_implINS0_11FillFunctorIN3c1011Float8_e5m2EEEEEvRNS_18TensorIteratorBaseERKT_EUlibE_EEviT1_
		.amdhsa_group_segment_fixed_size 0
		.amdhsa_private_segment_fixed_size 0
		.amdhsa_kernarg_size 24
		.amdhsa_user_sgpr_count 6
		.amdhsa_user_sgpr_private_segment_buffer 1
		.amdhsa_user_sgpr_dispatch_ptr 0
		.amdhsa_user_sgpr_queue_ptr 0
		.amdhsa_user_sgpr_kernarg_segment_ptr 1
		.amdhsa_user_sgpr_dispatch_id 0
		.amdhsa_user_sgpr_flat_scratch_init 0
		.amdhsa_user_sgpr_private_segment_size 0
		.amdhsa_uses_dynamic_stack 0
		.amdhsa_system_sgpr_private_segment_wavefront_offset 0
		.amdhsa_system_sgpr_workgroup_id_x 1
		.amdhsa_system_sgpr_workgroup_id_y 0
		.amdhsa_system_sgpr_workgroup_id_z 0
		.amdhsa_system_sgpr_workgroup_info 0
		.amdhsa_system_vgpr_workitem_id 0
		.amdhsa_next_free_vgpr 20
		.amdhsa_next_free_sgpr 54
		.amdhsa_reserve_vcc 1
		.amdhsa_reserve_flat_scratch 0
		.amdhsa_float_round_mode_32 0
		.amdhsa_float_round_mode_16_64 0
		.amdhsa_float_denorm_mode_32 3
		.amdhsa_float_denorm_mode_16_64 3
		.amdhsa_dx10_clamp 1
		.amdhsa_ieee_mode 1
		.amdhsa_fp16_overflow 0
		.amdhsa_exception_fp_ieee_invalid_op 0
		.amdhsa_exception_fp_denorm_src 0
		.amdhsa_exception_fp_ieee_div_zero 0
		.amdhsa_exception_fp_ieee_overflow 0
		.amdhsa_exception_fp_ieee_underflow 0
		.amdhsa_exception_fp_ieee_inexact 0
		.amdhsa_exception_int_div_zero 0
	.end_amdhsa_kernel
	.section	.text._ZN2at6native32elementwise_kernel_manual_unrollILi128ELi4EZNS0_15gpu_kernel_implINS0_11FillFunctorIN3c1011Float8_e5m2EEEEEvRNS_18TensorIteratorBaseERKT_EUlibE_EEviT1_,"axG",@progbits,_ZN2at6native32elementwise_kernel_manual_unrollILi128ELi4EZNS0_15gpu_kernel_implINS0_11FillFunctorIN3c1011Float8_e5m2EEEEEvRNS_18TensorIteratorBaseERKT_EUlibE_EEviT1_,comdat
.Lfunc_end118:
	.size	_ZN2at6native32elementwise_kernel_manual_unrollILi128ELi4EZNS0_15gpu_kernel_implINS0_11FillFunctorIN3c1011Float8_e5m2EEEEEvRNS_18TensorIteratorBaseERKT_EUlibE_EEviT1_, .Lfunc_end118-_ZN2at6native32elementwise_kernel_manual_unrollILi128ELi4EZNS0_15gpu_kernel_implINS0_11FillFunctorIN3c1011Float8_e5m2EEEEEvRNS_18TensorIteratorBaseERKT_EUlibE_EEviT1_
                                        ; -- End function
	.set _ZN2at6native32elementwise_kernel_manual_unrollILi128ELi4EZNS0_15gpu_kernel_implINS0_11FillFunctorIN3c1011Float8_e5m2EEEEEvRNS_18TensorIteratorBaseERKT_EUlibE_EEviT1_.num_vgpr, 20
	.set _ZN2at6native32elementwise_kernel_manual_unrollILi128ELi4EZNS0_15gpu_kernel_implINS0_11FillFunctorIN3c1011Float8_e5m2EEEEEvRNS_18TensorIteratorBaseERKT_EUlibE_EEviT1_.num_agpr, 0
	.set _ZN2at6native32elementwise_kernel_manual_unrollILi128ELi4EZNS0_15gpu_kernel_implINS0_11FillFunctorIN3c1011Float8_e5m2EEEEEvRNS_18TensorIteratorBaseERKT_EUlibE_EEviT1_.numbered_sgpr, 54
	.set _ZN2at6native32elementwise_kernel_manual_unrollILi128ELi4EZNS0_15gpu_kernel_implINS0_11FillFunctorIN3c1011Float8_e5m2EEEEEvRNS_18TensorIteratorBaseERKT_EUlibE_EEviT1_.num_named_barrier, 0
	.set _ZN2at6native32elementwise_kernel_manual_unrollILi128ELi4EZNS0_15gpu_kernel_implINS0_11FillFunctorIN3c1011Float8_e5m2EEEEEvRNS_18TensorIteratorBaseERKT_EUlibE_EEviT1_.private_seg_size, 0
	.set _ZN2at6native32elementwise_kernel_manual_unrollILi128ELi4EZNS0_15gpu_kernel_implINS0_11FillFunctorIN3c1011Float8_e5m2EEEEEvRNS_18TensorIteratorBaseERKT_EUlibE_EEviT1_.uses_vcc, 1
	.set _ZN2at6native32elementwise_kernel_manual_unrollILi128ELi4EZNS0_15gpu_kernel_implINS0_11FillFunctorIN3c1011Float8_e5m2EEEEEvRNS_18TensorIteratorBaseERKT_EUlibE_EEviT1_.uses_flat_scratch, 0
	.set _ZN2at6native32elementwise_kernel_manual_unrollILi128ELi4EZNS0_15gpu_kernel_implINS0_11FillFunctorIN3c1011Float8_e5m2EEEEEvRNS_18TensorIteratorBaseERKT_EUlibE_EEviT1_.has_dyn_sized_stack, 0
	.set _ZN2at6native32elementwise_kernel_manual_unrollILi128ELi4EZNS0_15gpu_kernel_implINS0_11FillFunctorIN3c1011Float8_e5m2EEEEEvRNS_18TensorIteratorBaseERKT_EUlibE_EEviT1_.has_recursion, 0
	.set _ZN2at6native32elementwise_kernel_manual_unrollILi128ELi4EZNS0_15gpu_kernel_implINS0_11FillFunctorIN3c1011Float8_e5m2EEEEEvRNS_18TensorIteratorBaseERKT_EUlibE_EEviT1_.has_indirect_call, 0
	.section	.AMDGPU.csdata,"",@progbits
; Kernel info:
; codeLenInByte = 18824
; TotalNumSgprs: 58
; NumVgprs: 20
; ScratchSize: 0
; MemoryBound: 0
; FloatMode: 240
; IeeeMode: 1
; LDSByteSize: 0 bytes/workgroup (compile time only)
; SGPRBlocks: 7
; VGPRBlocks: 4
; NumSGPRsForWavesPerEU: 58
; NumVGPRsForWavesPerEU: 20
; Occupancy: 10
; WaveLimiterHint : 0
; COMPUTE_PGM_RSRC2:SCRATCH_EN: 0
; COMPUTE_PGM_RSRC2:USER_SGPR: 6
; COMPUTE_PGM_RSRC2:TRAP_HANDLER: 0
; COMPUTE_PGM_RSRC2:TGID_X_EN: 1
; COMPUTE_PGM_RSRC2:TGID_Y_EN: 0
; COMPUTE_PGM_RSRC2:TGID_Z_EN: 0
; COMPUTE_PGM_RSRC2:TIDIG_COMP_CNT: 0
	.section	.text._ZN2at6native32elementwise_kernel_manual_unrollILi128ELi4EZNS0_15gpu_kernel_implINS0_11FillFunctorIN3c1011Float8_e5m2EEEEEvRNS_18TensorIteratorBaseERKT_EUlibE0_EEviT1_,"axG",@progbits,_ZN2at6native32elementwise_kernel_manual_unrollILi128ELi4EZNS0_15gpu_kernel_implINS0_11FillFunctorIN3c1011Float8_e5m2EEEEEvRNS_18TensorIteratorBaseERKT_EUlibE0_EEviT1_,comdat
	.protected	_ZN2at6native32elementwise_kernel_manual_unrollILi128ELi4EZNS0_15gpu_kernel_implINS0_11FillFunctorIN3c1011Float8_e5m2EEEEEvRNS_18TensorIteratorBaseERKT_EUlibE0_EEviT1_ ; -- Begin function _ZN2at6native32elementwise_kernel_manual_unrollILi128ELi4EZNS0_15gpu_kernel_implINS0_11FillFunctorIN3c1011Float8_e5m2EEEEEvRNS_18TensorIteratorBaseERKT_EUlibE0_EEviT1_
	.globl	_ZN2at6native32elementwise_kernel_manual_unrollILi128ELi4EZNS0_15gpu_kernel_implINS0_11FillFunctorIN3c1011Float8_e5m2EEEEEvRNS_18TensorIteratorBaseERKT_EUlibE0_EEviT1_
	.p2align	8
	.type	_ZN2at6native32elementwise_kernel_manual_unrollILi128ELi4EZNS0_15gpu_kernel_implINS0_11FillFunctorIN3c1011Float8_e5m2EEEEEvRNS_18TensorIteratorBaseERKT_EUlibE0_EEviT1_,@function
_ZN2at6native32elementwise_kernel_manual_unrollILi128ELi4EZNS0_15gpu_kernel_implINS0_11FillFunctorIN3c1011Float8_e5m2EEEEEvRNS_18TensorIteratorBaseERKT_EUlibE0_EEviT1_: ; @_ZN2at6native32elementwise_kernel_manual_unrollILi128ELi4EZNS0_15gpu_kernel_implINS0_11FillFunctorIN3c1011Float8_e5m2EEEEEvRNS_18TensorIteratorBaseERKT_EUlibE0_EEviT1_
; %bb.0:
	s_load_dword s83, s[4:5], 0x0
	s_load_dword s33, s[4:5], 0x8
	s_add_u32 s28, s4, 8
	s_addc_u32 s29, s5, 0
	v_lshl_or_b32 v11, s6, 9, v0
	v_or_b32_e32 v8, 0x180, v11
	s_waitcnt lgkmcnt(0)
	s_add_i32 s74, s33, -1
	s_cmp_gt_u32 s74, 1
	v_cmp_le_i32_e32 vcc, s83, v8
	s_cselect_b64 s[30:31], -1, 0
	s_mov_b64 s[6:7], 0
	s_mov_b64 s[20:21], 0
	s_and_saveexec_b64 s[0:1], vcc
	s_xor_b64 s[34:35], exec, s[0:1]
	s_cbranch_execz .LBB119_462
; %bb.1:
	s_cmp_lg_u32 s33, 0
	s_cselect_b64 s[58:59], -1, 0
	s_add_u32 s56, s28, 0xc4
	s_load_dwordx2 s[50:51], s[28:29], 0xc4
	s_load_dwordx2 s[48:49], s[28:29], 0x108
	s_load_dword s77, s[28:29], 0x110
	s_load_dwordx4 s[16:19], s[28:29], 0x4
	s_load_dwordx2 s[52:53], s[28:29], 0x14
	s_addc_u32 s57, s29, 0
	s_min_u32 s84, s74, 15
	s_cmp_gt_u32 s33, 1
	s_cselect_b64 s[54:55], -1, 0
	s_waitcnt lgkmcnt(0)
	s_lshl_b32 s1, s77, 25
	s_lshr_b32 s2, s1, 4
	s_and_b32 s0, s77, 0xffff
	s_bfe_u32 s75, s77, 0x80008
	s_or_b32 s2, s2, 0x70000000
	s_cmp_lt_u32 s1, 0x8000000
	s_cselect_b64 vcc, -1, 0
	s_lshl_b32 s0, s0, 8
	s_and_b32 s0, s0, 0x7f00
	v_mov_b32_e32 v0, 0x7800000
	s_or_b32 s0, s0, 0.5
	v_mul_f32_e32 v0, s2, v0
	v_add_f32_e64 v1, s0, -0.5
	s_lshl_b32 s1, s77, 24
	v_cndmask_b32_e32 v0, v0, v1, vcc
	s_and_b32 s1, s1, 0x80000000
	v_readfirstlane_b32 s8, v0
	s_or_b32 s76, s1, s8
	v_trunc_f32_e32 v2, s76
	v_mul_f32_e32 v1, 0x2f800000, v2
	v_floor_f32_e32 v1, v1
	v_mov_b32_e32 v3, v2
	v_fmac_f32_e32 v3, 0xcf800000, v1
	v_and_b32_e32 v4, 0x400000, v0
	v_cvt_u32_f32_e32 v6, v3
	v_bfe_u32 v3, v0, 23, 8
	s_movk_i32 s0, 0xff
	v_cmp_ne_u32_e32 vcc, 0, v4
	v_and_b32_e32 v4, 0x3fffff, v0
	v_cmp_eq_u32_e64 s[4:5], s0, v3
	v_or_b32_e32 v3, v3, v4
	v_cmp_ne_u32_e64 s[0:1], 0, v3
	s_and_b64 s[0:1], vcc, s[0:1]
	v_cvt_u32_f32_e32 v7, v1
	v_lshrrev_b32_e32 v1, 23, v0
	v_cndmask_b32_e64 v3, 0, 1, s[0:1]
	v_add_u32_e32 v19, v1, v3
	s_and_b32 s11, s76, 0x7fffffff
	v_mov_b32_e32 v1, 0x46000000
	s_cmp_lt_u32 s11, 0x43800000
	v_add_f32_e64 v17, |s76|, v1
	v_bfe_u32 v1, v0, 21, 1
	s_cselect_b64 s[44:45], -1, 0
	s_cmp_gt_u32 s11, 0x3bffffff
	v_add_u32_e32 v1, s76, v1
	s_cselect_b64 s[2:3], -1, 0
	s_bfe_u32 s0, s8, 0x10014
	v_add_u32_e32 v1, 0x88fffff, v1
	s_add_i32 s8, s76, s0
	v_lshrrev_b32_e32 v15, 21, v1
	v_mov_b32_e32 v1, 0x42800000
	s_add_i32 s0, s8, 0x487ffff
	v_add_f32_e64 v16, |s76|, v1
	v_mov_b32_e32 v1, 0x46800000
	s_lshr_b32 s82, s0, 20
	v_readfirstlane_b32 s0, v17
	v_add_f32_e64 v1, |s76|, v1
	s_and_b32 s0, s0, 0xff
	v_readfirstlane_b32 s80, v1
	v_bfe_u32 v1, v0, 16, 1
	s_cmp_lg_u32 s0, 0
	v_add_u32_e32 v1, s76, v1
	s_cselect_b64 s[46:47], -1, 0
	s_lshr_b32 s0, s76, 24
	v_add_u32_e32 v1, 0x7fff, v1
	s_mov_b32 s9, 0x2f800000
	s_and_b32 s78, s0, 0x80
	v_lshrrev_b32_e32 v1, 16, v1
	v_mov_b32_e32 v3, 0x7fc0
	v_cmp_o_f32_e64 vcc, s76, s76
	s_cmp_lt_u32 s11, 0x47800000
	v_cndmask_b32_e32 v14, v3, v1, vcc
	v_mul_f32_e64 v3, |v2|, s9
	s_mov_b32 s10, 0xcf800000
	s_cselect_b64 s[40:41], -1, 0
	s_cmp_gt_u32 s11, 0x37ffffff
	v_readfirstlane_b32 s12, v16
	v_floor_f32_e32 v3, v3
	s_cselect_b64 s[0:1], -1, 0
	s_and_b32 s12, s12, 0xff
	v_fma_f32 v4, v3, s10, |v2|
	s_cmp_lg_u32 s12, 0
	v_cvt_u32_f32_e32 v4, v4
	s_cselect_b64 s[42:43], -1, 0
	s_cmp_gt_u32 s11, 0x43efffff
	v_cvt_u32_f32_e32 v3, v3
	s_cselect_b64 s[36:37], -1, 0
	s_cmp_lt_u32 s11, 0x3c800000
	s_cselect_b64 s[38:39], -1, 0
	s_add_i32 s8, s8, 0x407ffff
	v_ashrrev_i32_e32 v2, 31, v2
	v_cvt_u32_f32_e32 v18, s76
	s_lshr_b32 s12, s8, 20
	s_and_b32 s8, s8, 0xff00000
	v_cmp_neq_f32_e32 vcc, 0, v0
	v_cvt_f64_f32_e32 v[0:1], s76
	v_cvt_f16_f32_e32 v12, s76
	v_xor_b32_e32 v4, v4, v2
	v_cvt_i32_f32_e32 v10, s76
	s_cmp_lg_u32 s8, 0x7f00000
	v_cndmask_b32_e64 v13, 0, 1, vcc
	v_xor_b32_e32 v3, v3, v2
	v_sub_co_u32_e32 v4, vcc, v4, v2
	s_cselect_b32 s79, s12, 0x7e
	s_cmp_gt_u32 s11, 0x7f800000
	s_movk_i32 s8, 0x7f
	v_subb_co_u32_e32 v5, vcc, v3, v2, vcc
	s_cselect_b32 s81, s8, 0x7e
	v_cmp_gt_i32_e32 vcc, s83, v11
	s_mov_b64 s[10:11], -1
	s_mov_b64 s[66:67], 0
	s_mov_b64 s[60:61], 0
	s_and_saveexec_b64 s[62:63], vcc
	s_cbranch_execz .LBB119_114
; %bb.2:
	s_andn2_b64 vcc, exec, s[30:31]
	s_cbranch_vccnz .LBB119_7
; %bb.3:
	s_andn2_b64 vcc, exec, s[58:59]
	s_cbranch_vccnz .LBB119_8
; %bb.4:
	s_add_i32 s69, s84, 1
	s_cmp_eq_u32 s74, 2
	s_cbranch_scc1 .LBB119_9
; %bb.5:
	s_and_b32 s68, s69, 28
	s_mov_b32 s70, 0
	v_mov_b32_e32 v2, 0
	s_mov_b64 s[60:61], s[28:29]
	s_mov_b64 s[64:65], s[56:57]
	v_mov_b32_e32 v3, v11
.LBB119_6:                              ; =>This Inner Loop Header: Depth=1
	s_load_dwordx8 s[8:15], s[60:61], 0x4
	s_load_dwordx4 s[20:23], s[60:61], 0x24
	s_load_dwordx4 s[24:27], s[64:65], 0x0
	s_add_u32 s60, s60, 48
	s_addc_u32 s61, s61, 0
	s_waitcnt lgkmcnt(0)
	v_mul_hi_u32 v8, s9, v3
	s_add_i32 s70, s70, 4
	s_add_u32 s64, s64, 16
	s_addc_u32 s65, s65, 0
	v_add_u32_e32 v8, v3, v8
	v_lshrrev_b32_e32 v8, s10, v8
	v_mul_lo_u32 v9, v8, s8
	v_mul_hi_u32 v20, s12, v8
	s_cmp_lg_u32 s68, s70
	v_sub_u32_e32 v3, v3, v9
	v_add_u32_e32 v9, v8, v20
	v_lshrrev_b32_e32 v9, s13, v9
	v_mul_lo_u32 v20, v3, s24
	v_mul_hi_u32 v3, s15, v9
	v_mul_lo_u32 v22, v9, s11
	v_add_u32_e32 v3, v9, v3
	v_lshrrev_b32_e32 v21, s20, v3
	v_mul_hi_u32 v3, s22, v21
	v_sub_u32_e32 v8, v8, v22
	v_mul_lo_u32 v22, v21, s14
	v_mul_lo_u32 v8, v8, s25
	v_add_u32_e32 v3, v21, v3
	v_lshrrev_b32_e32 v3, s23, v3
	v_mul_lo_u32 v23, v3, s21
	v_sub_u32_e32 v9, v9, v22
	v_mul_lo_u32 v9, v9, s26
	v_add3_u32 v2, v20, v2, v8
	v_sub_u32_e32 v21, v21, v23
	v_mul_lo_u32 v21, v21, s27
	v_add3_u32 v2, v9, v2, v21
	s_cbranch_scc1 .LBB119_6
	s_branch .LBB119_10
.LBB119_7:
                                        ; implicit-def: $vgpr2
	s_branch .LBB119_14
.LBB119_8:
	v_mov_b32_e32 v2, 0
	s_branch .LBB119_13
.LBB119_9:
	v_mov_b32_e32 v2, 0
	s_mov_b32 s68, 0
	v_mov_b32_e32 v3, v11
.LBB119_10:
	s_and_b32 s12, s69, 3
	s_cmp_eq_u32 s12, 0
	s_cbranch_scc1 .LBB119_13
; %bb.11:
	s_lshl_b32 s8, s68, 2
	s_add_u32 s8, s28, s8
	s_addc_u32 s9, s29, 0
	s_add_u32 s8, s8, 0xc4
	s_addc_u32 s9, s9, 0
	s_mul_i32 s10, s68, 12
	s_add_u32 s10, s28, s10
	s_addc_u32 s11, s29, 0
.LBB119_12:                             ; =>This Inner Loop Header: Depth=1
	s_load_dwordx2 s[14:15], s[10:11], 0x4
	s_load_dword s13, s[10:11], 0xc
	s_add_u32 s10, s10, 12
	s_addc_u32 s11, s11, 0
	s_waitcnt lgkmcnt(0)
	v_mul_hi_u32 v8, s15, v3
	s_load_dword s15, s[8:9], 0x0
	s_add_u32 s8, s8, 4
	s_addc_u32 s9, s9, 0
	v_add_u32_e32 v8, v3, v8
	v_lshrrev_b32_e32 v8, s13, v8
	v_mul_lo_u32 v9, v8, s14
	s_add_i32 s12, s12, -1
	s_cmp_lg_u32 s12, 0
	v_sub_u32_e32 v3, v3, v9
	s_waitcnt lgkmcnt(0)
	v_mad_u64_u32 v[2:3], s[14:15], v3, s15, v[2:3]
	v_mov_b32_e32 v3, v8
	s_cbranch_scc1 .LBB119_12
.LBB119_13:
	s_cbranch_execnz .LBB119_16
.LBB119_14:
	v_mul_hi_u32 v2, s17, v11
	s_andn2_b64 vcc, exec, s[54:55]
	v_add_u32_e32 v2, v11, v2
	v_lshrrev_b32_e32 v3, s18, v2
	v_mul_lo_u32 v2, v3, s16
	v_sub_u32_e32 v2, v11, v2
	v_mul_lo_u32 v2, v2, s50
	s_cbranch_vccnz .LBB119_16
; %bb.15:
	v_mul_hi_u32 v8, s52, v3
	v_add_u32_e32 v8, v3, v8
	v_lshrrev_b32_e32 v8, s53, v8
	v_mul_lo_u32 v8, v8, s19
	v_sub_u32_e32 v3, v3, v8
	v_mad_u64_u32 v[2:3], s[8:9], v3, s51, v[2:3]
.LBB119_16:
	v_mov_b32_e32 v3, s49
	s_and_b32 s14, 0xffff, s75
	v_add_co_u32_e32 v8, vcc, s48, v2
	s_cmp_lt_i32 s14, 11
	v_addc_co_u32_e32 v9, vcc, 0, v3, vcc
	s_cbranch_scc1 .LBB119_23
; %bb.17:
	s_cmp_gt_i32 s14, 25
	s_cbranch_scc0 .LBB119_26
; %bb.18:
	s_cmp_gt_i32 s14, 28
	s_cbranch_scc0 .LBB119_27
	;; [unrolled: 3-line block ×4, first 2 shown]
; %bb.21:
	s_mov_b64 s[12:13], 0
	s_mov_b64 s[8:9], -1
	s_cmp_eq_u32 s14, 46
	s_mov_b64 s[10:11], 0
	s_cbranch_scc0 .LBB119_30
; %bb.22:
	global_store_dword v[8:9], v14, off
	s_mov_b64 s[10:11], -1
	s_mov_b64 s[8:9], 0
	s_branch .LBB119_30
.LBB119_23:
	s_mov_b64 s[8:9], 0
	s_mov_b64 s[10:11], 0
	s_cbranch_execnz .LBB119_74
.LBB119_24:
	s_andn2_b64 vcc, exec, s[10:11]
	s_cbranch_vccnz .LBB119_112
.LBB119_25:
	v_add_u32_e32 v11, 0x80, v11
	s_mov_b64 s[10:11], -1
	s_branch .LBB119_113
.LBB119_26:
	s_mov_b64 s[8:9], 0
	s_mov_b64 s[10:11], 0
	s_cbranch_execnz .LBB119_52
	s_branch .LBB119_73
.LBB119_27:
	s_mov_b64 s[12:13], -1
	s_mov_b64 s[8:9], 0
	s_mov_b64 s[10:11], 0
	s_branch .LBB119_38
.LBB119_28:
	s_mov_b64 s[12:13], -1
	s_mov_b64 s[8:9], 0
	s_mov_b64 s[10:11], 0
	s_branch .LBB119_34
.LBB119_29:
	s_mov_b64 s[12:13], -1
	s_mov_b64 s[8:9], 0
	s_mov_b64 s[10:11], 0
.LBB119_30:
	s_and_b64 vcc, exec, s[12:13]
	s_cbranch_vccz .LBB119_33
; %bb.31:
	s_cmp_eq_u32 s14, 44
	s_mov_b64 s[8:9], -1
	s_cbranch_scc0 .LBB119_33
; %bb.32:
	v_mov_b32_e32 v2, 0xffff
	v_cndmask_b32_e64 v2, v19, v2, s[4:5]
	global_store_byte v[8:9], v2, off
	s_mov_b64 s[10:11], -1
	s_mov_b64 s[8:9], 0
.LBB119_33:
	s_mov_b64 s[12:13], 0
.LBB119_34:
	s_and_b64 vcc, exec, s[12:13]
	s_cbranch_vccz .LBB119_37
; %bb.35:
	s_cmp_eq_u32 s14, 29
	s_mov_b64 s[8:9], -1
	s_cbranch_scc0 .LBB119_37
; %bb.36:
	global_store_dwordx2 v[8:9], v[6:7], off
	s_mov_b64 s[10:11], -1
	s_mov_b64 s[8:9], 0
.LBB119_37:
	s_mov_b64 s[12:13], 0
.LBB119_38:
	s_and_b64 vcc, exec, s[12:13]
	s_cbranch_vccz .LBB119_51
; %bb.39:
	s_cmp_lt_i32 s14, 27
	s_mov_b64 s[10:11], -1
	s_cbranch_scc1 .LBB119_45
; %bb.40:
	s_cmp_gt_i32 s14, 27
	s_cbranch_scc0 .LBB119_42
; %bb.41:
	s_mov_b64 s[10:11], 0
	global_store_dword v[8:9], v18, off
.LBB119_42:
	s_andn2_b64 vcc, exec, s[10:11]
	s_cbranch_vccnz .LBB119_44
; %bb.43:
	global_store_short v[8:9], v18, off
.LBB119_44:
	s_mov_b64 s[10:11], 0
.LBB119_45:
	s_andn2_b64 vcc, exec, s[10:11]
	s_cbranch_vccnz .LBB119_50
; %bb.46:
	s_andn2_b64 vcc, exec, s[44:45]
	v_mov_b32_e32 v2, 0x80
	s_cbranch_vccnz .LBB119_49
; %bb.47:
	s_or_b64 s[10:11], s[2:3], s[46:47]
	s_andn2_b64 vcc, exec, s[10:11]
	v_mov_b32_e32 v2, 0
	s_cbranch_vccnz .LBB119_49
; %bb.48:
	v_mov_b32_e32 v2, s82
	v_cndmask_b32_e64 v2, v17, v2, s[2:3]
	v_or_b32_e32 v2, s78, v2
.LBB119_49:
	global_store_byte v[8:9], v2, off
.LBB119_50:
	s_mov_b64 s[10:11], -1
.LBB119_51:
	s_branch .LBB119_73
.LBB119_52:
	s_cmp_gt_i32 s14, 22
	s_mov_b64 s[12:13], -1
	s_cbranch_scc0 .LBB119_65
; %bb.53:
	s_cmp_lt_i32 s14, 24
	s_mov_b64 s[10:11], -1
	s_cbranch_scc1 .LBB119_62
; %bb.54:
	s_cmp_gt_i32 s14, 24
	s_cbranch_scc0 .LBB119_59
; %bb.55:
	s_andn2_b64 vcc, exec, s[40:41]
	v_mov_b32_e32 v2, 0x80
	s_cbranch_vccnz .LBB119_58
; %bb.56:
	s_or_b64 s[10:11], s[0:1], s[42:43]
	s_andn2_b64 vcc, exec, s[10:11]
	v_mov_b32_e32 v2, 0
	s_cbranch_vccnz .LBB119_58
; %bb.57:
	v_cndmask_b32_e64 v2, v16, v15, s[0:1]
	v_or_b32_e32 v2, s78, v2
.LBB119_58:
	s_mov_b64 s[10:11], 0
	global_store_byte v[8:9], v2, off
.LBB119_59:
	s_and_b64 vcc, exec, s[10:11]
	s_cbranch_vccz .LBB119_61
; %bb.60:
	s_and_b64 s[10:11], s[38:39], exec
	s_cselect_b32 s12, s80, s79
	s_and_b64 s[10:11], s[36:37], exec
	s_cselect_b32 s10, s81, s12
	s_or_b32 s10, s10, s78
	v_mov_b32_e32 v2, s10
	global_store_byte v[8:9], v2, off
.LBB119_61:
	s_mov_b64 s[10:11], 0
.LBB119_62:
	s_andn2_b64 vcc, exec, s[10:11]
	s_cbranch_vccnz .LBB119_64
; %bb.63:
	v_mov_b32_e32 v2, s77
	global_store_byte v[8:9], v2, off
.LBB119_64:
	s_mov_b64 s[12:13], 0
	s_mov_b64 s[10:11], -1
.LBB119_65:
	s_andn2_b64 vcc, exec, s[12:13]
	s_cbranch_vccnz .LBB119_73
; %bb.66:
	s_cmp_gt_i32 s14, 14
	s_mov_b64 s[12:13], -1
	s_cbranch_scc0 .LBB119_70
; %bb.67:
	s_cmp_eq_u32 s14, 15
	s_mov_b64 s[8:9], -1
	s_cbranch_scc0 .LBB119_69
; %bb.68:
	global_store_short v[8:9], v14, off
	s_mov_b64 s[10:11], -1
	s_mov_b64 s[8:9], 0
.LBB119_69:
	s_mov_b64 s[12:13], 0
.LBB119_70:
	s_and_b64 vcc, exec, s[12:13]
	s_cbranch_vccz .LBB119_73
; %bb.71:
	s_cmp_eq_u32 s14, 11
	s_mov_b64 s[8:9], -1
	s_cbranch_scc0 .LBB119_73
; %bb.72:
	s_mov_b64 s[10:11], -1
	s_mov_b64 s[8:9], 0
	global_store_byte v[8:9], v13, off
.LBB119_73:
	s_branch .LBB119_24
.LBB119_74:
	s_cmp_lt_i32 s14, 5
	s_mov_b64 s[10:11], -1
	s_cbranch_scc1 .LBB119_95
; %bb.75:
	s_cmp_lt_i32 s14, 8
	s_cbranch_scc1 .LBB119_85
; %bb.76:
	s_cmp_lt_i32 s14, 9
	s_cbranch_scc1 .LBB119_82
; %bb.77:
	s_cmp_gt_i32 s14, 9
	s_cbranch_scc0 .LBB119_79
; %bb.78:
	v_mov_b32_e32 v2, 0
	v_mov_b32_e32 v3, v2
	global_store_dwordx4 v[8:9], v[0:3], off
	s_mov_b64 s[10:11], 0
.LBB119_79:
	s_andn2_b64 vcc, exec, s[10:11]
	s_cbranch_vccnz .LBB119_81
; %bb.80:
	v_mov_b32_e32 v2, s76
	v_mov_b32_e32 v3, 0
	global_store_dwordx2 v[8:9], v[2:3], off
.LBB119_81:
	s_mov_b64 s[10:11], 0
.LBB119_82:
	s_andn2_b64 vcc, exec, s[10:11]
	s_cbranch_vccnz .LBB119_84
; %bb.83:
	global_store_dword v[8:9], v12, off
.LBB119_84:
	s_mov_b64 s[10:11], 0
.LBB119_85:
	s_andn2_b64 vcc, exec, s[10:11]
	s_cbranch_vccnz .LBB119_94
; %bb.86:
	s_cmp_lt_i32 s14, 6
	s_mov_b64 s[10:11], -1
	s_cbranch_scc1 .LBB119_92
; %bb.87:
	s_cmp_gt_i32 s14, 6
	s_cbranch_scc0 .LBB119_89
; %bb.88:
	global_store_dwordx2 v[8:9], v[0:1], off
	s_mov_b64 s[10:11], 0
.LBB119_89:
	s_andn2_b64 vcc, exec, s[10:11]
	s_cbranch_vccnz .LBB119_91
; %bb.90:
	v_mov_b32_e32 v2, s76
	global_store_dword v[8:9], v2, off
.LBB119_91:
	s_mov_b64 s[10:11], 0
.LBB119_92:
	s_andn2_b64 vcc, exec, s[10:11]
	s_cbranch_vccnz .LBB119_94
; %bb.93:
	global_store_short v[8:9], v12, off
.LBB119_94:
	s_mov_b64 s[10:11], 0
.LBB119_95:
	s_andn2_b64 vcc, exec, s[10:11]
	s_cbranch_vccnz .LBB119_111
; %bb.96:
	s_cmp_lt_i32 s14, 2
	s_mov_b64 s[10:11], -1
	s_cbranch_scc1 .LBB119_106
; %bb.97:
	s_cmp_lt_i32 s14, 3
	s_cbranch_scc1 .LBB119_103
; %bb.98:
	s_cmp_gt_i32 s14, 3
	s_cbranch_scc0 .LBB119_100
; %bb.99:
	global_store_dwordx2 v[8:9], v[4:5], off
	s_mov_b64 s[10:11], 0
.LBB119_100:
	s_andn2_b64 vcc, exec, s[10:11]
	s_cbranch_vccnz .LBB119_102
; %bb.101:
	global_store_dword v[8:9], v10, off
.LBB119_102:
	s_mov_b64 s[10:11], 0
.LBB119_103:
	s_andn2_b64 vcc, exec, s[10:11]
	s_cbranch_vccnz .LBB119_105
; %bb.104:
	global_store_short v[8:9], v10, off
.LBB119_105:
	s_mov_b64 s[10:11], 0
.LBB119_106:
	s_andn2_b64 vcc, exec, s[10:11]
	s_cbranch_vccnz .LBB119_111
; %bb.107:
	s_cmp_gt_i32 s14, 0
	s_mov_b64 s[10:11], -1
	s_cbranch_scc0 .LBB119_109
; %bb.108:
	global_store_byte v[8:9], v10, off
	s_mov_b64 s[10:11], 0
.LBB119_109:
	s_andn2_b64 vcc, exec, s[10:11]
	s_cbranch_vccnz .LBB119_111
; %bb.110:
	global_store_byte v[8:9], v4, off
.LBB119_111:
	s_branch .LBB119_25
.LBB119_112:
	s_mov_b64 s[10:11], 0
                                        ; implicit-def: $vgpr11
.LBB119_113:
	s_and_b64 s[60:61], s[8:9], exec
	s_orn2_b64 s[10:11], s[10:11], exec
.LBB119_114:
	s_or_b64 exec, exec, s[62:63]
	s_mov_b64 s[8:9], 0
                                        ; implicit-def: $vgpr8_vgpr9
	s_and_saveexec_b64 s[62:63], s[10:11]
	s_cbranch_execz .LBB119_121
; %bb.115:
	v_cmp_gt_i32_e32 vcc, s83, v11
	s_mov_b64 s[8:9], -1
	s_mov_b64 s[64:65], s[60:61]
	s_and_saveexec_b64 s[66:67], vcc
	s_cbranch_execz .LBB119_232
; %bb.116:
	s_andn2_b64 vcc, exec, s[30:31]
	s_cbranch_vccnz .LBB119_124
; %bb.117:
	s_andn2_b64 vcc, exec, s[58:59]
	s_cbranch_vccnz .LBB119_125
; %bb.118:
	s_add_i32 s71, s84, 1
	s_cmp_eq_u32 s74, 2
	s_cbranch_scc1 .LBB119_126
; %bb.119:
	s_and_b32 s70, s71, 28
	s_mov_b32 s72, 0
	v_mov_b32_e32 v2, 0
	s_mov_b64 s[64:65], s[28:29]
	s_mov_b64 s[68:69], s[56:57]
	v_mov_b32_e32 v3, v11
.LBB119_120:                            ; =>This Inner Loop Header: Depth=1
	s_load_dwordx8 s[8:15], s[64:65], 0x4
	s_load_dwordx4 s[20:23], s[64:65], 0x24
	s_load_dwordx4 s[24:27], s[68:69], 0x0
	s_add_u32 s64, s64, 48
	s_addc_u32 s65, s65, 0
	s_waitcnt lgkmcnt(0)
	v_mul_hi_u32 v8, s9, v3
	s_add_i32 s72, s72, 4
	s_add_u32 s68, s68, 16
	s_addc_u32 s69, s69, 0
	v_add_u32_e32 v8, v3, v8
	v_lshrrev_b32_e32 v8, s10, v8
	v_mul_lo_u32 v9, v8, s8
	v_mul_hi_u32 v20, s12, v8
	s_cmp_eq_u32 s70, s72
	v_sub_u32_e32 v3, v3, v9
	v_add_u32_e32 v9, v8, v20
	v_lshrrev_b32_e32 v9, s13, v9
	v_mul_lo_u32 v20, v3, s24
	v_mul_hi_u32 v3, s15, v9
	v_mul_lo_u32 v22, v9, s11
	v_add_u32_e32 v3, v9, v3
	v_lshrrev_b32_e32 v21, s20, v3
	v_mul_hi_u32 v3, s22, v21
	v_sub_u32_e32 v8, v8, v22
	v_mul_lo_u32 v22, v21, s14
	v_mul_lo_u32 v8, v8, s25
	v_add_u32_e32 v3, v21, v3
	v_lshrrev_b32_e32 v3, s23, v3
	v_mul_lo_u32 v23, v3, s21
	v_sub_u32_e32 v9, v9, v22
	v_mul_lo_u32 v9, v9, s26
	v_add3_u32 v2, v20, v2, v8
	v_sub_u32_e32 v21, v21, v23
	v_mul_lo_u32 v21, v21, s27
	v_add3_u32 v2, v9, v2, v21
	s_cbranch_scc0 .LBB119_120
	s_branch .LBB119_127
.LBB119_121:
	s_or_b64 exec, exec, s[62:63]
	s_mov_b64 s[0:1], 0
	s_and_saveexec_b64 s[2:3], s[60:61]
	s_cbranch_execnz .LBB119_422
.LBB119_122:
	s_or_b64 exec, exec, s[2:3]
	s_and_saveexec_b64 s[2:3], s[66:67]
	s_xor_b64 s[2:3], exec, s[2:3]
	s_cbranch_execz .LBB119_423
.LBB119_123:
	global_store_byte v[8:9], v13, off
	s_or_b64 exec, exec, s[2:3]
	s_and_saveexec_b64 s[2:3], s[8:9]
	s_xor_b64 s[2:3], exec, s[2:3]
	s_cbranch_execz .LBB119_461
	s_branch .LBB119_424
.LBB119_124:
                                        ; implicit-def: $vgpr2
	s_andn2_b64 vcc, exec, s[8:9]
	s_cbranch_vccz .LBB119_131
	s_branch .LBB119_133
.LBB119_125:
	v_mov_b32_e32 v2, 0
	s_branch .LBB119_130
.LBB119_126:
	v_mov_b32_e32 v2, 0
	s_mov_b32 s70, 0
	v_mov_b32_e32 v3, v11
.LBB119_127:
	s_and_b32 s12, s71, 3
	s_cmp_eq_u32 s12, 0
	s_cbranch_scc1 .LBB119_130
; %bb.128:
	s_lshl_b32 s8, s70, 2
	s_add_u32 s8, s28, s8
	s_addc_u32 s9, s29, 0
	s_add_u32 s8, s8, 0xc4
	s_addc_u32 s9, s9, 0
	s_mul_i32 s10, s70, 12
	s_add_u32 s10, s28, s10
	s_addc_u32 s11, s29, 0
.LBB119_129:                            ; =>This Inner Loop Header: Depth=1
	s_load_dwordx2 s[14:15], s[10:11], 0x4
	s_load_dword s13, s[10:11], 0xc
	s_add_u32 s10, s10, 12
	s_addc_u32 s11, s11, 0
	s_waitcnt lgkmcnt(0)
	v_mul_hi_u32 v8, s15, v3
	s_load_dword s15, s[8:9], 0x0
	s_add_u32 s8, s8, 4
	s_addc_u32 s9, s9, 0
	v_add_u32_e32 v8, v3, v8
	v_lshrrev_b32_e32 v8, s13, v8
	v_mul_lo_u32 v9, v8, s14
	s_add_i32 s12, s12, -1
	s_cmp_lg_u32 s12, 0
	v_sub_u32_e32 v3, v3, v9
	s_waitcnt lgkmcnt(0)
	v_mad_u64_u32 v[2:3], s[14:15], v3, s15, v[2:3]
	v_mov_b32_e32 v3, v8
	s_cbranch_scc1 .LBB119_129
.LBB119_130:
	s_cbranch_execnz .LBB119_133
.LBB119_131:
	v_mul_hi_u32 v2, s17, v11
	s_andn2_b64 vcc, exec, s[54:55]
	v_add_u32_e32 v2, v11, v2
	v_lshrrev_b32_e32 v3, s18, v2
	v_mul_lo_u32 v2, v3, s16
	v_sub_u32_e32 v2, v11, v2
	v_mul_lo_u32 v2, v2, s50
	s_cbranch_vccnz .LBB119_133
; %bb.132:
	v_mul_hi_u32 v8, s52, v3
	v_add_u32_e32 v8, v3, v8
	v_lshrrev_b32_e32 v8, s53, v8
	v_mul_lo_u32 v8, v8, s19
	v_sub_u32_e32 v3, v3, v8
	v_mad_u64_u32 v[2:3], s[8:9], v3, s51, v[2:3]
.LBB119_133:
	v_mov_b32_e32 v3, s49
	s_and_b32 s14, 0xffff, s75
	v_add_co_u32_e32 v8, vcc, s48, v2
	s_cmp_lt_i32 s14, 11
	v_addc_co_u32_e32 v9, vcc, 0, v3, vcc
	s_cbranch_scc1 .LBB119_140
; %bb.134:
	s_cmp_gt_i32 s14, 25
	s_cbranch_scc0 .LBB119_143
; %bb.135:
	s_cmp_gt_i32 s14, 28
	s_cbranch_scc0 .LBB119_144
	;; [unrolled: 3-line block ×4, first 2 shown]
; %bb.138:
	s_mov_b64 s[12:13], 0
	s_mov_b64 s[8:9], -1
	s_cmp_eq_u32 s14, 46
	s_mov_b64 s[10:11], 0
	s_cbranch_scc0 .LBB119_147
; %bb.139:
	global_store_dword v[8:9], v14, off
	s_mov_b64 s[10:11], -1
	s_mov_b64 s[8:9], 0
	s_branch .LBB119_147
.LBB119_140:
	s_mov_b64 s[10:11], 0
	s_mov_b64 s[8:9], s[60:61]
	s_cbranch_execnz .LBB119_192
.LBB119_141:
	s_andn2_b64 vcc, exec, s[10:11]
	s_cbranch_vccnz .LBB119_230
.LBB119_142:
	v_add_u32_e32 v11, 0x80, v11
	s_mov_b64 s[10:11], -1
	s_branch .LBB119_231
.LBB119_143:
	s_mov_b64 s[12:13], -1
	s_mov_b64 s[10:11], 0
	s_mov_b64 s[8:9], s[60:61]
	s_branch .LBB119_169
.LBB119_144:
	s_mov_b64 s[12:13], -1
	s_mov_b64 s[10:11], 0
	s_mov_b64 s[8:9], s[60:61]
	s_branch .LBB119_155
.LBB119_145:
	s_mov_b64 s[12:13], -1
	s_mov_b64 s[10:11], 0
	s_mov_b64 s[8:9], s[60:61]
	s_branch .LBB119_151
.LBB119_146:
	s_mov_b64 s[12:13], -1
	s_mov_b64 s[10:11], 0
	s_mov_b64 s[8:9], s[60:61]
.LBB119_147:
	s_and_b64 vcc, exec, s[12:13]
	s_cbranch_vccz .LBB119_150
; %bb.148:
	s_cmp_eq_u32 s14, 44
	s_mov_b64 s[8:9], -1
	s_cbranch_scc0 .LBB119_150
; %bb.149:
	v_mov_b32_e32 v2, 0xffff
	v_cndmask_b32_e64 v2, v19, v2, s[4:5]
	s_mov_b64 s[10:11], -1
	s_mov_b64 s[8:9], 0
	global_store_byte v[8:9], v2, off
.LBB119_150:
	s_mov_b64 s[12:13], 0
.LBB119_151:
	s_and_b64 vcc, exec, s[12:13]
	s_cbranch_vccz .LBB119_154
; %bb.152:
	s_cmp_eq_u32 s14, 29
	s_mov_b64 s[8:9], -1
	s_cbranch_scc0 .LBB119_154
; %bb.153:
	global_store_dwordx2 v[8:9], v[6:7], off
	s_mov_b64 s[10:11], -1
	s_mov_b64 s[8:9], 0
.LBB119_154:
	s_mov_b64 s[12:13], 0
.LBB119_155:
	s_and_b64 vcc, exec, s[12:13]
	s_cbranch_vccz .LBB119_168
; %bb.156:
	s_cmp_lt_i32 s14, 27
	s_mov_b64 s[10:11], -1
	s_cbranch_scc1 .LBB119_162
; %bb.157:
	s_cmp_gt_i32 s14, 27
	s_cbranch_scc0 .LBB119_159
; %bb.158:
	s_mov_b64 s[10:11], 0
	global_store_dword v[8:9], v18, off
.LBB119_159:
	s_andn2_b64 vcc, exec, s[10:11]
	s_cbranch_vccnz .LBB119_161
; %bb.160:
	global_store_short v[8:9], v18, off
.LBB119_161:
	s_mov_b64 s[10:11], 0
.LBB119_162:
	s_andn2_b64 vcc, exec, s[10:11]
	s_cbranch_vccnz .LBB119_167
; %bb.163:
	s_andn2_b64 vcc, exec, s[44:45]
	v_mov_b32_e32 v2, 0x80
	s_cbranch_vccnz .LBB119_166
; %bb.164:
	s_or_b64 s[10:11], s[2:3], s[46:47]
	s_andn2_b64 vcc, exec, s[10:11]
	v_mov_b32_e32 v2, 0
	s_cbranch_vccnz .LBB119_166
; %bb.165:
	v_mov_b32_e32 v2, s82
	v_cndmask_b32_e64 v2, v17, v2, s[2:3]
	v_or_b32_e32 v2, s78, v2
.LBB119_166:
	global_store_byte v[8:9], v2, off
.LBB119_167:
	s_mov_b64 s[10:11], -1
.LBB119_168:
	s_mov_b64 s[12:13], 0
.LBB119_169:
	s_and_b64 vcc, exec, s[12:13]
	s_cbranch_vccz .LBB119_191
; %bb.170:
	s_cmp_gt_i32 s14, 22
	s_mov_b64 s[12:13], -1
	s_cbranch_scc0 .LBB119_183
; %bb.171:
	s_cmp_lt_i32 s14, 24
	s_mov_b64 s[10:11], -1
	s_cbranch_scc1 .LBB119_180
; %bb.172:
	s_cmp_gt_i32 s14, 24
	s_cbranch_scc0 .LBB119_177
; %bb.173:
	s_andn2_b64 vcc, exec, s[40:41]
	v_mov_b32_e32 v2, 0x80
	s_cbranch_vccnz .LBB119_176
; %bb.174:
	s_or_b64 s[10:11], s[0:1], s[42:43]
	s_andn2_b64 vcc, exec, s[10:11]
	v_mov_b32_e32 v2, 0
	s_cbranch_vccnz .LBB119_176
; %bb.175:
	v_cndmask_b32_e64 v2, v16, v15, s[0:1]
	v_or_b32_e32 v2, s78, v2
.LBB119_176:
	s_mov_b64 s[10:11], 0
	global_store_byte v[8:9], v2, off
.LBB119_177:
	s_and_b64 vcc, exec, s[10:11]
	s_cbranch_vccz .LBB119_179
; %bb.178:
	s_and_b64 s[10:11], s[38:39], exec
	s_cselect_b32 s12, s80, s79
	s_and_b64 s[10:11], s[36:37], exec
	s_cselect_b32 s10, s81, s12
	s_or_b32 s10, s10, s78
	v_mov_b32_e32 v2, s10
	global_store_byte v[8:9], v2, off
.LBB119_179:
	s_mov_b64 s[10:11], 0
.LBB119_180:
	s_andn2_b64 vcc, exec, s[10:11]
	s_cbranch_vccnz .LBB119_182
; %bb.181:
	v_mov_b32_e32 v2, s77
	global_store_byte v[8:9], v2, off
.LBB119_182:
	s_mov_b64 s[12:13], 0
	s_mov_b64 s[10:11], -1
.LBB119_183:
	s_andn2_b64 vcc, exec, s[12:13]
	s_cbranch_vccnz .LBB119_191
; %bb.184:
	s_cmp_gt_i32 s14, 14
	s_mov_b64 s[12:13], -1
	s_cbranch_scc0 .LBB119_188
; %bb.185:
	s_cmp_eq_u32 s14, 15
	s_mov_b64 s[8:9], -1
	s_cbranch_scc0 .LBB119_187
; %bb.186:
	global_store_short v[8:9], v14, off
	s_mov_b64 s[10:11], -1
	s_mov_b64 s[8:9], 0
.LBB119_187:
	s_mov_b64 s[12:13], 0
.LBB119_188:
	s_and_b64 vcc, exec, s[12:13]
	s_cbranch_vccz .LBB119_191
; %bb.189:
	s_cmp_eq_u32 s14, 11
	s_mov_b64 s[8:9], -1
	s_cbranch_scc0 .LBB119_191
; %bb.190:
	s_mov_b64 s[10:11], -1
	s_mov_b64 s[8:9], 0
	global_store_byte v[8:9], v13, off
.LBB119_191:
	s_branch .LBB119_141
.LBB119_192:
	s_cmp_lt_i32 s14, 5
	s_mov_b64 s[10:11], -1
	s_cbranch_scc1 .LBB119_213
; %bb.193:
	s_cmp_lt_i32 s14, 8
	s_cbranch_scc1 .LBB119_203
; %bb.194:
	s_cmp_lt_i32 s14, 9
	s_cbranch_scc1 .LBB119_200
; %bb.195:
	s_cmp_gt_i32 s14, 9
	s_cbranch_scc0 .LBB119_197
; %bb.196:
	v_mov_b32_e32 v2, 0
	v_mov_b32_e32 v3, v2
	s_mov_b64 s[10:11], 0
	global_store_dwordx4 v[8:9], v[0:3], off
.LBB119_197:
	s_andn2_b64 vcc, exec, s[10:11]
	s_cbranch_vccnz .LBB119_199
; %bb.198:
	v_mov_b32_e32 v2, s76
	v_mov_b32_e32 v3, 0
	global_store_dwordx2 v[8:9], v[2:3], off
.LBB119_199:
	s_mov_b64 s[10:11], 0
.LBB119_200:
	s_andn2_b64 vcc, exec, s[10:11]
	s_cbranch_vccnz .LBB119_202
; %bb.201:
	global_store_dword v[8:9], v12, off
.LBB119_202:
	s_mov_b64 s[10:11], 0
.LBB119_203:
	s_andn2_b64 vcc, exec, s[10:11]
	s_cbranch_vccnz .LBB119_212
; %bb.204:
	s_cmp_lt_i32 s14, 6
	s_mov_b64 s[10:11], -1
	s_cbranch_scc1 .LBB119_210
; %bb.205:
	s_cmp_gt_i32 s14, 6
	s_cbranch_scc0 .LBB119_207
; %bb.206:
	s_mov_b64 s[10:11], 0
	global_store_dwordx2 v[8:9], v[0:1], off
.LBB119_207:
	s_andn2_b64 vcc, exec, s[10:11]
	s_cbranch_vccnz .LBB119_209
; %bb.208:
	v_mov_b32_e32 v2, s76
	global_store_dword v[8:9], v2, off
.LBB119_209:
	s_mov_b64 s[10:11], 0
.LBB119_210:
	s_andn2_b64 vcc, exec, s[10:11]
	s_cbranch_vccnz .LBB119_212
; %bb.211:
	global_store_short v[8:9], v12, off
.LBB119_212:
	s_mov_b64 s[10:11], 0
.LBB119_213:
	s_andn2_b64 vcc, exec, s[10:11]
	s_cbranch_vccnz .LBB119_229
; %bb.214:
	s_cmp_lt_i32 s14, 2
	s_mov_b64 s[10:11], -1
	s_cbranch_scc1 .LBB119_224
; %bb.215:
	s_cmp_lt_i32 s14, 3
	s_cbranch_scc1 .LBB119_221
; %bb.216:
	s_cmp_gt_i32 s14, 3
	s_cbranch_scc0 .LBB119_218
; %bb.217:
	s_mov_b64 s[10:11], 0
	global_store_dwordx2 v[8:9], v[4:5], off
.LBB119_218:
	s_andn2_b64 vcc, exec, s[10:11]
	s_cbranch_vccnz .LBB119_220
; %bb.219:
	global_store_dword v[8:9], v10, off
.LBB119_220:
	s_mov_b64 s[10:11], 0
.LBB119_221:
	s_andn2_b64 vcc, exec, s[10:11]
	s_cbranch_vccnz .LBB119_223
; %bb.222:
	global_store_short v[8:9], v10, off
.LBB119_223:
	s_mov_b64 s[10:11], 0
.LBB119_224:
	s_andn2_b64 vcc, exec, s[10:11]
	s_cbranch_vccnz .LBB119_229
; %bb.225:
	s_cmp_gt_i32 s14, 0
	s_mov_b64 s[10:11], -1
	s_cbranch_scc0 .LBB119_227
; %bb.226:
	s_mov_b64 s[10:11], 0
	global_store_byte v[8:9], v10, off
.LBB119_227:
	s_andn2_b64 vcc, exec, s[10:11]
	s_cbranch_vccnz .LBB119_229
; %bb.228:
	global_store_byte v[8:9], v4, off
.LBB119_229:
	s_branch .LBB119_142
.LBB119_230:
	s_mov_b64 s[10:11], 0
                                        ; implicit-def: $vgpr11
.LBB119_231:
	s_andn2_b64 s[12:13], s[60:61], exec
	s_and_b64 s[8:9], s[8:9], exec
	s_or_b64 s[64:65], s[12:13], s[8:9]
	s_orn2_b64 s[8:9], s[10:11], exec
.LBB119_232:
	s_or_b64 exec, exec, s[66:67]
	s_mov_b64 s[10:11], 0
	s_mov_b64 s[12:13], 0
                                        ; implicit-def: $vgpr8_vgpr9
	s_and_saveexec_b64 s[66:67], s[8:9]
	s_cbranch_execz .LBB119_421
; %bb.233:
	v_cmp_gt_i32_e32 vcc, s83, v11
	s_mov_b64 s[10:11], -1
	s_mov_b64 s[70:71], s[64:65]
	s_and_saveexec_b64 s[68:69], vcc
	s_cbranch_execz .LBB119_349
; %bb.234:
	s_andn2_b64 vcc, exec, s[30:31]
	s_cbranch_vccnz .LBB119_239
; %bb.235:
	s_andn2_b64 vcc, exec, s[58:59]
	s_cbranch_vccnz .LBB119_240
; %bb.236:
	s_add_i32 s86, s84, 1
	s_cmp_eq_u32 s74, 2
	s_cbranch_scc1 .LBB119_241
; %bb.237:
	s_and_b32 s85, s86, 28
	s_mov_b32 s87, 0
	v_mov_b32_e32 v2, 0
	s_mov_b64 s[70:71], s[28:29]
	s_mov_b64 s[72:73], s[56:57]
	v_mov_b32_e32 v3, v11
.LBB119_238:                            ; =>This Inner Loop Header: Depth=1
	s_load_dwordx8 s[8:15], s[70:71], 0x4
	s_load_dwordx4 s[20:23], s[70:71], 0x24
	s_load_dwordx4 s[24:27], s[72:73], 0x0
	s_add_u32 s70, s70, 48
	s_addc_u32 s71, s71, 0
	s_waitcnt lgkmcnt(0)
	v_mul_hi_u32 v8, s9, v3
	s_add_i32 s87, s87, 4
	s_add_u32 s72, s72, 16
	s_addc_u32 s73, s73, 0
	v_add_u32_e32 v8, v3, v8
	v_lshrrev_b32_e32 v8, s10, v8
	v_mul_lo_u32 v9, v8, s8
	v_mul_hi_u32 v20, s12, v8
	s_cmp_eq_u32 s85, s87
	v_sub_u32_e32 v3, v3, v9
	v_add_u32_e32 v9, v8, v20
	v_lshrrev_b32_e32 v9, s13, v9
	v_mul_lo_u32 v20, v3, s24
	v_mul_hi_u32 v3, s15, v9
	v_mul_lo_u32 v22, v9, s11
	v_add_u32_e32 v3, v9, v3
	v_lshrrev_b32_e32 v21, s20, v3
	v_mul_hi_u32 v3, s22, v21
	v_sub_u32_e32 v8, v8, v22
	v_mul_lo_u32 v22, v21, s14
	v_mul_lo_u32 v8, v8, s25
	v_add_u32_e32 v3, v21, v3
	v_lshrrev_b32_e32 v3, s23, v3
	v_mul_lo_u32 v23, v3, s21
	v_sub_u32_e32 v9, v9, v22
	v_mul_lo_u32 v9, v9, s26
	v_add3_u32 v2, v20, v2, v8
	v_sub_u32_e32 v21, v21, v23
	v_mul_lo_u32 v21, v21, s27
	v_add3_u32 v2, v9, v2, v21
	s_cbranch_scc0 .LBB119_238
	s_branch .LBB119_242
.LBB119_239:
	s_mov_b64 s[8:9], -1
                                        ; implicit-def: $vgpr2
	s_branch .LBB119_246
.LBB119_240:
	v_mov_b32_e32 v2, 0
	s_branch .LBB119_245
.LBB119_241:
	v_mov_b32_e32 v2, 0
	s_mov_b32 s85, 0
	v_mov_b32_e32 v3, v11
.LBB119_242:
	s_and_b32 s12, s86, 3
	s_cmp_eq_u32 s12, 0
	s_cbranch_scc1 .LBB119_245
; %bb.243:
	s_lshl_b32 s8, s85, 2
	s_add_u32 s8, s28, s8
	s_addc_u32 s9, s29, 0
	s_add_u32 s8, s8, 0xc4
	s_addc_u32 s9, s9, 0
	s_mul_i32 s10, s85, 12
	s_add_u32 s10, s28, s10
	s_addc_u32 s11, s29, 0
.LBB119_244:                            ; =>This Inner Loop Header: Depth=1
	s_load_dwordx2 s[14:15], s[10:11], 0x4
	s_load_dword s13, s[10:11], 0xc
	s_add_u32 s10, s10, 12
	s_addc_u32 s11, s11, 0
	s_waitcnt lgkmcnt(0)
	v_mul_hi_u32 v8, s15, v3
	s_load_dword s15, s[8:9], 0x0
	s_add_u32 s8, s8, 4
	s_addc_u32 s9, s9, 0
	v_add_u32_e32 v8, v3, v8
	v_lshrrev_b32_e32 v8, s13, v8
	v_mul_lo_u32 v9, v8, s14
	s_add_i32 s12, s12, -1
	s_cmp_lg_u32 s12, 0
	v_sub_u32_e32 v3, v3, v9
	s_waitcnt lgkmcnt(0)
	v_mad_u64_u32 v[2:3], s[14:15], v3, s15, v[2:3]
	v_mov_b32_e32 v3, v8
	s_cbranch_scc1 .LBB119_244
.LBB119_245:
	s_mov_b64 s[8:9], 0
.LBB119_246:
	s_andn2_b64 vcc, exec, s[8:9]
	s_cbranch_vccnz .LBB119_249
; %bb.247:
	v_mul_hi_u32 v2, s17, v11
	s_andn2_b64 vcc, exec, s[54:55]
	v_add_u32_e32 v2, v11, v2
	v_lshrrev_b32_e32 v3, s18, v2
	v_mul_lo_u32 v2, v3, s16
	v_sub_u32_e32 v2, v11, v2
	v_mul_lo_u32 v2, v2, s50
	s_cbranch_vccnz .LBB119_249
; %bb.248:
	v_mul_hi_u32 v8, s52, v3
	v_add_u32_e32 v8, v3, v8
	v_lshrrev_b32_e32 v8, s53, v8
	v_mul_lo_u32 v8, v8, s19
	v_sub_u32_e32 v3, v3, v8
	v_mad_u64_u32 v[2:3], s[8:9], v3, s51, v[2:3]
.LBB119_249:
	v_mov_b32_e32 v3, s49
	s_and_b32 s14, 0xffff, s75
	v_add_co_u32_e32 v8, vcc, s48, v2
	s_cmp_lt_i32 s14, 11
	v_addc_co_u32_e32 v9, vcc, 0, v3, vcc
	s_cbranch_scc1 .LBB119_256
; %bb.250:
	s_cmp_gt_i32 s14, 25
	s_cbranch_scc0 .LBB119_257
; %bb.251:
	s_cmp_gt_i32 s14, 28
	s_cbranch_scc0 .LBB119_258
	;; [unrolled: 3-line block ×4, first 2 shown]
; %bb.254:
	s_mov_b64 s[12:13], 0
	s_mov_b64 s[8:9], -1
	s_cmp_eq_u32 s14, 46
	s_mov_b64 s[10:11], 0
	s_cbranch_scc0 .LBB119_261
; %bb.255:
	global_store_dword v[8:9], v14, off
	s_mov_b64 s[10:11], -1
	s_mov_b64 s[8:9], 0
	s_branch .LBB119_261
.LBB119_256:
	s_mov_b64 s[12:13], -1
	s_mov_b64 s[10:11], 0
	s_mov_b64 s[8:9], s[64:65]
	s_branch .LBB119_306
.LBB119_257:
	s_mov_b64 s[12:13], -1
	s_mov_b64 s[10:11], 0
	s_mov_b64 s[8:9], s[64:65]
	s_branch .LBB119_283
.LBB119_258:
	s_mov_b64 s[12:13], -1
	s_mov_b64 s[10:11], 0
	s_mov_b64 s[8:9], s[64:65]
	s_branch .LBB119_269
.LBB119_259:
	s_mov_b64 s[12:13], -1
	s_mov_b64 s[10:11], 0
	s_mov_b64 s[8:9], s[64:65]
	s_branch .LBB119_265
.LBB119_260:
	s_mov_b64 s[12:13], -1
	s_mov_b64 s[10:11], 0
	s_mov_b64 s[8:9], s[64:65]
.LBB119_261:
	s_and_b64 vcc, exec, s[12:13]
	s_cbranch_vccz .LBB119_264
; %bb.262:
	s_cmp_eq_u32 s14, 44
	s_mov_b64 s[8:9], -1
	s_cbranch_scc0 .LBB119_264
; %bb.263:
	v_mov_b32_e32 v2, 0xffff
	v_cndmask_b32_e64 v2, v19, v2, s[4:5]
	s_mov_b64 s[10:11], -1
	s_mov_b64 s[8:9], 0
	global_store_byte v[8:9], v2, off
.LBB119_264:
	s_mov_b64 s[12:13], 0
.LBB119_265:
	s_and_b64 vcc, exec, s[12:13]
	s_cbranch_vccz .LBB119_268
; %bb.266:
	s_cmp_eq_u32 s14, 29
	s_mov_b64 s[8:9], -1
	s_cbranch_scc0 .LBB119_268
; %bb.267:
	global_store_dwordx2 v[8:9], v[6:7], off
	s_mov_b64 s[10:11], -1
	s_mov_b64 s[8:9], 0
.LBB119_268:
	s_mov_b64 s[12:13], 0
.LBB119_269:
	s_and_b64 vcc, exec, s[12:13]
	s_cbranch_vccz .LBB119_282
; %bb.270:
	s_cmp_lt_i32 s14, 27
	s_mov_b64 s[10:11], -1
	s_cbranch_scc1 .LBB119_276
; %bb.271:
	s_cmp_gt_i32 s14, 27
	s_cbranch_scc0 .LBB119_273
; %bb.272:
	s_mov_b64 s[10:11], 0
	global_store_dword v[8:9], v18, off
.LBB119_273:
	s_andn2_b64 vcc, exec, s[10:11]
	s_cbranch_vccnz .LBB119_275
; %bb.274:
	global_store_short v[8:9], v18, off
.LBB119_275:
	s_mov_b64 s[10:11], 0
.LBB119_276:
	s_andn2_b64 vcc, exec, s[10:11]
	s_cbranch_vccnz .LBB119_281
; %bb.277:
	s_andn2_b64 vcc, exec, s[44:45]
	v_mov_b32_e32 v2, 0x80
	s_cbranch_vccnz .LBB119_280
; %bb.278:
	s_or_b64 s[10:11], s[2:3], s[46:47]
	s_andn2_b64 vcc, exec, s[10:11]
	v_mov_b32_e32 v2, 0
	s_cbranch_vccnz .LBB119_280
; %bb.279:
	v_mov_b32_e32 v2, s82
	v_cndmask_b32_e64 v2, v17, v2, s[2:3]
	v_or_b32_e32 v2, s78, v2
.LBB119_280:
	global_store_byte v[8:9], v2, off
.LBB119_281:
	s_mov_b64 s[10:11], -1
.LBB119_282:
	s_mov_b64 s[12:13], 0
.LBB119_283:
	s_and_b64 vcc, exec, s[12:13]
	s_cbranch_vccz .LBB119_305
; %bb.284:
	s_cmp_gt_i32 s14, 22
	s_mov_b64 s[12:13], -1
	s_cbranch_scc0 .LBB119_297
; %bb.285:
	s_cmp_lt_i32 s14, 24
	s_mov_b64 s[10:11], -1
	s_cbranch_scc1 .LBB119_294
; %bb.286:
	s_cmp_gt_i32 s14, 24
	s_cbranch_scc0 .LBB119_291
; %bb.287:
	s_andn2_b64 vcc, exec, s[40:41]
	v_mov_b32_e32 v2, 0x80
	s_cbranch_vccnz .LBB119_290
; %bb.288:
	s_or_b64 s[10:11], s[0:1], s[42:43]
	s_andn2_b64 vcc, exec, s[10:11]
	v_mov_b32_e32 v2, 0
	s_cbranch_vccnz .LBB119_290
; %bb.289:
	v_cndmask_b32_e64 v2, v16, v15, s[0:1]
	v_or_b32_e32 v2, s78, v2
.LBB119_290:
	s_mov_b64 s[10:11], 0
	global_store_byte v[8:9], v2, off
.LBB119_291:
	s_and_b64 vcc, exec, s[10:11]
	s_cbranch_vccz .LBB119_293
; %bb.292:
	s_and_b64 s[10:11], s[38:39], exec
	s_cselect_b32 s12, s80, s79
	s_and_b64 s[10:11], s[36:37], exec
	s_cselect_b32 s10, s81, s12
	s_or_b32 s10, s10, s78
	v_mov_b32_e32 v2, s10
	global_store_byte v[8:9], v2, off
.LBB119_293:
	s_mov_b64 s[10:11], 0
.LBB119_294:
	s_andn2_b64 vcc, exec, s[10:11]
	s_cbranch_vccnz .LBB119_296
; %bb.295:
	v_mov_b32_e32 v2, s77
	global_store_byte v[8:9], v2, off
.LBB119_296:
	s_mov_b64 s[12:13], 0
	s_mov_b64 s[10:11], -1
.LBB119_297:
	s_andn2_b64 vcc, exec, s[12:13]
	s_cbranch_vccnz .LBB119_305
; %bb.298:
	s_cmp_gt_i32 s14, 14
	s_mov_b64 s[12:13], -1
	s_cbranch_scc0 .LBB119_302
; %bb.299:
	s_cmp_eq_u32 s14, 15
	s_mov_b64 s[8:9], -1
	s_cbranch_scc0 .LBB119_301
; %bb.300:
	global_store_short v[8:9], v14, off
	s_mov_b64 s[10:11], -1
	s_mov_b64 s[8:9], 0
.LBB119_301:
	s_mov_b64 s[12:13], 0
.LBB119_302:
	s_and_b64 vcc, exec, s[12:13]
	s_cbranch_vccz .LBB119_305
; %bb.303:
	s_cmp_eq_u32 s14, 11
	s_mov_b64 s[8:9], -1
	s_cbranch_scc0 .LBB119_305
; %bb.304:
	s_mov_b64 s[10:11], -1
	s_mov_b64 s[8:9], 0
	global_store_byte v[8:9], v13, off
.LBB119_305:
	s_mov_b64 s[12:13], 0
.LBB119_306:
	s_and_b64 vcc, exec, s[12:13]
	s_cbranch_vccz .LBB119_345
; %bb.307:
	s_cmp_lt_i32 s14, 5
	s_mov_b64 s[10:11], -1
	s_cbranch_scc1 .LBB119_328
; %bb.308:
	s_cmp_lt_i32 s14, 8
	s_cbranch_scc1 .LBB119_318
; %bb.309:
	s_cmp_lt_i32 s14, 9
	s_cbranch_scc1 .LBB119_315
; %bb.310:
	s_cmp_gt_i32 s14, 9
	s_cbranch_scc0 .LBB119_312
; %bb.311:
	v_mov_b32_e32 v2, 0
	v_mov_b32_e32 v3, v2
	s_mov_b64 s[10:11], 0
	global_store_dwordx4 v[8:9], v[0:3], off
.LBB119_312:
	s_andn2_b64 vcc, exec, s[10:11]
	s_cbranch_vccnz .LBB119_314
; %bb.313:
	v_mov_b32_e32 v2, s76
	v_mov_b32_e32 v3, 0
	global_store_dwordx2 v[8:9], v[2:3], off
.LBB119_314:
	s_mov_b64 s[10:11], 0
.LBB119_315:
	s_andn2_b64 vcc, exec, s[10:11]
	s_cbranch_vccnz .LBB119_317
; %bb.316:
	global_store_dword v[8:9], v12, off
.LBB119_317:
	s_mov_b64 s[10:11], 0
.LBB119_318:
	s_andn2_b64 vcc, exec, s[10:11]
	s_cbranch_vccnz .LBB119_327
; %bb.319:
	s_cmp_lt_i32 s14, 6
	s_mov_b64 s[10:11], -1
	s_cbranch_scc1 .LBB119_325
; %bb.320:
	s_cmp_gt_i32 s14, 6
	s_cbranch_scc0 .LBB119_322
; %bb.321:
	s_mov_b64 s[10:11], 0
	global_store_dwordx2 v[8:9], v[0:1], off
.LBB119_322:
	s_andn2_b64 vcc, exec, s[10:11]
	s_cbranch_vccnz .LBB119_324
; %bb.323:
	v_mov_b32_e32 v2, s76
	global_store_dword v[8:9], v2, off
.LBB119_324:
	s_mov_b64 s[10:11], 0
.LBB119_325:
	s_andn2_b64 vcc, exec, s[10:11]
	s_cbranch_vccnz .LBB119_327
; %bb.326:
	global_store_short v[8:9], v12, off
.LBB119_327:
	s_mov_b64 s[10:11], 0
.LBB119_328:
	s_andn2_b64 vcc, exec, s[10:11]
	s_cbranch_vccnz .LBB119_344
; %bb.329:
	s_cmp_lt_i32 s14, 2
	s_mov_b64 s[10:11], -1
	s_cbranch_scc1 .LBB119_339
; %bb.330:
	s_cmp_lt_i32 s14, 3
	s_cbranch_scc1 .LBB119_336
; %bb.331:
	s_cmp_gt_i32 s14, 3
	s_cbranch_scc0 .LBB119_333
; %bb.332:
	s_mov_b64 s[10:11], 0
	global_store_dwordx2 v[8:9], v[4:5], off
.LBB119_333:
	s_andn2_b64 vcc, exec, s[10:11]
	s_cbranch_vccnz .LBB119_335
; %bb.334:
	global_store_dword v[8:9], v10, off
.LBB119_335:
	s_mov_b64 s[10:11], 0
.LBB119_336:
	s_andn2_b64 vcc, exec, s[10:11]
	s_cbranch_vccnz .LBB119_338
; %bb.337:
	global_store_short v[8:9], v10, off
.LBB119_338:
	s_mov_b64 s[10:11], 0
.LBB119_339:
	s_andn2_b64 vcc, exec, s[10:11]
	s_cbranch_vccnz .LBB119_344
; %bb.340:
	s_cmp_gt_i32 s14, 0
	s_mov_b64 s[10:11], -1
	s_cbranch_scc0 .LBB119_342
; %bb.341:
	s_mov_b64 s[10:11], 0
	global_store_byte v[8:9], v10, off
.LBB119_342:
	s_andn2_b64 vcc, exec, s[10:11]
	s_cbranch_vccnz .LBB119_344
; %bb.343:
	global_store_byte v[8:9], v4, off
.LBB119_344:
	s_mov_b64 s[10:11], -1
.LBB119_345:
	s_andn2_b64 vcc, exec, s[10:11]
	s_cbranch_vccnz .LBB119_347
; %bb.346:
	v_add_u32_e32 v11, 0x80, v11
	s_mov_b64 s[10:11], -1
	s_branch .LBB119_348
.LBB119_347:
	s_mov_b64 s[10:11], 0
                                        ; implicit-def: $vgpr11
.LBB119_348:
	s_andn2_b64 s[12:13], s[64:65], exec
	s_and_b64 s[8:9], s[8:9], exec
	s_or_b64 s[70:71], s[12:13], s[8:9]
	s_orn2_b64 s[10:11], s[10:11], exec
.LBB119_349:
	s_or_b64 exec, exec, s[68:69]
	s_mov_b64 s[8:9], 0
	s_mov_b64 s[14:15], 0
                                        ; implicit-def: $vgpr8_vgpr9
	s_and_saveexec_b64 s[68:69], s[10:11]
	s_cbranch_execz .LBB119_420
; %bb.350:
	v_cmp_gt_i32_e32 vcc, s83, v11
	s_mov_b64 s[10:11], 0
	s_mov_b64 s[12:13], s[70:71]
                                        ; implicit-def: $vgpr8_vgpr9
	s_and_saveexec_b64 s[72:73], vcc
	s_cbranch_execz .LBB119_419
; %bb.351:
	s_andn2_b64 vcc, exec, s[30:31]
	s_cbranch_vccnz .LBB119_356
; %bb.352:
	s_andn2_b64 vcc, exec, s[58:59]
	s_cbranch_vccnz .LBB119_357
; %bb.353:
	s_add_i32 s84, s84, 1
	s_cmp_eq_u32 s74, 2
	s_cbranch_scc1 .LBB119_358
; %bb.354:
	s_and_b32 s83, s84, 28
	s_mov_b32 s85, 0
	v_mov_b32_e32 v2, 0
	s_mov_b64 s[58:59], s[28:29]
	v_mov_b32_e32 v3, v11
.LBB119_355:                            ; =>This Inner Loop Header: Depth=1
	s_load_dwordx8 s[8:15], s[58:59], 0x4
	s_load_dwordx4 s[20:23], s[58:59], 0x24
	s_load_dwordx4 s[24:27], s[56:57], 0x0
	s_add_u32 s58, s58, 48
	s_addc_u32 s59, s59, 0
	s_waitcnt lgkmcnt(0)
	v_mul_hi_u32 v8, s9, v3
	s_add_i32 s85, s85, 4
	s_add_u32 s56, s56, 16
	s_addc_u32 s57, s57, 0
	v_add_u32_e32 v8, v3, v8
	v_lshrrev_b32_e32 v8, s10, v8
	v_mul_lo_u32 v9, v8, s8
	v_mul_hi_u32 v20, s12, v8
	s_cmp_eq_u32 s83, s85
	v_sub_u32_e32 v3, v3, v9
	v_add_u32_e32 v9, v8, v20
	v_lshrrev_b32_e32 v9, s13, v9
	v_mul_lo_u32 v20, v3, s24
	v_mul_hi_u32 v3, s15, v9
	v_mul_lo_u32 v22, v9, s11
	v_add_u32_e32 v3, v9, v3
	v_lshrrev_b32_e32 v21, s20, v3
	v_mul_hi_u32 v3, s22, v21
	v_sub_u32_e32 v8, v8, v22
	v_mul_lo_u32 v22, v21, s14
	v_mul_lo_u32 v8, v8, s25
	v_add_u32_e32 v3, v21, v3
	v_lshrrev_b32_e32 v3, s23, v3
	v_mul_lo_u32 v23, v3, s21
	v_sub_u32_e32 v9, v9, v22
	v_mul_lo_u32 v9, v9, s26
	v_add3_u32 v2, v20, v2, v8
	v_sub_u32_e32 v21, v21, v23
	v_mul_lo_u32 v21, v21, s27
	v_add3_u32 v2, v9, v2, v21
	s_cbranch_scc0 .LBB119_355
	s_branch .LBB119_359
.LBB119_356:
	s_mov_b64 s[8:9], -1
                                        ; implicit-def: $vgpr2
	s_branch .LBB119_363
.LBB119_357:
	v_mov_b32_e32 v2, 0
	s_branch .LBB119_362
.LBB119_358:
	v_mov_b32_e32 v2, 0
	s_mov_b32 s83, 0
	v_mov_b32_e32 v3, v11
.LBB119_359:
	s_and_b32 s12, s84, 3
	s_cmp_eq_u32 s12, 0
	s_cbranch_scc1 .LBB119_362
; %bb.360:
	s_lshl_b32 s8, s83, 2
	s_add_u32 s8, s28, s8
	s_addc_u32 s9, s29, 0
	s_add_u32 s8, s8, 0xc4
	s_addc_u32 s9, s9, 0
	s_mul_i32 s10, s83, 12
	s_add_u32 s10, s28, s10
	s_addc_u32 s11, s29, 0
.LBB119_361:                            ; =>This Inner Loop Header: Depth=1
	s_load_dwordx2 s[14:15], s[10:11], 0x4
	s_load_dword s13, s[10:11], 0xc
	s_add_u32 s10, s10, 12
	s_addc_u32 s11, s11, 0
	s_waitcnt lgkmcnt(0)
	v_mul_hi_u32 v8, s15, v3
	s_load_dword s15, s[8:9], 0x0
	s_add_u32 s8, s8, 4
	s_addc_u32 s9, s9, 0
	v_add_u32_e32 v8, v3, v8
	v_lshrrev_b32_e32 v8, s13, v8
	v_mul_lo_u32 v9, v8, s14
	s_add_i32 s12, s12, -1
	s_cmp_lg_u32 s12, 0
	v_sub_u32_e32 v3, v3, v9
	s_waitcnt lgkmcnt(0)
	v_mad_u64_u32 v[2:3], s[14:15], v3, s15, v[2:3]
	v_mov_b32_e32 v3, v8
	s_cbranch_scc1 .LBB119_361
.LBB119_362:
	s_mov_b64 s[8:9], 0
.LBB119_363:
	s_andn2_b64 vcc, exec, s[8:9]
	s_cbranch_vccnz .LBB119_366
; %bb.364:
	v_mul_hi_u32 v2, s17, v11
	s_andn2_b64 vcc, exec, s[54:55]
	v_add_u32_e32 v2, v11, v2
	v_lshrrev_b32_e32 v3, s18, v2
	v_mul_lo_u32 v2, v3, s16
	v_sub_u32_e32 v2, v11, v2
	v_mul_lo_u32 v2, v2, s50
	s_cbranch_vccnz .LBB119_366
; %bb.365:
	v_mul_hi_u32 v8, s52, v3
	v_add_u32_e32 v8, v3, v8
	v_lshrrev_b32_e32 v8, s53, v8
	v_mul_lo_u32 v8, v8, s19
	v_sub_u32_e32 v3, v3, v8
	v_mad_u64_u32 v[2:3], s[8:9], v3, s51, v[2:3]
.LBB119_366:
	v_mov_b32_e32 v3, s49
	s_and_b32 s12, 0xffff, s75
	v_add_co_u32_e32 v8, vcc, s48, v2
	s_cmp_lt_i32 s12, 11
	v_addc_co_u32_e32 v9, vcc, 0, v3, vcc
	s_cbranch_scc1 .LBB119_416
; %bb.367:
	s_mov_b64 s[10:11], -1
	s_cmp_gt_i32 s12, 25
	s_mov_b64 s[8:9], s[70:71]
	s_cbranch_scc0 .LBB119_395
; %bb.368:
	s_cmp_gt_i32 s12, 28
	s_mov_b64 s[8:9], s[70:71]
	s_cbranch_scc0 .LBB119_382
; %bb.369:
	;; [unrolled: 4-line block ×4, first 2 shown]
	s_cmp_eq_u32 s12, 46
	s_mov_b64 s[8:9], -1
	s_cbranch_scc0 .LBB119_373
; %bb.372:
	global_store_dword v[8:9], v14, off
	s_mov_b64 s[8:9], 0
.LBB119_373:
	s_mov_b64 s[10:11], 0
.LBB119_374:
	s_and_b64 vcc, exec, s[10:11]
	s_cbranch_vccz .LBB119_377
; %bb.375:
	s_cmp_eq_u32 s12, 44
	s_mov_b64 s[8:9], -1
	s_cbranch_scc0 .LBB119_377
; %bb.376:
	v_mov_b32_e32 v2, 0xffff
	v_cndmask_b32_e64 v2, v19, v2, s[4:5]
	global_store_byte v[8:9], v2, off
	s_mov_b64 s[8:9], 0
.LBB119_377:
	s_mov_b64 s[10:11], 0
.LBB119_378:
	s_and_b64 vcc, exec, s[10:11]
	s_cbranch_vccz .LBB119_381
; %bb.379:
	s_cmp_eq_u32 s12, 29
	s_mov_b64 s[8:9], -1
	s_cbranch_scc0 .LBB119_381
; %bb.380:
	global_store_dwordx2 v[8:9], v[6:7], off
	s_mov_b64 s[8:9], 0
.LBB119_381:
	s_mov_b64 s[10:11], 0
.LBB119_382:
	s_and_b64 vcc, exec, s[10:11]
	s_cbranch_vccz .LBB119_394
; %bb.383:
	s_cmp_lt_i32 s12, 27
	s_mov_b64 s[4:5], -1
	s_cbranch_scc1 .LBB119_389
; %bb.384:
	s_cmp_gt_i32 s12, 27
	s_cbranch_scc0 .LBB119_386
; %bb.385:
	s_mov_b64 s[4:5], 0
	global_store_dword v[8:9], v18, off
.LBB119_386:
	s_andn2_b64 vcc, exec, s[4:5]
	s_cbranch_vccnz .LBB119_388
; %bb.387:
	global_store_short v[8:9], v18, off
.LBB119_388:
	s_mov_b64 s[4:5], 0
.LBB119_389:
	s_andn2_b64 vcc, exec, s[4:5]
	s_cbranch_vccnz .LBB119_394
; %bb.390:
	s_andn2_b64 vcc, exec, s[44:45]
	v_mov_b32_e32 v2, 0x80
	s_cbranch_vccnz .LBB119_393
; %bb.391:
	s_or_b64 s[4:5], s[2:3], s[46:47]
	s_andn2_b64 vcc, exec, s[4:5]
	v_mov_b32_e32 v2, 0
	s_cbranch_vccnz .LBB119_393
; %bb.392:
	v_mov_b32_e32 v2, s82
	v_cndmask_b32_e64 v2, v17, v2, s[2:3]
	v_or_b32_e32 v2, s78, v2
.LBB119_393:
	global_store_byte v[8:9], v2, off
.LBB119_394:
	s_mov_b64 s[10:11], 0
.LBB119_395:
	s_mov_b64 s[2:3], 0
	s_and_b64 vcc, exec, s[10:11]
	s_cbranch_vccz .LBB119_417
; %bb.396:
	s_cmp_gt_i32 s12, 22
	s_mov_b64 s[4:5], -1
	s_cbranch_scc0 .LBB119_409
; %bb.397:
	s_cmp_lt_i32 s12, 24
	s_cbranch_scc1 .LBB119_406
; %bb.398:
	s_cmp_gt_i32 s12, 24
	s_cbranch_scc0 .LBB119_403
; %bb.399:
	s_andn2_b64 vcc, exec, s[40:41]
	v_mov_b32_e32 v2, 0x80
	s_cbranch_vccnz .LBB119_402
; %bb.400:
	s_or_b64 s[4:5], s[0:1], s[42:43]
	s_andn2_b64 vcc, exec, s[4:5]
	v_mov_b32_e32 v2, 0
	s_cbranch_vccnz .LBB119_402
; %bb.401:
	v_cndmask_b32_e64 v2, v16, v15, s[0:1]
	v_or_b32_e32 v2, s78, v2
.LBB119_402:
	s_mov_b64 s[4:5], 0
	global_store_byte v[8:9], v2, off
.LBB119_403:
	s_and_b64 vcc, exec, s[4:5]
	s_cbranch_vccz .LBB119_405
; %bb.404:
	s_and_b64 s[0:1], s[38:39], exec
	s_cselect_b32 s4, s80, s79
	s_and_b64 s[0:1], s[36:37], exec
	s_cselect_b32 s0, s81, s4
	s_or_b32 s0, s0, s78
	v_mov_b32_e32 v2, s0
	global_store_byte v[8:9], v2, off
.LBB119_405:
	s_mov_b64 s[4:5], 0
.LBB119_406:
	s_andn2_b64 vcc, exec, s[4:5]
	s_cbranch_vccnz .LBB119_408
; %bb.407:
	v_mov_b32_e32 v2, s77
	global_store_byte v[8:9], v2, off
.LBB119_408:
	s_mov_b64 s[4:5], 0
.LBB119_409:
	s_andn2_b64 vcc, exec, s[4:5]
	s_mov_b64 s[0:1], 0
	s_cbranch_vccnz .LBB119_418
; %bb.410:
	s_cmp_gt_i32 s12, 14
	s_mov_b64 s[4:5], -1
	s_cbranch_scc0 .LBB119_414
; %bb.411:
	s_cmp_eq_u32 s12, 15
	s_mov_b64 s[8:9], -1
	s_cbranch_scc0 .LBB119_413
; %bb.412:
	global_store_short v[8:9], v14, off
	s_mov_b64 s[8:9], 0
.LBB119_413:
	s_mov_b64 s[4:5], 0
.LBB119_414:
	s_and_b64 vcc, exec, s[4:5]
	s_cbranch_vccz .LBB119_418
; %bb.415:
	s_cmp_lg_u32 s12, 11
	s_cselect_b64 s[4:5], -1, 0
	s_andn2_b64 s[8:9], s[8:9], exec
	s_and_b64 s[4:5], s[4:5], exec
	s_mov_b64 s[0:1], -1
	s_or_b64 s[8:9], s[8:9], s[4:5]
	s_branch .LBB119_418
.LBB119_416:
	s_mov_b64 s[0:1], 0
	s_mov_b64 s[2:3], -1
	s_mov_b64 s[8:9], s[70:71]
	s_branch .LBB119_418
.LBB119_417:
	s_mov_b64 s[0:1], 0
.LBB119_418:
	s_and_b64 s[14:15], s[2:3], exec
	s_and_b64 s[10:11], s[0:1], exec
	s_andn2_b64 s[0:1], s[70:71], exec
	s_and_b64 s[2:3], s[8:9], exec
	s_or_b64 s[12:13], s[0:1], s[2:3]
.LBB119_419:
	s_or_b64 exec, exec, s[72:73]
	s_andn2_b64 s[0:1], s[70:71], exec
	s_and_b64 s[2:3], s[12:13], exec
	s_and_b64 s[14:15], s[14:15], exec
	;; [unrolled: 1-line block ×3, first 2 shown]
	s_or_b64 s[70:71], s[0:1], s[2:3]
.LBB119_420:
	s_or_b64 exec, exec, s[68:69]
	s_andn2_b64 s[0:1], s[64:65], exec
	s_and_b64 s[2:3], s[70:71], exec
	s_and_b64 s[12:13], s[14:15], exec
	;; [unrolled: 1-line block ×3, first 2 shown]
	s_or_b64 s[64:65], s[0:1], s[2:3]
.LBB119_421:
	s_or_b64 exec, exec, s[66:67]
	s_andn2_b64 s[0:1], s[60:61], exec
	s_and_b64 s[2:3], s[64:65], exec
	s_and_b64 s[8:9], s[12:13], exec
	;; [unrolled: 1-line block ×3, first 2 shown]
	s_or_b64 s[60:61], s[0:1], s[2:3]
	s_or_b64 exec, exec, s[62:63]
	s_mov_b64 s[0:1], 0
	s_and_saveexec_b64 s[2:3], s[60:61]
	s_cbranch_execz .LBB119_122
.LBB119_422:
	s_mov_b64 s[0:1], exec
	s_andn2_b64 s[66:67], s[66:67], exec
	s_trap 2
	s_or_b64 exec, exec, s[2:3]
	s_and_saveexec_b64 s[2:3], s[66:67]
	s_xor_b64 s[2:3], exec, s[2:3]
	s_cbranch_execnz .LBB119_123
.LBB119_423:
	s_or_b64 exec, exec, s[2:3]
	s_and_saveexec_b64 s[2:3], s[8:9]
	s_xor_b64 s[2:3], exec, s[2:3]
	s_cbranch_execz .LBB119_461
.LBB119_424:
	s_sext_i32_i16 s8, s75
	s_cmp_lt_i32 s8, 5
	s_mov_b64 s[4:5], -1
	s_cbranch_scc1 .LBB119_445
; %bb.425:
	s_cmp_lt_i32 s8, 8
	s_cbranch_scc1 .LBB119_435
; %bb.426:
	s_cmp_lt_i32 s8, 9
	s_cbranch_scc1 .LBB119_432
; %bb.427:
	s_cmp_gt_i32 s8, 9
	s_cbranch_scc0 .LBB119_429
; %bb.428:
	v_mov_b32_e32 v2, 0
	v_mov_b32_e32 v3, v2
	s_mov_b64 s[4:5], 0
	global_store_dwordx4 v[8:9], v[0:3], off
.LBB119_429:
	s_andn2_b64 vcc, exec, s[4:5]
	s_cbranch_vccnz .LBB119_431
; %bb.430:
	v_mov_b32_e32 v2, s76
	v_mov_b32_e32 v3, 0
	global_store_dwordx2 v[8:9], v[2:3], off
.LBB119_431:
	s_mov_b64 s[4:5], 0
.LBB119_432:
	s_andn2_b64 vcc, exec, s[4:5]
	s_cbranch_vccnz .LBB119_434
; %bb.433:
	global_store_dword v[8:9], v12, off
.LBB119_434:
	s_mov_b64 s[4:5], 0
.LBB119_435:
	s_andn2_b64 vcc, exec, s[4:5]
	s_cbranch_vccnz .LBB119_444
; %bb.436:
	s_sext_i32_i16 s8, s75
	s_cmp_lt_i32 s8, 6
	s_mov_b64 s[4:5], -1
	s_cbranch_scc1 .LBB119_442
; %bb.437:
	s_cmp_gt_i32 s8, 6
	s_cbranch_scc0 .LBB119_439
; %bb.438:
	s_mov_b64 s[4:5], 0
	global_store_dwordx2 v[8:9], v[0:1], off
.LBB119_439:
	s_andn2_b64 vcc, exec, s[4:5]
	s_cbranch_vccnz .LBB119_441
; %bb.440:
	v_mov_b32_e32 v0, s76
	global_store_dword v[8:9], v0, off
.LBB119_441:
	s_mov_b64 s[4:5], 0
.LBB119_442:
	s_andn2_b64 vcc, exec, s[4:5]
	s_cbranch_vccnz .LBB119_444
; %bb.443:
	global_store_short v[8:9], v12, off
.LBB119_444:
	s_mov_b64 s[4:5], 0
.LBB119_445:
	s_andn2_b64 vcc, exec, s[4:5]
	s_cbranch_vccnz .LBB119_461
; %bb.446:
	s_sext_i32_i16 s8, s75
	s_cmp_lt_i32 s8, 2
	s_mov_b64 s[4:5], -1
	s_cbranch_scc1 .LBB119_456
; %bb.447:
	s_cmp_lt_i32 s8, 3
	s_cbranch_scc1 .LBB119_453
; %bb.448:
	s_cmp_gt_i32 s8, 3
	s_cbranch_scc0 .LBB119_450
; %bb.449:
	s_mov_b64 s[4:5], 0
	global_store_dwordx2 v[8:9], v[4:5], off
.LBB119_450:
	s_andn2_b64 vcc, exec, s[4:5]
	s_cbranch_vccnz .LBB119_452
; %bb.451:
	global_store_dword v[8:9], v10, off
.LBB119_452:
	s_mov_b64 s[4:5], 0
.LBB119_453:
	s_andn2_b64 vcc, exec, s[4:5]
	s_cbranch_vccnz .LBB119_455
; %bb.454:
	global_store_short v[8:9], v10, off
.LBB119_455:
	s_mov_b64 s[4:5], 0
.LBB119_456:
	s_andn2_b64 vcc, exec, s[4:5]
	s_cbranch_vccnz .LBB119_461
; %bb.457:
	s_sext_i32_i16 s4, s75
	s_cmp_gt_i32 s4, 0
	s_mov_b64 s[4:5], -1
	s_cbranch_scc0 .LBB119_459
; %bb.458:
	s_mov_b64 s[4:5], 0
	global_store_byte v[8:9], v10, off
.LBB119_459:
	s_andn2_b64 vcc, exec, s[4:5]
	s_cbranch_vccnz .LBB119_461
; %bb.460:
	global_store_byte v[8:9], v4, off
.LBB119_461:
	s_or_b64 exec, exec, s[2:3]
	s_and_b64 s[20:21], s[0:1], exec
                                        ; implicit-def: $vgpr8
                                        ; implicit-def: $vgpr11
.LBB119_462:
	s_or_saveexec_b64 s[22:23], s[34:35]
	s_mov_b64 s[2:3], 0
                                        ; implicit-def: $sgpr13
                                        ; implicit-def: $vgpr0_vgpr1
                                        ; implicit-def: $sgpr12
	s_xor_b64 exec, exec, s[22:23]
	s_cbranch_execz .LBB119_915
; %bb.463:
	v_cndmask_b32_e64 v0, 0, 1, s[30:31]
	v_cmp_ne_u32_e64 s[0:1], 1, v0
	s_andn2_b64 vcc, exec, s[30:31]
	s_cbranch_vccnz .LBB119_469
; %bb.464:
	s_cmp_lg_u32 s33, 0
	s_mov_b32 s26, 0
	s_cbranch_scc0 .LBB119_470
; %bb.465:
	s_min_u32 s27, s74, 15
	s_add_i32 s27, s27, 1
	s_cmp_eq_u32 s74, 2
	s_cbranch_scc1 .LBB119_471
; %bb.466:
	s_and_b32 s26, s27, 28
	s_add_u32 s2, s28, 0xc4
	s_addc_u32 s3, s29, 0
	s_mov_b32 s30, 0
	v_mov_b32_e32 v6, 0
	s_mov_b64 s[24:25], s[28:29]
	v_mov_b32_e32 v0, v11
.LBB119_467:                            ; =>This Inner Loop Header: Depth=1
	s_load_dwordx8 s[4:11], s[24:25], 0x4
	s_load_dwordx4 s[12:15], s[24:25], 0x24
	s_load_dwordx4 s[16:19], s[2:3], 0x0
	s_add_u32 s24, s24, 48
	s_addc_u32 s25, s25, 0
	s_waitcnt lgkmcnt(0)
	v_mul_hi_u32 v1, s5, v0
	s_add_i32 s30, s30, 4
	s_add_u32 s2, s2, 16
	s_addc_u32 s3, s3, 0
	v_add_u32_e32 v1, v0, v1
	v_lshrrev_b32_e32 v1, s6, v1
	v_mul_lo_u32 v2, v1, s4
	v_mul_hi_u32 v3, s8, v1
	s_cmp_lg_u32 s26, s30
	v_sub_u32_e32 v0, v0, v2
	v_add_u32_e32 v2, v1, v3
	v_lshrrev_b32_e32 v2, s9, v2
	v_mul_lo_u32 v3, v0, s16
	v_mul_hi_u32 v0, s11, v2
	v_mul_lo_u32 v5, v2, s7
	v_add_u32_e32 v0, v2, v0
	v_lshrrev_b32_e32 v4, s12, v0
	v_mul_hi_u32 v0, s14, v4
	v_sub_u32_e32 v1, v1, v5
	v_mul_lo_u32 v5, v4, s10
	v_mul_lo_u32 v1, v1, s17
	v_add_u32_e32 v0, v4, v0
	v_lshrrev_b32_e32 v0, s15, v0
	v_mul_lo_u32 v7, v0, s13
	v_sub_u32_e32 v2, v2, v5
	v_mul_lo_u32 v2, v2, s18
	v_add3_u32 v1, v3, v6, v1
	v_sub_u32_e32 v4, v4, v7
	v_mul_lo_u32 v4, v4, s19
	v_add3_u32 v6, v2, v1, v4
	s_cbranch_scc1 .LBB119_467
; %bb.468:
	s_and_b32 s6, s27, 3
	s_cmp_eq_u32 s6, 0
	s_cbranch_scc0 .LBB119_472
	s_branch .LBB119_474
.LBB119_469:
                                        ; implicit-def: $vgpr6
	s_branch .LBB119_475
.LBB119_470:
	v_mov_b32_e32 v6, 0
	s_branch .LBB119_474
.LBB119_471:
	v_mov_b32_e32 v6, 0
	v_mov_b32_e32 v0, v11
	s_and_b32 s6, s27, 3
	s_cmp_eq_u32 s6, 0
	s_cbranch_scc1 .LBB119_474
.LBB119_472:
	s_lshl_b32 s2, s26, 2
	s_add_u32 s2, s28, s2
	s_addc_u32 s3, s29, 0
	s_add_u32 s2, s2, 0xc4
	s_addc_u32 s3, s3, 0
	s_mul_i32 s4, s26, 12
	s_add_u32 s4, s28, s4
	s_addc_u32 s5, s29, 0
.LBB119_473:                            ; =>This Inner Loop Header: Depth=1
	s_load_dwordx2 s[8:9], s[4:5], 0x4
	s_load_dword s7, s[4:5], 0xc
	s_add_u32 s4, s4, 12
	s_addc_u32 s5, s5, 0
	s_waitcnt lgkmcnt(0)
	v_mul_hi_u32 v1, s9, v0
	s_load_dword s9, s[2:3], 0x0
	s_add_u32 s2, s2, 4
	s_addc_u32 s3, s3, 0
	v_add_u32_e32 v1, v0, v1
	v_lshrrev_b32_e32 v1, s7, v1
	v_mul_lo_u32 v2, v1, s8
	s_add_i32 s6, s6, -1
	s_cmp_lg_u32 s6, 0
	v_sub_u32_e32 v0, v0, v2
	s_waitcnt lgkmcnt(0)
	v_mad_u64_u32 v[6:7], s[8:9], v0, s9, v[6:7]
	v_mov_b32_e32 v0, v1
	s_cbranch_scc1 .LBB119_473
.LBB119_474:
	s_cbranch_execnz .LBB119_477
.LBB119_475:
	s_load_dwordx4 s[4:7], s[28:29], 0x4
	s_load_dword s2, s[28:29], 0xc4
	s_cmp_lt_u32 s33, 2
	s_waitcnt lgkmcnt(0)
	v_mul_hi_u32 v0, s5, v11
	v_add_u32_e32 v0, v11, v0
	v_lshrrev_b32_e32 v0, s6, v0
	v_mul_lo_u32 v1, v0, s4
	v_sub_u32_e32 v1, v11, v1
	v_mul_lo_u32 v6, v1, s2
	s_cbranch_scc1 .LBB119_477
; %bb.476:
	s_load_dwordx4 s[4:7], s[28:29], 0x10
	s_load_dword s2, s[28:29], 0xc8
	s_waitcnt lgkmcnt(0)
	v_mul_hi_u32 v1, s5, v0
	v_add_u32_e32 v1, v0, v1
	v_lshrrev_b32_e32 v1, s6, v1
	v_mul_lo_u32 v1, v1, s4
	v_sub_u32_e32 v0, v0, v1
	v_mad_u64_u32 v[6:7], s[2:3], v0, s2, v[6:7]
.LBB119_477:
	s_and_b64 vcc, exec, s[0:1]
	v_add_u32_e32 v0, 0x80, v11
	s_cbranch_vccnz .LBB119_483
; %bb.478:
	s_cmp_lg_u32 s33, 0
	s_mov_b32 s26, 0
	s_cbranch_scc0 .LBB119_484
; %bb.479:
	s_min_u32 s27, s74, 15
	s_add_i32 s27, s27, 1
	s_cmp_eq_u32 s74, 2
	s_cbranch_scc1 .LBB119_485
; %bb.480:
	s_and_b32 s26, s27, 28
	s_add_u32 s2, s28, 0xc4
	s_addc_u32 s3, s29, 0
	s_mov_b32 s30, 0
	v_mov_b32_e32 v4, 0
	s_mov_b64 s[24:25], s[28:29]
	v_mov_b32_e32 v1, v0
.LBB119_481:                            ; =>This Inner Loop Header: Depth=1
	s_load_dwordx8 s[4:11], s[24:25], 0x4
	s_load_dwordx4 s[12:15], s[24:25], 0x24
	s_load_dwordx4 s[16:19], s[2:3], 0x0
	s_add_u32 s24, s24, 48
	s_addc_u32 s25, s25, 0
	s_waitcnt lgkmcnt(0)
	v_mul_hi_u32 v2, s5, v1
	s_add_i32 s30, s30, 4
	s_add_u32 s2, s2, 16
	s_addc_u32 s3, s3, 0
	v_add_u32_e32 v2, v1, v2
	v_lshrrev_b32_e32 v2, s6, v2
	v_mul_lo_u32 v3, v2, s4
	v_mul_hi_u32 v5, s8, v2
	s_cmp_lg_u32 s26, s30
	v_sub_u32_e32 v1, v1, v3
	v_add_u32_e32 v3, v2, v5
	v_lshrrev_b32_e32 v3, s9, v3
	v_mul_lo_u32 v5, v1, s16
	v_mul_hi_u32 v1, s11, v3
	v_mul_lo_u32 v9, v3, s7
	v_add_u32_e32 v1, v3, v1
	v_lshrrev_b32_e32 v7, s12, v1
	v_mul_hi_u32 v1, s14, v7
	v_sub_u32_e32 v2, v2, v9
	v_mul_lo_u32 v9, v7, s10
	v_mul_lo_u32 v2, v2, s17
	v_add_u32_e32 v1, v7, v1
	v_lshrrev_b32_e32 v1, s15, v1
	v_mul_lo_u32 v10, v1, s13
	v_sub_u32_e32 v3, v3, v9
	v_mul_lo_u32 v3, v3, s18
	v_add3_u32 v2, v5, v4, v2
	v_sub_u32_e32 v7, v7, v10
	v_mul_lo_u32 v7, v7, s19
	v_add3_u32 v4, v3, v2, v7
	s_cbranch_scc1 .LBB119_481
; %bb.482:
	s_and_b32 s6, s27, 3
	s_cmp_eq_u32 s6, 0
	s_cbranch_scc0 .LBB119_486
	s_branch .LBB119_488
.LBB119_483:
                                        ; implicit-def: $vgpr4
	s_branch .LBB119_489
.LBB119_484:
	v_mov_b32_e32 v4, 0
	s_branch .LBB119_488
.LBB119_485:
	v_mov_b32_e32 v4, 0
	v_mov_b32_e32 v1, v0
	s_and_b32 s6, s27, 3
	s_cmp_eq_u32 s6, 0
	s_cbranch_scc1 .LBB119_488
.LBB119_486:
	s_lshl_b32 s2, s26, 2
	s_add_u32 s2, s28, s2
	s_addc_u32 s3, s29, 0
	s_add_u32 s2, s2, 0xc4
	s_addc_u32 s3, s3, 0
	s_mul_i32 s4, s26, 12
	s_add_u32 s4, s28, s4
	s_addc_u32 s5, s29, 0
.LBB119_487:                            ; =>This Inner Loop Header: Depth=1
	s_load_dwordx2 s[8:9], s[4:5], 0x4
	s_load_dword s7, s[4:5], 0xc
	s_add_u32 s4, s4, 12
	s_addc_u32 s5, s5, 0
	s_waitcnt lgkmcnt(0)
	v_mul_hi_u32 v2, s9, v1
	s_load_dword s9, s[2:3], 0x0
	s_add_u32 s2, s2, 4
	s_addc_u32 s3, s3, 0
	v_add_u32_e32 v2, v1, v2
	v_lshrrev_b32_e32 v2, s7, v2
	v_mul_lo_u32 v3, v2, s8
	s_add_i32 s6, s6, -1
	s_cmp_lg_u32 s6, 0
	v_sub_u32_e32 v1, v1, v3
	s_waitcnt lgkmcnt(0)
	v_mad_u64_u32 v[4:5], s[8:9], v1, s9, v[4:5]
	v_mov_b32_e32 v1, v2
	s_cbranch_scc1 .LBB119_487
.LBB119_488:
	s_cbranch_execnz .LBB119_491
.LBB119_489:
	s_load_dwordx4 s[4:7], s[28:29], 0x4
	s_load_dword s2, s[28:29], 0xc4
	s_cmp_lt_u32 s33, 2
	s_waitcnt lgkmcnt(0)
	v_mul_hi_u32 v1, s5, v0
	v_add_u32_e32 v1, v0, v1
	v_lshrrev_b32_e32 v1, s6, v1
	v_mul_lo_u32 v2, v1, s4
	v_sub_u32_e32 v0, v0, v2
	v_mul_lo_u32 v4, v0, s2
	s_cbranch_scc1 .LBB119_491
; %bb.490:
	s_load_dwordx4 s[4:7], s[28:29], 0x10
	s_load_dword s2, s[28:29], 0xc8
	s_waitcnt lgkmcnt(0)
	v_mul_hi_u32 v0, s5, v1
	v_add_u32_e32 v0, v1, v0
	v_lshrrev_b32_e32 v0, s6, v0
	v_mul_lo_u32 v0, v0, s4
	v_sub_u32_e32 v0, v1, v0
	v_mad_u64_u32 v[4:5], s[2:3], v0, s2, v[4:5]
.LBB119_491:
	s_and_b64 vcc, exec, s[0:1]
	v_add_u32_e32 v0, 0x100, v11
	s_cbranch_vccnz .LBB119_497
; %bb.492:
	s_cmp_lg_u32 s33, 0
	s_mov_b32 s26, 0
	s_cbranch_scc0 .LBB119_498
; %bb.493:
	s_min_u32 s27, s74, 15
	s_add_i32 s27, s27, 1
	s_cmp_eq_u32 s74, 2
	s_cbranch_scc1 .LBB119_499
; %bb.494:
	s_and_b32 s26, s27, 28
	s_add_u32 s2, s28, 0xc4
	s_addc_u32 s3, s29, 0
	s_mov_b32 s30, 0
	v_mov_b32_e32 v2, 0
	s_mov_b64 s[24:25], s[28:29]
	v_mov_b32_e32 v1, v0
.LBB119_495:                            ; =>This Inner Loop Header: Depth=1
	s_load_dwordx8 s[4:11], s[24:25], 0x4
	s_load_dwordx4 s[12:15], s[24:25], 0x24
	s_load_dwordx4 s[16:19], s[2:3], 0x0
	s_add_u32 s24, s24, 48
	s_addc_u32 s25, s25, 0
	s_waitcnt lgkmcnt(0)
	v_mul_hi_u32 v3, s5, v1
	s_add_i32 s30, s30, 4
	s_add_u32 s2, s2, 16
	s_addc_u32 s3, s3, 0
	v_add_u32_e32 v3, v1, v3
	v_lshrrev_b32_e32 v3, s6, v3
	v_mul_lo_u32 v5, v3, s4
	v_mul_hi_u32 v7, s8, v3
	s_cmp_lg_u32 s26, s30
	v_sub_u32_e32 v1, v1, v5
	v_add_u32_e32 v5, v3, v7
	v_lshrrev_b32_e32 v5, s9, v5
	v_mul_lo_u32 v7, v1, s16
	v_mul_hi_u32 v1, s11, v5
	v_mul_lo_u32 v10, v5, s7
	v_add_u32_e32 v1, v5, v1
	v_lshrrev_b32_e32 v9, s12, v1
	v_mul_hi_u32 v1, s14, v9
	v_sub_u32_e32 v3, v3, v10
	v_mul_lo_u32 v10, v9, s10
	v_mul_lo_u32 v3, v3, s17
	v_add_u32_e32 v1, v9, v1
	v_lshrrev_b32_e32 v1, s15, v1
	v_mul_lo_u32 v11, v1, s13
	v_sub_u32_e32 v5, v5, v10
	v_mul_lo_u32 v5, v5, s18
	v_add3_u32 v2, v7, v2, v3
	v_sub_u32_e32 v9, v9, v11
	v_mul_lo_u32 v9, v9, s19
	v_add3_u32 v2, v5, v2, v9
	s_cbranch_scc1 .LBB119_495
; %bb.496:
	s_and_b32 s6, s27, 3
	s_cmp_eq_u32 s6, 0
	s_cbranch_scc0 .LBB119_500
	s_branch .LBB119_502
.LBB119_497:
                                        ; implicit-def: $vgpr2
	s_branch .LBB119_503
.LBB119_498:
	v_mov_b32_e32 v2, 0
	s_branch .LBB119_502
.LBB119_499:
	v_mov_b32_e32 v2, 0
	v_mov_b32_e32 v1, v0
	s_and_b32 s6, s27, 3
	s_cmp_eq_u32 s6, 0
	s_cbranch_scc1 .LBB119_502
.LBB119_500:
	s_lshl_b32 s2, s26, 2
	s_add_u32 s2, s28, s2
	s_addc_u32 s3, s29, 0
	s_add_u32 s2, s2, 0xc4
	s_addc_u32 s3, s3, 0
	s_mul_i32 s4, s26, 12
	s_add_u32 s4, s28, s4
	s_addc_u32 s5, s29, 0
.LBB119_501:                            ; =>This Inner Loop Header: Depth=1
	s_load_dwordx2 s[8:9], s[4:5], 0x4
	s_load_dword s7, s[4:5], 0xc
	s_add_u32 s4, s4, 12
	s_addc_u32 s5, s5, 0
	s_waitcnt lgkmcnt(0)
	v_mul_hi_u32 v3, s9, v1
	s_load_dword s9, s[2:3], 0x0
	s_add_u32 s2, s2, 4
	s_addc_u32 s3, s3, 0
	v_add_u32_e32 v3, v1, v3
	v_lshrrev_b32_e32 v5, s7, v3
	v_mul_lo_u32 v3, v5, s8
	s_add_i32 s6, s6, -1
	s_cmp_lg_u32 s6, 0
	v_sub_u32_e32 v1, v1, v3
	s_waitcnt lgkmcnt(0)
	v_mad_u64_u32 v[2:3], s[8:9], v1, s9, v[2:3]
	v_mov_b32_e32 v1, v5
	s_cbranch_scc1 .LBB119_501
.LBB119_502:
	s_cbranch_execnz .LBB119_505
.LBB119_503:
	s_load_dwordx4 s[4:7], s[28:29], 0x4
	s_load_dword s2, s[28:29], 0xc4
	s_cmp_lt_u32 s33, 2
	s_waitcnt lgkmcnt(0)
	v_mul_hi_u32 v1, s5, v0
	v_add_u32_e32 v1, v0, v1
	v_lshrrev_b32_e32 v1, s6, v1
	v_mul_lo_u32 v2, v1, s4
	v_sub_u32_e32 v0, v0, v2
	v_mul_lo_u32 v2, v0, s2
	s_cbranch_scc1 .LBB119_505
; %bb.504:
	s_load_dwordx4 s[4:7], s[28:29], 0x10
	s_load_dword s2, s[28:29], 0xc8
	s_waitcnt lgkmcnt(0)
	v_mul_hi_u32 v0, s5, v1
	v_add_u32_e32 v0, v1, v0
	v_lshrrev_b32_e32 v0, s6, v0
	v_mul_lo_u32 v0, v0, s4
	v_sub_u32_e32 v0, v1, v0
	v_mad_u64_u32 v[2:3], s[2:3], v0, s2, v[2:3]
.LBB119_505:
	s_and_b64 vcc, exec, s[0:1]
	s_cbranch_vccnz .LBB119_511
; %bb.506:
	s_cmp_lg_u32 s33, 0
	s_mov_b32 s24, 0
	s_cbranch_scc0 .LBB119_512
; %bb.507:
	s_min_u32 s25, s74, 15
	s_add_i32 s25, s25, 1
	s_cmp_eq_u32 s74, 2
	s_cbranch_scc1 .LBB119_513
; %bb.508:
	s_and_b32 s24, s25, 28
	s_add_u32 s16, s28, 0xc4
	s_addc_u32 s17, s29, 0
	s_mov_b32 s26, 0
	v_mov_b32_e32 v0, 0
	s_mov_b64 s[18:19], s[28:29]
	v_mov_b32_e32 v1, v8
.LBB119_509:                            ; =>This Inner Loop Header: Depth=1
	s_load_dwordx8 s[0:7], s[18:19], 0x4
	s_load_dwordx4 s[8:11], s[18:19], 0x24
	s_load_dwordx4 s[12:15], s[16:17], 0x0
	s_add_u32 s18, s18, 48
	s_addc_u32 s19, s19, 0
	s_waitcnt lgkmcnt(0)
	v_mul_hi_u32 v3, s1, v1
	s_add_i32 s26, s26, 4
	s_add_u32 s16, s16, 16
	s_addc_u32 s17, s17, 0
	v_add_u32_e32 v3, v1, v3
	v_lshrrev_b32_e32 v3, s2, v3
	v_mul_lo_u32 v5, v3, s0
	v_mul_hi_u32 v7, s4, v3
	s_cmp_lg_u32 s24, s26
	v_sub_u32_e32 v1, v1, v5
	v_add_u32_e32 v5, v3, v7
	v_lshrrev_b32_e32 v5, s5, v5
	v_mul_lo_u32 v7, v1, s12
	v_mul_hi_u32 v1, s7, v5
	v_mul_lo_u32 v10, v5, s3
	v_add_u32_e32 v1, v5, v1
	v_lshrrev_b32_e32 v9, s8, v1
	v_mul_hi_u32 v1, s10, v9
	v_sub_u32_e32 v3, v3, v10
	v_mul_lo_u32 v10, v9, s6
	v_mul_lo_u32 v3, v3, s13
	v_add_u32_e32 v1, v9, v1
	v_lshrrev_b32_e32 v1, s11, v1
	v_mul_lo_u32 v11, v1, s9
	v_sub_u32_e32 v5, v5, v10
	v_mul_lo_u32 v5, v5, s14
	v_add3_u32 v0, v7, v0, v3
	v_sub_u32_e32 v9, v9, v11
	v_mul_lo_u32 v9, v9, s15
	v_add3_u32 v0, v5, v0, v9
	s_cbranch_scc1 .LBB119_509
; %bb.510:
	s_and_b32 s4, s25, 3
	s_cmp_eq_u32 s4, 0
	s_cbranch_scc0 .LBB119_514
	s_branch .LBB119_516
.LBB119_511:
                                        ; implicit-def: $vgpr0
	s_branch .LBB119_517
.LBB119_512:
	v_mov_b32_e32 v0, 0
	s_branch .LBB119_516
.LBB119_513:
	v_mov_b32_e32 v0, 0
	v_mov_b32_e32 v1, v8
	s_and_b32 s4, s25, 3
	s_cmp_eq_u32 s4, 0
	s_cbranch_scc1 .LBB119_516
.LBB119_514:
	s_lshl_b32 s0, s24, 2
	s_add_u32 s0, s28, s0
	s_addc_u32 s1, s29, 0
	s_add_u32 s0, s0, 0xc4
	s_addc_u32 s1, s1, 0
	s_mul_i32 s2, s24, 12
	s_add_u32 s2, s28, s2
	s_addc_u32 s3, s29, 0
.LBB119_515:                            ; =>This Inner Loop Header: Depth=1
	s_load_dwordx2 s[6:7], s[2:3], 0x4
	s_load_dword s5, s[2:3], 0xc
	s_add_u32 s2, s2, 12
	s_addc_u32 s3, s3, 0
	s_waitcnt lgkmcnt(0)
	v_mul_hi_u32 v3, s7, v1
	s_load_dword s7, s[0:1], 0x0
	s_add_u32 s0, s0, 4
	s_addc_u32 s1, s1, 0
	v_add_u32_e32 v3, v1, v3
	v_lshrrev_b32_e32 v3, s5, v3
	v_mul_lo_u32 v5, v3, s6
	s_add_i32 s4, s4, -1
	s_cmp_lg_u32 s4, 0
	v_sub_u32_e32 v1, v1, v5
	s_waitcnt lgkmcnt(0)
	v_mad_u64_u32 v[0:1], s[6:7], v1, s7, v[0:1]
	v_mov_b32_e32 v1, v3
	s_cbranch_scc1 .LBB119_515
.LBB119_516:
	s_cbranch_execnz .LBB119_519
.LBB119_517:
	s_load_dwordx4 s[0:3], s[28:29], 0x4
	s_waitcnt lgkmcnt(0)
	s_load_dword s3, s[28:29], 0xc4
	s_cmp_lt_u32 s33, 2
	v_mul_hi_u32 v0, s1, v8
	v_add_u32_e32 v0, v8, v0
	v_lshrrev_b32_e32 v1, s2, v0
	v_mul_lo_u32 v0, v1, s0
	v_sub_u32_e32 v0, v8, v0
	s_waitcnt lgkmcnt(0)
	v_mul_lo_u32 v0, v0, s3
	s_cbranch_scc1 .LBB119_519
; %bb.518:
	s_load_dwordx4 s[0:3], s[28:29], 0x10
	s_waitcnt lgkmcnt(0)
	s_load_dword s3, s[28:29], 0xc8
	v_mul_hi_u32 v3, s1, v1
	v_add_u32_e32 v3, v1, v3
	v_lshrrev_b32_e32 v3, s2, v3
	v_mul_lo_u32 v3, v3, s0
	v_sub_u32_e32 v1, v1, v3
	s_waitcnt lgkmcnt(0)
	v_mad_u64_u32 v[0:1], s[0:1], v1, s3, v[0:1]
.LBB119_519:
	s_load_dwordx2 s[2:3], s[28:29], 0x108
	s_load_dword s12, s[28:29], 0x110
	s_waitcnt lgkmcnt(0)
	v_mov_b32_e32 v1, s3
	s_bfe_u32 s13, s12, 0x80008
	v_add_co_u32_e32 v5, vcc, s2, v6
	s_cmp_lt_i32 s13, 11
	v_addc_co_u32_e32 v6, vcc, 0, v1, vcc
	s_cbranch_scc1 .LBB119_547
; %bb.520:
	s_and_b32 s10, 0xffff, s13
	s_mov_b64 s[8:9], -1
	s_mov_b64 s[4:5], 0
	s_cmp_gt_i32 s10, 25
	s_mov_b64 s[6:7], 0
	s_mov_b64 s[0:1], 0
	s_cbranch_scc0 .LBB119_557
; %bb.521:
	s_cmp_gt_i32 s10, 28
	s_cbranch_scc0 .LBB119_536
; %bb.522:
	s_cmp_gt_i32 s10, 43
	;; [unrolled: 3-line block ×3, first 2 shown]
	s_cbranch_scc0 .LBB119_526
; %bb.524:
	s_mov_b64 s[0:1], -1
	s_mov_b64 s[8:9], 0
	s_cmp_eq_u32 s10, 46
	s_cbranch_scc0 .LBB119_526
; %bb.525:
	s_lshl_b32 s0, s12, 8
	s_lshl_b32 s1, s12, 25
	s_lshr_b32 s6, s1, 4
	s_and_b32 s0, s0, 0x7f00
	s_or_b32 s6, s6, 0x70000000
	s_or_b32 s0, s0, 0.5
	s_cmp_lt_u32 s1, 0x8000000
	v_mov_b32_e32 v3, 0x7800000
	v_add_f32_e64 v1, s0, -0.5
	v_mul_f32_e32 v3, s6, v3
	s_cselect_b64 vcc, -1, 0
	s_lshl_b32 s0, s12, 24
	v_cndmask_b32_e32 v1, v3, v1, vcc
	s_and_b32 s0, s0, 0x80000000
	v_or_b32_e32 v3, s0, v1
	v_bfe_u32 v1, v1, 16, 1
	v_add_u32_e32 v1, v3, v1
	v_add_u32_e32 v1, 0x7fff, v1
	v_cmp_o_f32_e32 vcc, v3, v3
	v_mov_b32_e32 v3, 0x7fc0
	v_cndmask_b32_sdwa v1, v3, v1, vcc dst_sel:DWORD dst_unused:UNUSED_PAD src0_sel:DWORD src1_sel:WORD_1
	global_store_dword v[5:6], v1, off
	s_mov_b64 s[0:1], 0
	s_mov_b64 s[6:7], -1
.LBB119_526:
	s_and_b64 vcc, exec, s[8:9]
	s_cbranch_vccz .LBB119_531
; %bb.527:
	s_cmp_eq_u32 s10, 44
	s_mov_b64 s[0:1], -1
	s_cbranch_scc0 .LBB119_531
; %bb.528:
	s_lshl_b32 s0, s12, 8
	s_lshl_b32 s1, s12, 25
	s_lshr_b32 s6, s1, 4
	s_and_b32 s0, s0, 0x7f00
	s_or_b32 s6, s6, 0x70000000
	s_or_b32 s0, s0, 0.5
	s_cmp_lt_u32 s1, 0x8000000
	v_mov_b32_e32 v3, 0x7800000
	v_add_f32_e64 v1, s0, -0.5
	v_mul_f32_e32 v3, s6, v3
	s_cselect_b64 vcc, -1, 0
	v_cndmask_b32_e32 v1, v3, v1, vcc
	v_readfirstlane_b32 s0, v1
	s_bfe_u32 s1, s0, 0x80017
	s_cmpk_eq_i32 s1, 0xff
	v_mov_b32_e32 v3, 0xff
	s_cbranch_scc1 .LBB119_530
; %bb.529:
	s_bitcmp1_b32 s0, 22
	s_cselect_b64 s[6:7], -1, 0
	s_and_b32 s0, s0, 0x3fffff
	s_or_b32 s0, s1, s0
	s_cmp_lg_u32 s0, 0
	s_cselect_b64 s[0:1], -1, 0
	s_and_b64 s[0:1], s[6:7], s[0:1]
	v_lshrrev_b32_e32 v1, 23, v1
	v_cndmask_b32_e64 v3, 0, 1, s[0:1]
	v_add_u32_e32 v3, v1, v3
.LBB119_530:
	s_mov_b64 s[0:1], 0
	s_mov_b64 s[6:7], -1
	global_store_byte v[5:6], v3, off
.LBB119_531:
	s_mov_b64 s[8:9], 0
.LBB119_532:
	s_and_b64 vcc, exec, s[8:9]
	s_cbranch_vccz .LBB119_535
; %bb.533:
	s_cmp_eq_u32 s10, 29
	s_mov_b64 s[0:1], -1
	s_cbranch_scc0 .LBB119_535
; %bb.534:
	s_lshl_b32 s0, s12, 8
	s_lshl_b32 s1, s12, 25
	s_lshr_b32 s6, s1, 4
	s_and_b32 s0, s0, 0x7f00
	s_or_b32 s6, s6, 0x70000000
	s_or_b32 s0, s0, 0.5
	s_cmp_lt_u32 s1, 0x8000000
	v_mov_b32_e32 v3, 0x7800000
	v_add_f32_e64 v1, s0, -0.5
	v_mul_f32_e32 v3, s6, v3
	s_cselect_b64 vcc, -1, 0
	s_lshl_b32 s0, s12, 24
	v_cndmask_b32_e32 v1, v3, v1, vcc
	s_and_b32 s0, s0, 0x80000000
	v_or_b32_e32 v1, s0, v1
	v_trunc_f32_e32 v1, v1
	v_mul_f32_e32 v3, 0x2f800000, v1
	v_floor_f32_e32 v3, v3
	v_fmac_f32_e32 v1, 0xcf800000, v3
	v_cvt_u32_f32_e32 v7, v1
	v_cvt_u32_f32_e32 v8, v3
	s_mov_b64 s[0:1], 0
	s_mov_b64 s[6:7], -1
	global_store_dwordx2 v[5:6], v[7:8], off
.LBB119_535:
	s_mov_b64 s[8:9], 0
.LBB119_536:
	s_and_b64 vcc, exec, s[8:9]
	s_cbranch_vccz .LBB119_556
; %bb.537:
	s_cmp_lt_i32 s10, 27
	s_mov_b64 s[6:7], -1
	s_cbranch_scc1 .LBB119_543
; %bb.538:
	s_cmp_gt_i32 s10, 27
	s_cbranch_scc0 .LBB119_540
; %bb.539:
	s_lshl_b32 s6, s12, 8
	s_lshl_b32 s7, s12, 25
	s_lshr_b32 s8, s7, 4
	s_and_b32 s6, s6, 0x7f00
	s_or_b32 s8, s8, 0x70000000
	s_or_b32 s6, s6, 0.5
	s_cmp_lt_u32 s7, 0x8000000
	v_mov_b32_e32 v3, 0x7800000
	v_add_f32_e64 v1, s6, -0.5
	v_mul_f32_e32 v3, s8, v3
	s_cselect_b64 vcc, -1, 0
	s_lshl_b32 s6, s12, 24
	v_cndmask_b32_e32 v1, v3, v1, vcc
	s_and_b32 s6, s6, 0x80000000
	v_or_b32_e32 v1, s6, v1
	v_cvt_u32_f32_e32 v1, v1
	s_mov_b64 s[6:7], 0
	global_store_dword v[5:6], v1, off
.LBB119_540:
	s_andn2_b64 vcc, exec, s[6:7]
	s_cbranch_vccnz .LBB119_542
; %bb.541:
	s_lshl_b32 s6, s12, 8
	s_lshl_b32 s7, s12, 25
	s_lshr_b32 s8, s7, 4
	s_and_b32 s6, s6, 0x7f00
	s_or_b32 s8, s8, 0x70000000
	s_or_b32 s6, s6, 0.5
	s_cmp_lt_u32 s7, 0x8000000
	v_mov_b32_e32 v3, 0x7800000
	v_add_f32_e64 v1, s6, -0.5
	v_mul_f32_e32 v3, s8, v3
	s_cselect_b64 vcc, -1, 0
	s_lshl_b32 s6, s12, 24
	v_cndmask_b32_e32 v1, v3, v1, vcc
	s_and_b32 s6, s6, 0x80000000
	v_or_b32_e32 v1, s6, v1
	v_cvt_u32_f32_e32 v1, v1
	global_store_short v[5:6], v1, off
.LBB119_542:
	s_mov_b64 s[6:7], 0
.LBB119_543:
	s_andn2_b64 vcc, exec, s[6:7]
	s_cbranch_vccnz .LBB119_555
; %bb.544:
	s_lshl_b32 s6, s12, 8
	s_lshl_b32 s7, s12, 25
	s_lshr_b32 s8, s7, 4
	s_and_b32 s6, s6, 0x7f00
	s_or_b32 s8, s8, 0x70000000
	s_or_b32 s6, s6, 0.5
	s_cmp_lt_u32 s7, 0x8000000
	v_mov_b32_e32 v3, 0x7800000
	v_add_f32_e64 v1, s6, -0.5
	v_mul_f32_e32 v3, s8, v3
	s_cselect_b64 vcc, -1, 0
	v_cndmask_b32_e32 v1, v3, v1, vcc
	s_lshl_b32 s6, s12, 24
	s_and_b32 s6, s6, 0x80000000
	v_readfirstlane_b32 s7, v1
	s_or_b32 s11, s6, s7
	s_and_b32 s6, s11, 0x7fffffff
	s_cmp_gt_u32 s6, 0x437fffff
	v_mov_b32_e32 v3, 0x80
	s_cbranch_scc1 .LBB119_554
; %bb.545:
	s_cmp_gt_u32 s6, 0x3bffffff
	s_cbranch_scc0 .LBB119_549
; %bb.546:
	v_bfe_u32 v1, v1, 20, 1
	v_add_u32_e32 v1, s11, v1
	v_add_u32_e32 v1, 0x487ffff, v1
	v_lshrrev_b32_e32 v1, 20, v1
	s_mov_b64 s[8:9], 0
	s_mov_b64 s[6:7], -1
	s_branch .LBB119_550
.LBB119_547:
	s_mov_b64 s[6:7], 0
	s_mov_b64 s[0:1], s[20:21]
	s_cbranch_execnz .LBB119_597
.LBB119_548:
	s_andn2_b64 vcc, exec, s[6:7]
	s_cbranch_vccz .LBB119_635
	s_branch .LBB119_913
.LBB119_549:
	s_mov_b64 s[8:9], -1
	s_mov_b64 s[6:7], 0
                                        ; implicit-def: $vgpr1
.LBB119_550:
	s_andn2_b64 vcc, exec, s[8:9]
	s_cbranch_vccnz .LBB119_552
; %bb.551:
	v_mov_b32_e32 v1, 0x46000000
	v_add_f32_e64 v1, |s11|, v1
	v_and_b32_e32 v1, 0xff, v1
	v_cmp_ne_u32_e64 s[6:7], 0, v1
.LBB119_552:
	s_andn2_b64 vcc, exec, s[6:7]
	v_mov_b32_e32 v3, 0
	s_cbranch_vccnz .LBB119_554
; %bb.553:
	s_lshr_b32 s6, s11, 24
	s_and_b32 s6, s6, 0x80
	v_or_b32_e32 v3, s6, v1
.LBB119_554:
	global_store_byte v[5:6], v3, off
.LBB119_555:
	s_mov_b64 s[6:7], -1
.LBB119_556:
	s_mov_b64 s[8:9], 0
.LBB119_557:
	s_and_b64 vcc, exec, s[8:9]
	s_cbranch_vccz .LBB119_593
; %bb.558:
	s_cmp_gt_i32 s10, 22
	s_mov_b64 s[4:5], -1
	s_cbranch_scc0 .LBB119_586
; %bb.559:
	s_cmp_lt_i32 s10, 24
	s_cbranch_scc1 .LBB119_583
; %bb.560:
	s_cmp_gt_i32 s10, 24
	s_cbranch_scc0 .LBB119_570
; %bb.561:
	s_lshl_b32 s4, s12, 8
	s_lshl_b32 s5, s12, 25
	s_lshr_b32 s6, s5, 4
	s_and_b32 s4, s4, 0x7f00
	s_or_b32 s6, s6, 0x70000000
	s_or_b32 s4, s4, 0.5
	s_cmp_lt_u32 s5, 0x8000000
	v_mov_b32_e32 v3, 0x7800000
	v_add_f32_e64 v1, s4, -0.5
	v_mul_f32_e32 v3, s6, v3
	s_cselect_b64 vcc, -1, 0
	v_cndmask_b32_e32 v1, v3, v1, vcc
	s_lshl_b32 s4, s12, 24
	s_and_b32 s4, s4, 0x80000000
	v_readfirstlane_b32 s5, v1
	s_or_b32 s8, s4, s5
	s_and_b32 s4, s8, 0x7fffffff
	s_cmp_gt_u32 s4, 0x477fffff
	v_mov_b32_e32 v3, 0x80
	s_cbranch_scc1 .LBB119_569
; %bb.562:
	s_cmp_gt_u32 s4, 0x37ffffff
	s_cbranch_scc0 .LBB119_564
; %bb.563:
	v_bfe_u32 v1, v1, 21, 1
	v_add_u32_e32 v1, s8, v1
	v_add_u32_e32 v1, 0x88fffff, v1
	v_lshrrev_b32_e32 v1, 21, v1
	s_mov_b64 s[6:7], 0
	s_mov_b64 s[4:5], -1
	s_branch .LBB119_565
.LBB119_564:
	s_mov_b64 s[6:7], -1
	s_mov_b64 s[4:5], 0
                                        ; implicit-def: $vgpr1
.LBB119_565:
	s_andn2_b64 vcc, exec, s[6:7]
	s_cbranch_vccnz .LBB119_567
; %bb.566:
	v_mov_b32_e32 v1, 0x42800000
	v_add_f32_e64 v1, |s8|, v1
	v_and_b32_e32 v1, 0xff, v1
	v_cmp_ne_u32_e64 s[4:5], 0, v1
.LBB119_567:
	s_andn2_b64 vcc, exec, s[4:5]
	v_mov_b32_e32 v3, 0
	s_cbranch_vccnz .LBB119_569
; %bb.568:
	s_lshr_b32 s4, s8, 24
	s_and_b32 s4, s4, 0x80
	v_or_b32_e32 v3, s4, v1
.LBB119_569:
	s_mov_b64 s[4:5], 0
	global_store_byte v[5:6], v3, off
.LBB119_570:
	s_and_b64 vcc, exec, s[4:5]
	s_cbranch_vccz .LBB119_582
; %bb.571:
	s_lshl_b32 s4, s12, 8
	s_lshl_b32 s5, s12, 25
	s_lshr_b32 s6, s5, 4
	s_and_b32 s4, s4, 0x7f00
	s_or_b32 s6, s6, 0x70000000
	s_or_b32 s4, s4, 0.5
	s_cmp_lt_u32 s5, 0x8000000
	v_mov_b32_e32 v3, 0x7800000
	v_add_f32_e64 v1, s4, -0.5
	v_mul_f32_e32 v3, s6, v3
	s_cselect_b64 vcc, -1, 0
	v_cndmask_b32_e32 v1, v3, v1, vcc
	s_lshl_b32 s5, s12, 24
	v_readfirstlane_b32 s4, v1
	s_and_b32 s5, s5, 0x80000000
	s_or_b32 s6, s5, s4
	s_and_b32 s7, s6, 0x7fffffff
	s_cmp_lt_u32 s7, 0x43f00000
	s_cbranch_scc0 .LBB119_574
; %bb.572:
	s_cmp_gt_u32 s7, 0x3c7fffff
	s_cbranch_scc0 .LBB119_575
; %bb.573:
	s_bfe_u32 s4, s4, 0x10014
	s_add_i32 s4, s6, s4
	s_add_i32 s4, s4, 0x407ffff
	s_lshr_b32 s5, s4, 20
	s_and_b32 s4, s4, 0xff00000
	s_cmp_lg_u32 s4, 0x7f00000
	s_cselect_b32 s8, s5, 0x7e
	s_mov_b64 s[4:5], 0
	s_branch .LBB119_576
.LBB119_574:
	s_mov_b64 s[4:5], -1
                                        ; implicit-def: $vgpr1
	s_branch .LBB119_579
.LBB119_575:
	s_mov_b64 s[4:5], -1
                                        ; implicit-def: $sgpr8
.LBB119_576:
	s_andn2_b64 vcc, exec, s[4:5]
	v_mov_b32_e32 v1, s8
	s_cbranch_vccnz .LBB119_578
; %bb.577:
	v_mov_b32_e32 v1, 0x46800000
	v_add_f32_e64 v1, |s6|, v1
.LBB119_578:
	s_mov_b64 s[4:5], 0
.LBB119_579:
	s_andn2_b64 vcc, exec, s[4:5]
	s_cbranch_vccnz .LBB119_581
; %bb.580:
	s_cmp_gt_u32 s7, 0x7f800000
	s_movk_i32 s4, 0x7f
	s_cselect_b32 s4, s4, 0x7e
	v_mov_b32_e32 v1, s4
.LBB119_581:
	s_lshr_b32 s4, s6, 24
	s_and_b32 s4, s4, 0x80
	v_or_b32_e32 v1, s4, v1
	global_store_byte v[5:6], v1, off
.LBB119_582:
	s_mov_b64 s[4:5], 0
.LBB119_583:
	s_andn2_b64 vcc, exec, s[4:5]
	s_cbranch_vccnz .LBB119_585
; %bb.584:
	v_mov_b32_e32 v1, s12
	global_store_byte v[5:6], v1, off
.LBB119_585:
	s_mov_b64 s[4:5], 0
	s_mov_b64 s[6:7], -1
.LBB119_586:
	s_andn2_b64 vcc, exec, s[4:5]
	s_mov_b64 s[4:5], 0
	s_cbranch_vccnz .LBB119_593
; %bb.587:
	s_cmp_gt_i32 s10, 14
	s_mov_b64 s[8:9], -1
	s_cbranch_scc0 .LBB119_591
; %bb.588:
	s_cmp_eq_u32 s10, 15
	s_mov_b64 s[0:1], -1
	s_cbranch_scc0 .LBB119_590
; %bb.589:
	s_lshl_b32 s0, s12, 8
	s_lshl_b32 s1, s12, 25
	s_lshr_b32 s4, s1, 4
	s_and_b32 s0, s0, 0x7f00
	s_or_b32 s4, s4, 0x70000000
	s_or_b32 s0, s0, 0.5
	s_cmp_lt_u32 s1, 0x8000000
	v_mov_b32_e32 v3, 0x7800000
	v_add_f32_e64 v1, s0, -0.5
	v_mul_f32_e32 v3, s4, v3
	s_cselect_b64 vcc, -1, 0
	s_lshl_b32 s0, s12, 24
	v_cndmask_b32_e32 v1, v3, v1, vcc
	s_and_b32 s0, s0, 0x80000000
	v_or_b32_e32 v3, s0, v1
	v_bfe_u32 v1, v1, 16, 1
	v_add_u32_e32 v1, v3, v1
	v_add_u32_e32 v1, 0x7fff, v1
	v_cmp_o_f32_e32 vcc, v3, v3
	v_mov_b32_e32 v3, 0x7fc0
	v_cndmask_b32_sdwa v1, v3, v1, vcc dst_sel:DWORD dst_unused:UNUSED_PAD src0_sel:DWORD src1_sel:WORD_1
	global_store_short v[5:6], v1, off
	s_mov_b64 s[0:1], 0
	s_mov_b64 s[6:7], -1
.LBB119_590:
	s_mov_b64 s[8:9], 0
.LBB119_591:
	s_mov_b64 s[4:5], 0
	s_and_b64 vcc, exec, s[8:9]
	s_cbranch_vccz .LBB119_593
; %bb.592:
	s_cmp_lg_u32 s10, 11
	s_mov_b64 s[4:5], -1
	s_cselect_b64 s[0:1], -1, 0
.LBB119_593:
	s_and_b64 vcc, exec, s[0:1]
	s_mov_b64 s[0:1], s[20:21]
	s_cbranch_vccnz .LBB119_665
; %bb.594:
	s_andn2_b64 vcc, exec, s[4:5]
	s_cbranch_vccnz .LBB119_596
.LBB119_595:
	s_lshl_b32 s4, s12, 8
	s_lshl_b32 s5, s12, 25
	s_lshr_b32 s6, s5, 4
	s_and_b32 s4, s4, 0x7f00
	s_or_b32 s6, s6, 0x70000000
	s_or_b32 s4, s4, 0.5
	s_cmp_lt_u32 s5, 0x8000000
	v_mov_b32_e32 v3, 0x7800000
	v_add_f32_e64 v1, s4, -0.5
	v_mul_f32_e32 v3, s6, v3
	s_cselect_b64 vcc, -1, 0
	v_cndmask_b32_e32 v1, v3, v1, vcc
	v_cmp_neq_f32_e32 vcc, 0, v1
	v_cndmask_b32_e64 v1, 0, 1, vcc
	global_store_byte v[5:6], v1, off
	s_mov_b64 s[6:7], -1
.LBB119_596:
	s_branch .LBB119_548
.LBB119_597:
	s_and_b32 s6, 0xffff, s13
	s_cmp_lt_i32 s6, 5
	s_mov_b64 s[4:5], -1
	s_cbranch_scc1 .LBB119_618
; %bb.598:
	s_cmp_lt_i32 s6, 8
	s_cbranch_scc1 .LBB119_608
; %bb.599:
	s_cmp_lt_i32 s6, 9
	s_cbranch_scc1 .LBB119_605
; %bb.600:
	s_cmp_gt_i32 s6, 9
	s_cbranch_scc0 .LBB119_602
; %bb.601:
	s_lshl_b32 s4, s12, 8
	s_lshl_b32 s5, s12, 25
	s_lshr_b32 s7, s5, 4
	s_and_b32 s4, s4, 0x7f00
	s_or_b32 s7, s7, 0x70000000
	s_or_b32 s4, s4, 0.5
	s_cmp_lt_u32 s5, 0x8000000
	v_mov_b32_e32 v3, 0x7800000
	v_add_f32_e64 v1, s4, -0.5
	v_mul_f32_e32 v3, s7, v3
	s_cselect_b64 vcc, -1, 0
	s_lshl_b32 s4, s12, 24
	v_cndmask_b32_e32 v1, v3, v1, vcc
	s_and_b32 s4, s4, 0x80000000
	v_or_b32_e32 v1, s4, v1
	v_cvt_f64_f32_e32 v[7:8], v1
	v_mov_b32_e32 v9, 0
	v_mov_b32_e32 v10, v9
	s_mov_b64 s[4:5], 0
	global_store_dwordx4 v[5:6], v[7:10], off
.LBB119_602:
	s_andn2_b64 vcc, exec, s[4:5]
	s_cbranch_vccnz .LBB119_604
; %bb.603:
	s_lshl_b32 s4, s12, 8
	s_lshl_b32 s5, s12, 25
	s_lshr_b32 s7, s5, 4
	s_and_b32 s4, s4, 0x7f00
	s_or_b32 s7, s7, 0x70000000
	s_or_b32 s4, s4, 0.5
	s_cmp_lt_u32 s5, 0x8000000
	v_mov_b32_e32 v3, 0x7800000
	v_add_f32_e64 v1, s4, -0.5
	v_mul_f32_e32 v3, s7, v3
	s_cselect_b64 vcc, -1, 0
	s_lshl_b32 s4, s12, 24
	v_cndmask_b32_e32 v1, v3, v1, vcc
	s_and_b32 s4, s4, 0x80000000
	v_or_b32_e32 v7, s4, v1
	v_mov_b32_e32 v8, 0
	global_store_dwordx2 v[5:6], v[7:8], off
.LBB119_604:
	s_mov_b64 s[4:5], 0
.LBB119_605:
	s_andn2_b64 vcc, exec, s[4:5]
	s_cbranch_vccnz .LBB119_607
; %bb.606:
	s_lshl_b32 s4, s12, 8
	s_lshl_b32 s5, s12, 25
	s_lshr_b32 s7, s5, 4
	s_and_b32 s4, s4, 0x7f00
	s_or_b32 s7, s7, 0x70000000
	s_or_b32 s4, s4, 0.5
	s_cmp_lt_u32 s5, 0x8000000
	v_mov_b32_e32 v3, 0x7800000
	v_add_f32_e64 v1, s4, -0.5
	v_mul_f32_e32 v3, s7, v3
	s_cselect_b64 vcc, -1, 0
	s_lshl_b32 s4, s12, 24
	v_cndmask_b32_e32 v1, v3, v1, vcc
	s_and_b32 s4, s4, 0x80000000
	v_or_b32_e32 v1, s4, v1
	v_cvt_f16_f32_e32 v1, v1
	global_store_dword v[5:6], v1, off
.LBB119_607:
	s_mov_b64 s[4:5], 0
.LBB119_608:
	s_andn2_b64 vcc, exec, s[4:5]
	s_cbranch_vccnz .LBB119_617
; %bb.609:
	s_cmp_lt_i32 s6, 6
	s_mov_b64 s[4:5], -1
	s_cbranch_scc1 .LBB119_615
; %bb.610:
	s_cmp_gt_i32 s6, 6
	s_cbranch_scc0 .LBB119_612
; %bb.611:
	s_lshl_b32 s4, s12, 8
	s_lshl_b32 s5, s12, 25
	s_lshr_b32 s7, s5, 4
	s_and_b32 s4, s4, 0x7f00
	s_or_b32 s7, s7, 0x70000000
	s_or_b32 s4, s4, 0.5
	s_cmp_lt_u32 s5, 0x8000000
	v_mov_b32_e32 v3, 0x7800000
	v_add_f32_e64 v1, s4, -0.5
	v_mul_f32_e32 v3, s7, v3
	s_cselect_b64 vcc, -1, 0
	s_lshl_b32 s4, s12, 24
	v_cndmask_b32_e32 v1, v3, v1, vcc
	s_and_b32 s4, s4, 0x80000000
	v_or_b32_e32 v1, s4, v1
	v_cvt_f64_f32_e32 v[7:8], v1
	s_mov_b64 s[4:5], 0
	global_store_dwordx2 v[5:6], v[7:8], off
.LBB119_612:
	s_andn2_b64 vcc, exec, s[4:5]
	s_cbranch_vccnz .LBB119_614
; %bb.613:
	s_lshl_b32 s4, s12, 8
	s_lshl_b32 s5, s12, 25
	s_lshr_b32 s7, s5, 4
	s_and_b32 s4, s4, 0x7f00
	s_or_b32 s7, s7, 0x70000000
	s_or_b32 s4, s4, 0.5
	s_cmp_lt_u32 s5, 0x8000000
	v_mov_b32_e32 v3, 0x7800000
	v_add_f32_e64 v1, s4, -0.5
	v_mul_f32_e32 v3, s7, v3
	s_cselect_b64 vcc, -1, 0
	s_lshl_b32 s4, s12, 24
	v_cndmask_b32_e32 v1, v3, v1, vcc
	s_and_b32 s4, s4, 0x80000000
	v_or_b32_e32 v1, s4, v1
	global_store_dword v[5:6], v1, off
.LBB119_614:
	s_mov_b64 s[4:5], 0
.LBB119_615:
	s_andn2_b64 vcc, exec, s[4:5]
	s_cbranch_vccnz .LBB119_617
; %bb.616:
	s_lshl_b32 s4, s12, 8
	s_lshl_b32 s5, s12, 25
	s_lshr_b32 s7, s5, 4
	s_and_b32 s4, s4, 0x7f00
	s_or_b32 s7, s7, 0x70000000
	s_or_b32 s4, s4, 0.5
	s_cmp_lt_u32 s5, 0x8000000
	v_mov_b32_e32 v3, 0x7800000
	v_add_f32_e64 v1, s4, -0.5
	v_mul_f32_e32 v3, s7, v3
	s_cselect_b64 vcc, -1, 0
	s_lshl_b32 s4, s12, 24
	v_cndmask_b32_e32 v1, v3, v1, vcc
	s_and_b32 s4, s4, 0x80000000
	v_or_b32_e32 v1, s4, v1
	v_cvt_f16_f32_e32 v1, v1
	global_store_short v[5:6], v1, off
.LBB119_617:
	s_mov_b64 s[4:5], 0
.LBB119_618:
	s_andn2_b64 vcc, exec, s[4:5]
	s_cbranch_vccnz .LBB119_634
; %bb.619:
	s_cmp_lt_i32 s6, 2
	s_mov_b64 s[4:5], -1
	s_cbranch_scc1 .LBB119_629
; %bb.620:
	s_cmp_lt_i32 s6, 3
	s_cbranch_scc1 .LBB119_626
; %bb.621:
	s_cmp_gt_i32 s6, 3
	s_cbranch_scc0 .LBB119_623
; %bb.622:
	s_lshl_b32 s4, s12, 8
	s_lshl_b32 s5, s12, 25
	s_lshr_b32 s7, s5, 4
	s_and_b32 s4, s4, 0x7f00
	s_or_b32 s7, s7, 0x70000000
	s_or_b32 s4, s4, 0.5
	s_cmp_lt_u32 s5, 0x8000000
	v_mov_b32_e32 v3, 0x7800000
	v_add_f32_e64 v1, s4, -0.5
	v_mul_f32_e32 v3, s7, v3
	s_cselect_b64 vcc, -1, 0
	s_lshl_b32 s4, s12, 24
	v_cndmask_b32_e32 v1, v3, v1, vcc
	s_and_b32 s4, s4, 0x80000000
	v_or_b32_e32 v1, s4, v1
	v_trunc_f32_e32 v1, v1
	s_mov_b32 s4, 0x2f800000
	v_mul_f32_e64 v3, |v1|, s4
	v_floor_f32_e32 v3, v3
	s_mov_b32 s4, 0xcf800000
	v_fma_f32 v7, v3, s4, |v1|
	v_cvt_u32_f32_e32 v7, v7
	v_cvt_u32_f32_e32 v3, v3
	v_ashrrev_i32_e32 v1, 31, v1
	s_mov_b64 s[4:5], 0
	v_xor_b32_e32 v7, v7, v1
	v_xor_b32_e32 v3, v3, v1
	v_sub_co_u32_e32 v7, vcc, v7, v1
	v_subb_co_u32_e32 v8, vcc, v3, v1, vcc
	global_store_dwordx2 v[5:6], v[7:8], off
.LBB119_623:
	s_andn2_b64 vcc, exec, s[4:5]
	s_cbranch_vccnz .LBB119_625
; %bb.624:
	s_lshl_b32 s4, s12, 8
	s_lshl_b32 s5, s12, 25
	s_lshr_b32 s7, s5, 4
	s_and_b32 s4, s4, 0x7f00
	s_or_b32 s7, s7, 0x70000000
	s_or_b32 s4, s4, 0.5
	s_cmp_lt_u32 s5, 0x8000000
	v_mov_b32_e32 v3, 0x7800000
	v_add_f32_e64 v1, s4, -0.5
	v_mul_f32_e32 v3, s7, v3
	s_cselect_b64 vcc, -1, 0
	s_lshl_b32 s4, s12, 24
	v_cndmask_b32_e32 v1, v3, v1, vcc
	s_and_b32 s4, s4, 0x80000000
	v_or_b32_e32 v1, s4, v1
	v_cvt_i32_f32_e32 v1, v1
	global_store_dword v[5:6], v1, off
.LBB119_625:
	s_mov_b64 s[4:5], 0
.LBB119_626:
	s_andn2_b64 vcc, exec, s[4:5]
	s_cbranch_vccnz .LBB119_628
; %bb.627:
	s_lshl_b32 s4, s12, 8
	s_lshl_b32 s5, s12, 25
	s_lshr_b32 s7, s5, 4
	s_and_b32 s4, s4, 0x7f00
	s_or_b32 s7, s7, 0x70000000
	s_or_b32 s4, s4, 0.5
	s_cmp_lt_u32 s5, 0x8000000
	v_mov_b32_e32 v3, 0x7800000
	v_add_f32_e64 v1, s4, -0.5
	v_mul_f32_e32 v3, s7, v3
	s_cselect_b64 vcc, -1, 0
	s_lshl_b32 s4, s12, 24
	v_cndmask_b32_e32 v1, v3, v1, vcc
	s_and_b32 s4, s4, 0x80000000
	v_or_b32_e32 v1, s4, v1
	v_cvt_i32_f32_e32 v1, v1
	global_store_short v[5:6], v1, off
.LBB119_628:
	s_mov_b64 s[4:5], 0
.LBB119_629:
	s_andn2_b64 vcc, exec, s[4:5]
	s_cbranch_vccnz .LBB119_634
; %bb.630:
	s_cmp_gt_i32 s6, 0
	s_mov_b64 s[4:5], -1
	s_cbranch_scc0 .LBB119_632
; %bb.631:
	s_lshl_b32 s4, s12, 8
	s_lshl_b32 s5, s12, 25
	s_lshr_b32 s6, s5, 4
	s_and_b32 s4, s4, 0x7f00
	s_or_b32 s6, s6, 0x70000000
	s_or_b32 s4, s4, 0.5
	s_cmp_lt_u32 s5, 0x8000000
	v_mov_b32_e32 v3, 0x7800000
	v_add_f32_e64 v1, s4, -0.5
	v_mul_f32_e32 v3, s6, v3
	s_cselect_b64 vcc, -1, 0
	s_lshl_b32 s4, s12, 24
	v_cndmask_b32_e32 v1, v3, v1, vcc
	s_and_b32 s4, s4, 0x80000000
	v_or_b32_e32 v1, s4, v1
	v_cvt_i32_f32_e32 v1, v1
	s_mov_b64 s[4:5], 0
	global_store_byte v[5:6], v1, off
.LBB119_632:
	s_andn2_b64 vcc, exec, s[4:5]
	s_cbranch_vccnz .LBB119_634
; %bb.633:
	s_lshl_b32 s4, s12, 8
	s_lshl_b32 s5, s12, 25
	s_lshr_b32 s6, s5, 4
	s_and_b32 s4, s4, 0x7f00
	s_or_b32 s6, s6, 0x70000000
	s_or_b32 s4, s4, 0.5
	s_cmp_lt_u32 s5, 0x8000000
	v_mov_b32_e32 v3, 0x7800000
	v_add_f32_e64 v1, s4, -0.5
	v_mul_f32_e32 v3, s6, v3
	s_cselect_b64 vcc, -1, 0
	s_lshl_b32 s4, s12, 24
	v_cndmask_b32_e32 v1, v3, v1, vcc
	s_and_b32 s4, s4, 0x80000000
	v_or_b32_e32 v1, s4, v1
	v_trunc_f32_e32 v1, v1
	s_mov_b32 s4, 0x2f800000
	v_mul_f32_e64 v3, |v1|, s4
	v_floor_f32_e32 v3, v3
	s_mov_b32 s4, 0xcf800000
	v_fma_f32 v3, v3, s4, |v1|
	v_cvt_u32_f32_e32 v3, v3
	v_ashrrev_i32_e32 v1, 31, v1
	v_xor_b32_e32 v3, v3, v1
	v_sub_u32_e32 v1, v3, v1
	global_store_byte v[5:6], v1, off
.LBB119_634:
.LBB119_635:
	v_mov_b32_e32 v1, s3
	s_and_b32 s14, 0xffff, s13
	v_add_co_u32_e32 v3, vcc, s2, v4
	s_cmp_lt_i32 s14, 11
	v_addc_co_u32_e32 v4, vcc, 0, v1, vcc
	s_cbranch_scc1 .LBB119_663
; %bb.636:
	s_mov_b64 s[10:11], -1
	s_mov_b64 s[6:7], 0
	s_cmp_gt_i32 s14, 25
	s_mov_b64 s[8:9], 0
	s_mov_b64 s[4:5], 0
	s_cbranch_scc0 .LBB119_674
; %bb.637:
	s_cmp_gt_i32 s14, 28
	s_cbranch_scc0 .LBB119_652
; %bb.638:
	s_cmp_gt_i32 s14, 43
	;; [unrolled: 3-line block ×3, first 2 shown]
	s_cbranch_scc0 .LBB119_642
; %bb.640:
	s_mov_b64 s[4:5], -1
	s_mov_b64 s[10:11], 0
	s_cmp_eq_u32 s14, 46
	s_cbranch_scc0 .LBB119_642
; %bb.641:
	s_lshl_b32 s4, s12, 8
	s_lshl_b32 s5, s12, 25
	s_lshr_b32 s8, s5, 4
	s_and_b32 s4, s4, 0x7f00
	s_or_b32 s8, s8, 0x70000000
	s_or_b32 s4, s4, 0.5
	s_cmp_lt_u32 s5, 0x8000000
	v_mov_b32_e32 v5, 0x7800000
	v_add_f32_e64 v1, s4, -0.5
	v_mul_f32_e32 v5, s8, v5
	s_cselect_b64 vcc, -1, 0
	s_lshl_b32 s4, s12, 24
	v_cndmask_b32_e32 v1, v5, v1, vcc
	s_and_b32 s4, s4, 0x80000000
	v_or_b32_e32 v5, s4, v1
	v_bfe_u32 v1, v1, 16, 1
	v_add_u32_e32 v1, v5, v1
	v_add_u32_e32 v1, 0x7fff, v1
	v_cmp_o_f32_e32 vcc, v5, v5
	v_mov_b32_e32 v5, 0x7fc0
	v_cndmask_b32_sdwa v1, v5, v1, vcc dst_sel:DWORD dst_unused:UNUSED_PAD src0_sel:DWORD src1_sel:WORD_1
	global_store_dword v[3:4], v1, off
	s_mov_b64 s[4:5], 0
	s_mov_b64 s[8:9], -1
.LBB119_642:
	s_and_b64 vcc, exec, s[10:11]
	s_cbranch_vccz .LBB119_647
; %bb.643:
	s_cmp_eq_u32 s14, 44
	s_mov_b64 s[4:5], -1
	s_cbranch_scc0 .LBB119_647
; %bb.644:
	s_lshl_b32 s4, s12, 8
	s_lshl_b32 s5, s12, 25
	s_lshr_b32 s8, s5, 4
	s_and_b32 s4, s4, 0x7f00
	s_or_b32 s8, s8, 0x70000000
	s_or_b32 s4, s4, 0.5
	s_cmp_lt_u32 s5, 0x8000000
	v_mov_b32_e32 v5, 0x7800000
	v_add_f32_e64 v1, s4, -0.5
	v_mul_f32_e32 v5, s8, v5
	s_cselect_b64 vcc, -1, 0
	v_cndmask_b32_e32 v1, v5, v1, vcc
	v_readfirstlane_b32 s4, v1
	s_bfe_u32 s5, s4, 0x80017
	s_cmpk_eq_i32 s5, 0xff
	v_mov_b32_e32 v5, 0xff
	s_cbranch_scc1 .LBB119_646
; %bb.645:
	s_bitcmp1_b32 s4, 22
	s_cselect_b64 s[8:9], -1, 0
	s_and_b32 s4, s4, 0x3fffff
	s_or_b32 s4, s5, s4
	s_cmp_lg_u32 s4, 0
	s_cselect_b64 s[4:5], -1, 0
	s_and_b64 s[4:5], s[8:9], s[4:5]
	v_lshrrev_b32_e32 v1, 23, v1
	v_cndmask_b32_e64 v5, 0, 1, s[4:5]
	v_add_u32_e32 v5, v1, v5
.LBB119_646:
	s_mov_b64 s[4:5], 0
	s_mov_b64 s[8:9], -1
	global_store_byte v[3:4], v5, off
.LBB119_647:
	s_mov_b64 s[10:11], 0
.LBB119_648:
	s_and_b64 vcc, exec, s[10:11]
	s_cbranch_vccz .LBB119_651
; %bb.649:
	s_cmp_eq_u32 s14, 29
	s_mov_b64 s[4:5], -1
	s_cbranch_scc0 .LBB119_651
; %bb.650:
	s_lshl_b32 s4, s12, 8
	s_lshl_b32 s5, s12, 25
	s_lshr_b32 s8, s5, 4
	s_and_b32 s4, s4, 0x7f00
	s_or_b32 s8, s8, 0x70000000
	s_or_b32 s4, s4, 0.5
	s_cmp_lt_u32 s5, 0x8000000
	v_mov_b32_e32 v5, 0x7800000
	v_add_f32_e64 v1, s4, -0.5
	v_mul_f32_e32 v5, s8, v5
	s_cselect_b64 vcc, -1, 0
	s_lshl_b32 s4, s12, 24
	v_cndmask_b32_e32 v1, v5, v1, vcc
	s_and_b32 s4, s4, 0x80000000
	v_or_b32_e32 v1, s4, v1
	v_trunc_f32_e32 v1, v1
	v_mul_f32_e32 v5, 0x2f800000, v1
	v_floor_f32_e32 v6, v5
	v_fmac_f32_e32 v1, 0xcf800000, v6
	v_cvt_u32_f32_e32 v5, v1
	v_cvt_u32_f32_e32 v6, v6
	s_mov_b64 s[4:5], 0
	s_mov_b64 s[8:9], -1
	global_store_dwordx2 v[3:4], v[5:6], off
.LBB119_651:
	s_mov_b64 s[10:11], 0
.LBB119_652:
	s_and_b64 vcc, exec, s[10:11]
	s_cbranch_vccz .LBB119_673
; %bb.653:
	s_cmp_lt_i32 s14, 27
	s_mov_b64 s[8:9], -1
	s_cbranch_scc1 .LBB119_659
; %bb.654:
	s_cmp_gt_i32 s14, 27
	s_cbranch_scc0 .LBB119_656
; %bb.655:
	s_lshl_b32 s8, s12, 8
	s_lshl_b32 s9, s12, 25
	s_lshr_b32 s10, s9, 4
	s_and_b32 s8, s8, 0x7f00
	s_or_b32 s10, s10, 0x70000000
	s_or_b32 s8, s8, 0.5
	s_cmp_lt_u32 s9, 0x8000000
	v_mov_b32_e32 v5, 0x7800000
	v_add_f32_e64 v1, s8, -0.5
	v_mul_f32_e32 v5, s10, v5
	s_cselect_b64 vcc, -1, 0
	s_lshl_b32 s8, s12, 24
	v_cndmask_b32_e32 v1, v5, v1, vcc
	s_and_b32 s8, s8, 0x80000000
	v_or_b32_e32 v1, s8, v1
	v_cvt_u32_f32_e32 v1, v1
	s_mov_b64 s[8:9], 0
	global_store_dword v[3:4], v1, off
.LBB119_656:
	s_andn2_b64 vcc, exec, s[8:9]
	s_cbranch_vccnz .LBB119_658
; %bb.657:
	s_lshl_b32 s8, s12, 8
	s_lshl_b32 s9, s12, 25
	s_lshr_b32 s10, s9, 4
	s_and_b32 s8, s8, 0x7f00
	s_or_b32 s10, s10, 0x70000000
	s_or_b32 s8, s8, 0.5
	s_cmp_lt_u32 s9, 0x8000000
	v_mov_b32_e32 v5, 0x7800000
	v_add_f32_e64 v1, s8, -0.5
	v_mul_f32_e32 v5, s10, v5
	s_cselect_b64 vcc, -1, 0
	s_lshl_b32 s8, s12, 24
	v_cndmask_b32_e32 v1, v5, v1, vcc
	s_and_b32 s8, s8, 0x80000000
	v_or_b32_e32 v1, s8, v1
	v_cvt_u32_f32_e32 v1, v1
	global_store_short v[3:4], v1, off
.LBB119_658:
	s_mov_b64 s[8:9], 0
.LBB119_659:
	s_andn2_b64 vcc, exec, s[8:9]
	s_cbranch_vccnz .LBB119_672
; %bb.660:
	s_lshl_b32 s8, s12, 8
	s_lshl_b32 s9, s12, 25
	s_lshr_b32 s10, s9, 4
	s_and_b32 s8, s8, 0x7f00
	s_or_b32 s10, s10, 0x70000000
	s_or_b32 s8, s8, 0.5
	s_cmp_lt_u32 s9, 0x8000000
	v_mov_b32_e32 v5, 0x7800000
	v_add_f32_e64 v1, s8, -0.5
	v_mul_f32_e32 v5, s10, v5
	s_cselect_b64 vcc, -1, 0
	v_cndmask_b32_e32 v1, v5, v1, vcc
	s_lshl_b32 s8, s12, 24
	s_and_b32 s8, s8, 0x80000000
	v_readfirstlane_b32 s9, v1
	s_or_b32 s15, s8, s9
	s_and_b32 s8, s15, 0x7fffffff
	s_cmp_gt_u32 s8, 0x437fffff
	v_mov_b32_e32 v5, 0x80
	s_cbranch_scc1 .LBB119_671
; %bb.661:
	s_cmp_gt_u32 s8, 0x3bffffff
	s_cbranch_scc0 .LBB119_666
; %bb.662:
	v_bfe_u32 v1, v1, 20, 1
	v_add_u32_e32 v1, s15, v1
	v_add_u32_e32 v1, 0x487ffff, v1
	v_lshrrev_b32_e32 v1, 20, v1
	s_mov_b64 s[10:11], 0
	s_mov_b64 s[8:9], -1
	s_branch .LBB119_667
.LBB119_663:
	s_mov_b64 s[8:9], 0
	s_cbranch_execnz .LBB119_714
.LBB119_664:
	s_andn2_b64 vcc, exec, s[8:9]
	s_cbranch_vccz .LBB119_752
	s_branch .LBB119_913
.LBB119_665:
	s_or_b64 s[0:1], s[20:21], exec
	s_trap 2
	s_cbranch_execz .LBB119_595
	s_branch .LBB119_596
.LBB119_666:
	s_mov_b64 s[10:11], -1
	s_mov_b64 s[8:9], 0
                                        ; implicit-def: $vgpr1
.LBB119_667:
	s_andn2_b64 vcc, exec, s[10:11]
	s_cbranch_vccnz .LBB119_669
; %bb.668:
	v_mov_b32_e32 v1, 0x46000000
	v_add_f32_e64 v1, |s15|, v1
	v_and_b32_e32 v1, 0xff, v1
	v_cmp_ne_u32_e64 s[8:9], 0, v1
.LBB119_669:
	s_andn2_b64 vcc, exec, s[8:9]
	v_mov_b32_e32 v5, 0
	s_cbranch_vccnz .LBB119_671
; %bb.670:
	s_lshr_b32 s8, s15, 24
	s_and_b32 s8, s8, 0x80
	v_or_b32_e32 v5, s8, v1
.LBB119_671:
	global_store_byte v[3:4], v5, off
.LBB119_672:
	s_mov_b64 s[8:9], -1
.LBB119_673:
	s_mov_b64 s[10:11], 0
.LBB119_674:
	s_and_b64 vcc, exec, s[10:11]
	s_cbranch_vccz .LBB119_710
; %bb.675:
	s_cmp_gt_i32 s14, 22
	s_mov_b64 s[6:7], -1
	s_cbranch_scc0 .LBB119_703
; %bb.676:
	s_cmp_lt_i32 s14, 24
	s_cbranch_scc1 .LBB119_700
; %bb.677:
	s_cmp_gt_i32 s14, 24
	s_cbranch_scc0 .LBB119_687
; %bb.678:
	s_lshl_b32 s6, s12, 8
	s_lshl_b32 s7, s12, 25
	s_lshr_b32 s8, s7, 4
	s_and_b32 s6, s6, 0x7f00
	s_or_b32 s8, s8, 0x70000000
	s_or_b32 s6, s6, 0.5
	s_cmp_lt_u32 s7, 0x8000000
	v_mov_b32_e32 v5, 0x7800000
	v_add_f32_e64 v1, s6, -0.5
	v_mul_f32_e32 v5, s8, v5
	s_cselect_b64 vcc, -1, 0
	v_cndmask_b32_e32 v1, v5, v1, vcc
	s_lshl_b32 s6, s12, 24
	s_and_b32 s6, s6, 0x80000000
	v_readfirstlane_b32 s7, v1
	s_or_b32 s10, s6, s7
	s_and_b32 s6, s10, 0x7fffffff
	s_cmp_gt_u32 s6, 0x477fffff
	v_mov_b32_e32 v5, 0x80
	s_cbranch_scc1 .LBB119_686
; %bb.679:
	s_cmp_gt_u32 s6, 0x37ffffff
	s_cbranch_scc0 .LBB119_681
; %bb.680:
	v_bfe_u32 v1, v1, 21, 1
	v_add_u32_e32 v1, s10, v1
	v_add_u32_e32 v1, 0x88fffff, v1
	v_lshrrev_b32_e32 v1, 21, v1
	s_mov_b64 s[8:9], 0
	s_mov_b64 s[6:7], -1
	s_branch .LBB119_682
.LBB119_681:
	s_mov_b64 s[8:9], -1
	s_mov_b64 s[6:7], 0
                                        ; implicit-def: $vgpr1
.LBB119_682:
	s_andn2_b64 vcc, exec, s[8:9]
	s_cbranch_vccnz .LBB119_684
; %bb.683:
	v_mov_b32_e32 v1, 0x42800000
	v_add_f32_e64 v1, |s10|, v1
	v_and_b32_e32 v1, 0xff, v1
	v_cmp_ne_u32_e64 s[6:7], 0, v1
.LBB119_684:
	s_andn2_b64 vcc, exec, s[6:7]
	v_mov_b32_e32 v5, 0
	s_cbranch_vccnz .LBB119_686
; %bb.685:
	s_lshr_b32 s6, s10, 24
	s_and_b32 s6, s6, 0x80
	v_or_b32_e32 v5, s6, v1
.LBB119_686:
	s_mov_b64 s[6:7], 0
	global_store_byte v[3:4], v5, off
.LBB119_687:
	s_and_b64 vcc, exec, s[6:7]
	s_cbranch_vccz .LBB119_699
; %bb.688:
	s_lshl_b32 s6, s12, 8
	s_lshl_b32 s7, s12, 25
	s_lshr_b32 s8, s7, 4
	s_and_b32 s6, s6, 0x7f00
	s_or_b32 s8, s8, 0x70000000
	s_or_b32 s6, s6, 0.5
	s_cmp_lt_u32 s7, 0x8000000
	v_mov_b32_e32 v5, 0x7800000
	v_add_f32_e64 v1, s6, -0.5
	v_mul_f32_e32 v5, s8, v5
	s_cselect_b64 vcc, -1, 0
	v_cndmask_b32_e32 v1, v5, v1, vcc
	s_lshl_b32 s7, s12, 24
	v_readfirstlane_b32 s6, v1
	s_and_b32 s7, s7, 0x80000000
	s_or_b32 s8, s7, s6
	s_and_b32 s9, s8, 0x7fffffff
	s_cmp_lt_u32 s9, 0x43f00000
	s_cbranch_scc0 .LBB119_691
; %bb.689:
	s_cmp_gt_u32 s9, 0x3c7fffff
	s_cbranch_scc0 .LBB119_692
; %bb.690:
	s_bfe_u32 s6, s6, 0x10014
	s_add_i32 s6, s8, s6
	s_add_i32 s6, s6, 0x407ffff
	s_lshr_b32 s7, s6, 20
	s_and_b32 s6, s6, 0xff00000
	s_cmp_lg_u32 s6, 0x7f00000
	s_cselect_b32 s10, s7, 0x7e
	s_mov_b64 s[6:7], 0
	s_branch .LBB119_693
.LBB119_691:
	s_mov_b64 s[6:7], -1
                                        ; implicit-def: $vgpr1
	s_branch .LBB119_696
.LBB119_692:
	s_mov_b64 s[6:7], -1
                                        ; implicit-def: $sgpr10
.LBB119_693:
	s_andn2_b64 vcc, exec, s[6:7]
	v_mov_b32_e32 v1, s10
	s_cbranch_vccnz .LBB119_695
; %bb.694:
	v_mov_b32_e32 v1, 0x46800000
	v_add_f32_e64 v1, |s8|, v1
.LBB119_695:
	s_mov_b64 s[6:7], 0
.LBB119_696:
	s_andn2_b64 vcc, exec, s[6:7]
	s_cbranch_vccnz .LBB119_698
; %bb.697:
	s_cmp_gt_u32 s9, 0x7f800000
	s_movk_i32 s6, 0x7f
	s_cselect_b32 s6, s6, 0x7e
	v_mov_b32_e32 v1, s6
.LBB119_698:
	s_lshr_b32 s6, s8, 24
	s_and_b32 s6, s6, 0x80
	v_or_b32_e32 v1, s6, v1
	global_store_byte v[3:4], v1, off
.LBB119_699:
	s_mov_b64 s[6:7], 0
.LBB119_700:
	s_andn2_b64 vcc, exec, s[6:7]
	s_cbranch_vccnz .LBB119_702
; %bb.701:
	v_mov_b32_e32 v1, s12
	global_store_byte v[3:4], v1, off
.LBB119_702:
	s_mov_b64 s[6:7], 0
	s_mov_b64 s[8:9], -1
.LBB119_703:
	s_andn2_b64 vcc, exec, s[6:7]
	s_mov_b64 s[6:7], 0
	s_cbranch_vccnz .LBB119_710
; %bb.704:
	s_cmp_gt_i32 s14, 14
	s_mov_b64 s[10:11], -1
	s_cbranch_scc0 .LBB119_708
; %bb.705:
	s_cmp_eq_u32 s14, 15
	s_mov_b64 s[4:5], -1
	s_cbranch_scc0 .LBB119_707
; %bb.706:
	s_lshl_b32 s4, s12, 8
	s_lshl_b32 s5, s12, 25
	s_lshr_b32 s6, s5, 4
	s_and_b32 s4, s4, 0x7f00
	s_or_b32 s6, s6, 0x70000000
	s_or_b32 s4, s4, 0.5
	s_cmp_lt_u32 s5, 0x8000000
	v_mov_b32_e32 v5, 0x7800000
	v_add_f32_e64 v1, s4, -0.5
	v_mul_f32_e32 v5, s6, v5
	s_cselect_b64 vcc, -1, 0
	s_lshl_b32 s4, s12, 24
	v_cndmask_b32_e32 v1, v5, v1, vcc
	s_and_b32 s4, s4, 0x80000000
	v_or_b32_e32 v5, s4, v1
	v_bfe_u32 v1, v1, 16, 1
	v_add_u32_e32 v1, v5, v1
	v_add_u32_e32 v1, 0x7fff, v1
	v_cmp_o_f32_e32 vcc, v5, v5
	v_mov_b32_e32 v5, 0x7fc0
	v_cndmask_b32_sdwa v1, v5, v1, vcc dst_sel:DWORD dst_unused:UNUSED_PAD src0_sel:DWORD src1_sel:WORD_1
	global_store_short v[3:4], v1, off
	s_mov_b64 s[4:5], 0
	s_mov_b64 s[8:9], -1
.LBB119_707:
	s_mov_b64 s[10:11], 0
.LBB119_708:
	s_mov_b64 s[6:7], 0
	s_and_b64 vcc, exec, s[10:11]
	s_cbranch_vccz .LBB119_710
; %bb.709:
	s_cmp_lg_u32 s14, 11
	s_mov_b64 s[6:7], -1
	s_cselect_b64 s[4:5], -1, 0
.LBB119_710:
	s_and_b64 vcc, exec, s[4:5]
	s_cbranch_vccnz .LBB119_812
; %bb.711:
	s_andn2_b64 vcc, exec, s[6:7]
	s_cbranch_vccnz .LBB119_713
.LBB119_712:
	s_lshl_b32 s4, s12, 8
	s_lshl_b32 s5, s12, 25
	s_lshr_b32 s6, s5, 4
	s_and_b32 s4, s4, 0x7f00
	s_or_b32 s6, s6, 0x70000000
	s_or_b32 s4, s4, 0.5
	s_cmp_lt_u32 s5, 0x8000000
	v_mov_b32_e32 v5, 0x7800000
	v_add_f32_e64 v1, s4, -0.5
	v_mul_f32_e32 v5, s6, v5
	s_cselect_b64 vcc, -1, 0
	v_cndmask_b32_e32 v1, v5, v1, vcc
	v_cmp_neq_f32_e32 vcc, 0, v1
	v_cndmask_b32_e64 v1, 0, 1, vcc
	s_mov_b64 s[8:9], -1
	global_store_byte v[3:4], v1, off
.LBB119_713:
	s_branch .LBB119_664
.LBB119_714:
	s_cmp_lt_i32 s14, 5
	s_mov_b64 s[4:5], -1
	s_cbranch_scc1 .LBB119_735
; %bb.715:
	s_cmp_lt_i32 s14, 8
	s_cbranch_scc1 .LBB119_725
; %bb.716:
	s_cmp_lt_i32 s14, 9
	s_cbranch_scc1 .LBB119_722
; %bb.717:
	s_cmp_gt_i32 s14, 9
	s_cbranch_scc0 .LBB119_719
; %bb.718:
	s_lshl_b32 s4, s12, 8
	s_lshl_b32 s5, s12, 25
	s_lshr_b32 s6, s5, 4
	s_and_b32 s4, s4, 0x7f00
	s_or_b32 s6, s6, 0x70000000
	s_or_b32 s4, s4, 0.5
	s_cmp_lt_u32 s5, 0x8000000
	v_mov_b32_e32 v5, 0x7800000
	v_add_f32_e64 v1, s4, -0.5
	v_mul_f32_e32 v5, s6, v5
	s_cselect_b64 vcc, -1, 0
	s_lshl_b32 s4, s12, 24
	v_cndmask_b32_e32 v1, v5, v1, vcc
	s_and_b32 s4, s4, 0x80000000
	v_or_b32_e32 v1, s4, v1
	v_cvt_f64_f32_e32 v[5:6], v1
	v_mov_b32_e32 v7, 0
	v_mov_b32_e32 v8, v7
	s_mov_b64 s[4:5], 0
	global_store_dwordx4 v[3:4], v[5:8], off
.LBB119_719:
	s_andn2_b64 vcc, exec, s[4:5]
	s_cbranch_vccnz .LBB119_721
; %bb.720:
	s_lshl_b32 s4, s12, 8
	s_lshl_b32 s5, s12, 25
	s_lshr_b32 s6, s5, 4
	s_and_b32 s4, s4, 0x7f00
	s_or_b32 s6, s6, 0x70000000
	s_or_b32 s4, s4, 0.5
	s_cmp_lt_u32 s5, 0x8000000
	v_mov_b32_e32 v5, 0x7800000
	v_add_f32_e64 v1, s4, -0.5
	v_mul_f32_e32 v5, s6, v5
	s_cselect_b64 vcc, -1, 0
	s_lshl_b32 s4, s12, 24
	v_cndmask_b32_e32 v1, v5, v1, vcc
	s_and_b32 s4, s4, 0x80000000
	v_or_b32_e32 v5, s4, v1
	v_mov_b32_e32 v6, 0
	global_store_dwordx2 v[3:4], v[5:6], off
.LBB119_721:
	s_mov_b64 s[4:5], 0
.LBB119_722:
	s_andn2_b64 vcc, exec, s[4:5]
	s_cbranch_vccnz .LBB119_724
; %bb.723:
	s_lshl_b32 s4, s12, 8
	s_lshl_b32 s5, s12, 25
	s_lshr_b32 s6, s5, 4
	s_and_b32 s4, s4, 0x7f00
	s_or_b32 s6, s6, 0x70000000
	s_or_b32 s4, s4, 0.5
	s_cmp_lt_u32 s5, 0x8000000
	v_mov_b32_e32 v5, 0x7800000
	v_add_f32_e64 v1, s4, -0.5
	v_mul_f32_e32 v5, s6, v5
	s_cselect_b64 vcc, -1, 0
	s_lshl_b32 s4, s12, 24
	v_cndmask_b32_e32 v1, v5, v1, vcc
	s_and_b32 s4, s4, 0x80000000
	v_or_b32_e32 v1, s4, v1
	v_cvt_f16_f32_e32 v1, v1
	global_store_dword v[3:4], v1, off
.LBB119_724:
	s_mov_b64 s[4:5], 0
.LBB119_725:
	s_andn2_b64 vcc, exec, s[4:5]
	s_cbranch_vccnz .LBB119_734
; %bb.726:
	s_cmp_lt_i32 s14, 6
	s_mov_b64 s[4:5], -1
	s_cbranch_scc1 .LBB119_732
; %bb.727:
	s_cmp_gt_i32 s14, 6
	s_cbranch_scc0 .LBB119_729
; %bb.728:
	s_lshl_b32 s4, s12, 8
	s_lshl_b32 s5, s12, 25
	s_lshr_b32 s6, s5, 4
	s_and_b32 s4, s4, 0x7f00
	s_or_b32 s6, s6, 0x70000000
	s_or_b32 s4, s4, 0.5
	s_cmp_lt_u32 s5, 0x8000000
	v_mov_b32_e32 v5, 0x7800000
	v_add_f32_e64 v1, s4, -0.5
	v_mul_f32_e32 v5, s6, v5
	s_cselect_b64 vcc, -1, 0
	s_lshl_b32 s4, s12, 24
	v_cndmask_b32_e32 v1, v5, v1, vcc
	s_and_b32 s4, s4, 0x80000000
	v_or_b32_e32 v1, s4, v1
	v_cvt_f64_f32_e32 v[5:6], v1
	s_mov_b64 s[4:5], 0
	global_store_dwordx2 v[3:4], v[5:6], off
.LBB119_729:
	s_andn2_b64 vcc, exec, s[4:5]
	s_cbranch_vccnz .LBB119_731
; %bb.730:
	s_lshl_b32 s4, s12, 8
	s_lshl_b32 s5, s12, 25
	s_lshr_b32 s6, s5, 4
	s_and_b32 s4, s4, 0x7f00
	s_or_b32 s6, s6, 0x70000000
	s_or_b32 s4, s4, 0.5
	s_cmp_lt_u32 s5, 0x8000000
	v_mov_b32_e32 v5, 0x7800000
	v_add_f32_e64 v1, s4, -0.5
	v_mul_f32_e32 v5, s6, v5
	s_cselect_b64 vcc, -1, 0
	s_lshl_b32 s4, s12, 24
	v_cndmask_b32_e32 v1, v5, v1, vcc
	s_and_b32 s4, s4, 0x80000000
	v_or_b32_e32 v1, s4, v1
	global_store_dword v[3:4], v1, off
.LBB119_731:
	s_mov_b64 s[4:5], 0
.LBB119_732:
	s_andn2_b64 vcc, exec, s[4:5]
	s_cbranch_vccnz .LBB119_734
; %bb.733:
	s_lshl_b32 s4, s12, 8
	s_lshl_b32 s5, s12, 25
	s_lshr_b32 s6, s5, 4
	s_and_b32 s4, s4, 0x7f00
	s_or_b32 s6, s6, 0x70000000
	s_or_b32 s4, s4, 0.5
	s_cmp_lt_u32 s5, 0x8000000
	v_mov_b32_e32 v5, 0x7800000
	v_add_f32_e64 v1, s4, -0.5
	v_mul_f32_e32 v5, s6, v5
	s_cselect_b64 vcc, -1, 0
	s_lshl_b32 s4, s12, 24
	v_cndmask_b32_e32 v1, v5, v1, vcc
	s_and_b32 s4, s4, 0x80000000
	v_or_b32_e32 v1, s4, v1
	v_cvt_f16_f32_e32 v1, v1
	global_store_short v[3:4], v1, off
.LBB119_734:
	s_mov_b64 s[4:5], 0
.LBB119_735:
	s_andn2_b64 vcc, exec, s[4:5]
	s_cbranch_vccnz .LBB119_751
; %bb.736:
	s_cmp_lt_i32 s14, 2
	s_mov_b64 s[4:5], -1
	s_cbranch_scc1 .LBB119_746
; %bb.737:
	s_cmp_lt_i32 s14, 3
	s_cbranch_scc1 .LBB119_743
; %bb.738:
	s_cmp_gt_i32 s14, 3
	s_cbranch_scc0 .LBB119_740
; %bb.739:
	s_lshl_b32 s4, s12, 8
	s_lshl_b32 s5, s12, 25
	s_lshr_b32 s6, s5, 4
	s_and_b32 s4, s4, 0x7f00
	s_or_b32 s6, s6, 0x70000000
	s_or_b32 s4, s4, 0.5
	s_cmp_lt_u32 s5, 0x8000000
	v_mov_b32_e32 v5, 0x7800000
	v_add_f32_e64 v1, s4, -0.5
	v_mul_f32_e32 v5, s6, v5
	s_cselect_b64 vcc, -1, 0
	s_lshl_b32 s4, s12, 24
	v_cndmask_b32_e32 v1, v5, v1, vcc
	s_and_b32 s4, s4, 0x80000000
	v_or_b32_e32 v1, s4, v1
	v_trunc_f32_e32 v1, v1
	s_mov_b32 s4, 0x2f800000
	v_mul_f32_e64 v5, |v1|, s4
	v_floor_f32_e32 v5, v5
	s_mov_b32 s4, 0xcf800000
	v_fma_f32 v6, v5, s4, |v1|
	v_cvt_u32_f32_e32 v6, v6
	v_cvt_u32_f32_e32 v5, v5
	v_ashrrev_i32_e32 v1, 31, v1
	s_mov_b64 s[4:5], 0
	v_xor_b32_e32 v6, v6, v1
	v_xor_b32_e32 v7, v5, v1
	v_sub_co_u32_e32 v5, vcc, v6, v1
	v_subb_co_u32_e32 v6, vcc, v7, v1, vcc
	global_store_dwordx2 v[3:4], v[5:6], off
.LBB119_740:
	s_andn2_b64 vcc, exec, s[4:5]
	s_cbranch_vccnz .LBB119_742
; %bb.741:
	s_lshl_b32 s4, s12, 8
	s_lshl_b32 s5, s12, 25
	s_lshr_b32 s6, s5, 4
	s_and_b32 s4, s4, 0x7f00
	s_or_b32 s6, s6, 0x70000000
	s_or_b32 s4, s4, 0.5
	s_cmp_lt_u32 s5, 0x8000000
	v_mov_b32_e32 v5, 0x7800000
	v_add_f32_e64 v1, s4, -0.5
	v_mul_f32_e32 v5, s6, v5
	s_cselect_b64 vcc, -1, 0
	s_lshl_b32 s4, s12, 24
	v_cndmask_b32_e32 v1, v5, v1, vcc
	s_and_b32 s4, s4, 0x80000000
	v_or_b32_e32 v1, s4, v1
	v_cvt_i32_f32_e32 v1, v1
	global_store_dword v[3:4], v1, off
.LBB119_742:
	s_mov_b64 s[4:5], 0
.LBB119_743:
	s_andn2_b64 vcc, exec, s[4:5]
	s_cbranch_vccnz .LBB119_745
; %bb.744:
	s_lshl_b32 s4, s12, 8
	s_lshl_b32 s5, s12, 25
	s_lshr_b32 s6, s5, 4
	s_and_b32 s4, s4, 0x7f00
	s_or_b32 s6, s6, 0x70000000
	s_or_b32 s4, s4, 0.5
	s_cmp_lt_u32 s5, 0x8000000
	v_mov_b32_e32 v5, 0x7800000
	v_add_f32_e64 v1, s4, -0.5
	v_mul_f32_e32 v5, s6, v5
	s_cselect_b64 vcc, -1, 0
	s_lshl_b32 s4, s12, 24
	v_cndmask_b32_e32 v1, v5, v1, vcc
	s_and_b32 s4, s4, 0x80000000
	v_or_b32_e32 v1, s4, v1
	v_cvt_i32_f32_e32 v1, v1
	global_store_short v[3:4], v1, off
.LBB119_745:
	s_mov_b64 s[4:5], 0
.LBB119_746:
	s_andn2_b64 vcc, exec, s[4:5]
	s_cbranch_vccnz .LBB119_751
; %bb.747:
	s_cmp_gt_i32 s14, 0
	s_mov_b64 s[4:5], -1
	s_cbranch_scc0 .LBB119_749
; %bb.748:
	s_lshl_b32 s4, s12, 8
	s_lshl_b32 s5, s12, 25
	s_lshr_b32 s6, s5, 4
	s_and_b32 s4, s4, 0x7f00
	s_or_b32 s6, s6, 0x70000000
	s_or_b32 s4, s4, 0.5
	s_cmp_lt_u32 s5, 0x8000000
	v_mov_b32_e32 v5, 0x7800000
	v_add_f32_e64 v1, s4, -0.5
	v_mul_f32_e32 v5, s6, v5
	s_cselect_b64 vcc, -1, 0
	s_lshl_b32 s4, s12, 24
	v_cndmask_b32_e32 v1, v5, v1, vcc
	s_and_b32 s4, s4, 0x80000000
	v_or_b32_e32 v1, s4, v1
	v_cvt_i32_f32_e32 v1, v1
	s_mov_b64 s[4:5], 0
	global_store_byte v[3:4], v1, off
.LBB119_749:
	s_andn2_b64 vcc, exec, s[4:5]
	s_cbranch_vccnz .LBB119_751
; %bb.750:
	s_lshl_b32 s4, s12, 8
	s_lshl_b32 s5, s12, 25
	s_lshr_b32 s6, s5, 4
	s_and_b32 s4, s4, 0x7f00
	s_or_b32 s6, s6, 0x70000000
	s_or_b32 s4, s4, 0.5
	s_cmp_lt_u32 s5, 0x8000000
	v_mov_b32_e32 v5, 0x7800000
	v_add_f32_e64 v1, s4, -0.5
	v_mul_f32_e32 v5, s6, v5
	s_cselect_b64 vcc, -1, 0
	s_lshl_b32 s4, s12, 24
	v_cndmask_b32_e32 v1, v5, v1, vcc
	s_and_b32 s4, s4, 0x80000000
	v_or_b32_e32 v1, s4, v1
	v_trunc_f32_e32 v1, v1
	s_mov_b32 s4, 0x2f800000
	v_mul_f32_e64 v5, |v1|, s4
	v_floor_f32_e32 v5, v5
	s_mov_b32 s4, 0xcf800000
	v_fma_f32 v5, v5, s4, |v1|
	v_cvt_u32_f32_e32 v5, v5
	v_ashrrev_i32_e32 v1, 31, v1
	v_xor_b32_e32 v5, v5, v1
	v_sub_u32_e32 v1, v5, v1
	global_store_byte v[3:4], v1, off
.LBB119_751:
.LBB119_752:
	v_mov_b32_e32 v3, s3
	v_add_co_u32_e32 v1, vcc, s2, v2
	s_cmp_lt_i32 s14, 11
	v_addc_co_u32_e32 v2, vcc, 0, v3, vcc
	s_cbranch_scc1 .LBB119_780
; %bb.753:
	s_mov_b64 s[10:11], -1
	s_mov_b64 s[6:7], 0
	s_cmp_gt_i32 s14, 25
	s_mov_b64 s[8:9], 0
	s_mov_b64 s[4:5], 0
	s_cbranch_scc0 .LBB119_821
; %bb.754:
	s_cmp_gt_i32 s14, 28
	s_cbranch_scc0 .LBB119_769
; %bb.755:
	s_cmp_gt_i32 s14, 43
	;; [unrolled: 3-line block ×3, first 2 shown]
	s_cbranch_scc0 .LBB119_759
; %bb.757:
	s_mov_b64 s[4:5], -1
	s_mov_b64 s[10:11], 0
	s_cmp_eq_u32 s14, 46
	s_cbranch_scc0 .LBB119_759
; %bb.758:
	s_lshl_b32 s4, s12, 8
	s_lshl_b32 s5, s12, 25
	s_lshr_b32 s8, s5, 4
	s_and_b32 s4, s4, 0x7f00
	s_or_b32 s8, s8, 0x70000000
	s_or_b32 s4, s4, 0.5
	s_cmp_lt_u32 s5, 0x8000000
	v_mov_b32_e32 v4, 0x7800000
	v_add_f32_e64 v3, s4, -0.5
	v_mul_f32_e32 v4, s8, v4
	s_cselect_b64 vcc, -1, 0
	s_lshl_b32 s4, s12, 24
	v_cndmask_b32_e32 v3, v4, v3, vcc
	s_and_b32 s4, s4, 0x80000000
	v_or_b32_e32 v4, s4, v3
	v_bfe_u32 v3, v3, 16, 1
	v_add_u32_e32 v3, v4, v3
	v_add_u32_e32 v3, 0x7fff, v3
	v_cmp_o_f32_e32 vcc, v4, v4
	v_mov_b32_e32 v4, 0x7fc0
	v_cndmask_b32_sdwa v3, v4, v3, vcc dst_sel:DWORD dst_unused:UNUSED_PAD src0_sel:DWORD src1_sel:WORD_1
	global_store_dword v[1:2], v3, off
	s_mov_b64 s[4:5], 0
	s_mov_b64 s[8:9], -1
.LBB119_759:
	s_and_b64 vcc, exec, s[10:11]
	s_cbranch_vccz .LBB119_764
; %bb.760:
	s_cmp_eq_u32 s14, 44
	s_mov_b64 s[4:5], -1
	s_cbranch_scc0 .LBB119_764
; %bb.761:
	s_lshl_b32 s4, s12, 8
	s_lshl_b32 s5, s12, 25
	s_lshr_b32 s8, s5, 4
	s_and_b32 s4, s4, 0x7f00
	s_or_b32 s8, s8, 0x70000000
	s_or_b32 s4, s4, 0.5
	s_cmp_lt_u32 s5, 0x8000000
	v_mov_b32_e32 v4, 0x7800000
	v_add_f32_e64 v3, s4, -0.5
	v_mul_f32_e32 v4, s8, v4
	s_cselect_b64 vcc, -1, 0
	v_cndmask_b32_e32 v3, v4, v3, vcc
	v_readfirstlane_b32 s4, v3
	s_bfe_u32 s5, s4, 0x80017
	s_cmpk_eq_i32 s5, 0xff
	v_mov_b32_e32 v4, 0xff
	s_cbranch_scc1 .LBB119_763
; %bb.762:
	s_bitcmp1_b32 s4, 22
	s_cselect_b64 s[8:9], -1, 0
	s_and_b32 s4, s4, 0x3fffff
	s_or_b32 s4, s5, s4
	s_cmp_lg_u32 s4, 0
	s_cselect_b64 s[4:5], -1, 0
	s_and_b64 s[4:5], s[8:9], s[4:5]
	v_lshrrev_b32_e32 v3, 23, v3
	v_cndmask_b32_e64 v4, 0, 1, s[4:5]
	v_add_u32_e32 v4, v3, v4
.LBB119_763:
	s_mov_b64 s[4:5], 0
	s_mov_b64 s[8:9], -1
	global_store_byte v[1:2], v4, off
.LBB119_764:
	s_mov_b64 s[10:11], 0
.LBB119_765:
	s_and_b64 vcc, exec, s[10:11]
	s_cbranch_vccz .LBB119_768
; %bb.766:
	s_cmp_eq_u32 s14, 29
	s_mov_b64 s[4:5], -1
	s_cbranch_scc0 .LBB119_768
; %bb.767:
	s_lshl_b32 s4, s12, 8
	s_lshl_b32 s5, s12, 25
	s_lshr_b32 s8, s5, 4
	s_and_b32 s4, s4, 0x7f00
	s_or_b32 s8, s8, 0x70000000
	s_or_b32 s4, s4, 0.5
	s_cmp_lt_u32 s5, 0x8000000
	v_mov_b32_e32 v4, 0x7800000
	v_add_f32_e64 v3, s4, -0.5
	v_mul_f32_e32 v4, s8, v4
	s_cselect_b64 vcc, -1, 0
	s_lshl_b32 s4, s12, 24
	v_cndmask_b32_e32 v3, v4, v3, vcc
	s_and_b32 s4, s4, 0x80000000
	v_or_b32_e32 v3, s4, v3
	v_trunc_f32_e32 v3, v3
	v_mul_f32_e32 v4, 0x2f800000, v3
	v_floor_f32_e32 v4, v4
	v_fmac_f32_e32 v3, 0xcf800000, v4
	v_cvt_u32_f32_e32 v3, v3
	v_cvt_u32_f32_e32 v4, v4
	s_mov_b64 s[4:5], 0
	s_mov_b64 s[8:9], -1
	global_store_dwordx2 v[1:2], v[3:4], off
.LBB119_768:
	s_mov_b64 s[10:11], 0
.LBB119_769:
	s_and_b64 vcc, exec, s[10:11]
	s_cbranch_vccz .LBB119_820
; %bb.770:
	s_cmp_lt_i32 s14, 27
	s_mov_b64 s[8:9], -1
	s_cbranch_scc1 .LBB119_776
; %bb.771:
	s_cmp_gt_i32 s14, 27
	s_cbranch_scc0 .LBB119_773
; %bb.772:
	s_lshl_b32 s8, s12, 8
	s_lshl_b32 s9, s12, 25
	s_lshr_b32 s10, s9, 4
	s_and_b32 s8, s8, 0x7f00
	s_or_b32 s10, s10, 0x70000000
	s_or_b32 s8, s8, 0.5
	s_cmp_lt_u32 s9, 0x8000000
	v_mov_b32_e32 v4, 0x7800000
	v_add_f32_e64 v3, s8, -0.5
	v_mul_f32_e32 v4, s10, v4
	s_cselect_b64 vcc, -1, 0
	s_lshl_b32 s8, s12, 24
	v_cndmask_b32_e32 v3, v4, v3, vcc
	s_and_b32 s8, s8, 0x80000000
	v_or_b32_e32 v3, s8, v3
	v_cvt_u32_f32_e32 v3, v3
	s_mov_b64 s[8:9], 0
	global_store_dword v[1:2], v3, off
.LBB119_773:
	s_andn2_b64 vcc, exec, s[8:9]
	s_cbranch_vccnz .LBB119_775
; %bb.774:
	s_lshl_b32 s8, s12, 8
	s_lshl_b32 s9, s12, 25
	s_lshr_b32 s10, s9, 4
	s_and_b32 s8, s8, 0x7f00
	s_or_b32 s10, s10, 0x70000000
	s_or_b32 s8, s8, 0.5
	s_cmp_lt_u32 s9, 0x8000000
	v_mov_b32_e32 v4, 0x7800000
	v_add_f32_e64 v3, s8, -0.5
	v_mul_f32_e32 v4, s10, v4
	s_cselect_b64 vcc, -1, 0
	s_lshl_b32 s8, s12, 24
	v_cndmask_b32_e32 v3, v4, v3, vcc
	s_and_b32 s8, s8, 0x80000000
	v_or_b32_e32 v3, s8, v3
	v_cvt_u32_f32_e32 v3, v3
	global_store_short v[1:2], v3, off
.LBB119_775:
	s_mov_b64 s[8:9], 0
.LBB119_776:
	s_andn2_b64 vcc, exec, s[8:9]
	s_cbranch_vccnz .LBB119_819
; %bb.777:
	s_lshl_b32 s8, s12, 8
	s_lshl_b32 s9, s12, 25
	s_lshr_b32 s10, s9, 4
	s_and_b32 s8, s8, 0x7f00
	s_or_b32 s10, s10, 0x70000000
	s_or_b32 s8, s8, 0.5
	s_cmp_lt_u32 s9, 0x8000000
	v_mov_b32_e32 v4, 0x7800000
	v_add_f32_e64 v3, s8, -0.5
	v_mul_f32_e32 v4, s10, v4
	s_cselect_b64 vcc, -1, 0
	v_cndmask_b32_e32 v3, v4, v3, vcc
	s_lshl_b32 s8, s12, 24
	s_and_b32 s8, s8, 0x80000000
	v_readfirstlane_b32 s9, v3
	s_or_b32 s15, s8, s9
	s_and_b32 s8, s15, 0x7fffffff
	s_cmp_gt_u32 s8, 0x437fffff
	v_mov_b32_e32 v4, 0x80
	s_cbranch_scc1 .LBB119_818
; %bb.778:
	s_cmp_gt_u32 s8, 0x3bffffff
	s_cbranch_scc0 .LBB119_813
; %bb.779:
	v_bfe_u32 v3, v3, 20, 1
	v_add_u32_e32 v3, s15, v3
	v_add_u32_e32 v3, 0x487ffff, v3
	v_lshrrev_b32_e32 v3, 20, v3
	s_mov_b64 s[10:11], 0
	s_mov_b64 s[8:9], -1
	s_branch .LBB119_814
.LBB119_780:
	s_mov_b64 s[8:9], 0
	s_cbranch_execnz .LBB119_875
.LBB119_781:
	s_andn2_b64 vcc, exec, s[8:9]
	s_cbranch_vccnz .LBB119_913
.LBB119_782:
	v_mov_b32_e32 v1, s3
	v_add_co_u32_e32 v0, vcc, s2, v0
	s_cmp_lt_i32 s14, 11
	v_addc_co_u32_e32 v1, vcc, 0, v1, vcc
	s_cbranch_scc1 .LBB119_811
; %bb.783:
	s_mov_b64 s[6:7], -1
	s_mov_b64 s[4:5], 0
	s_cmp_gt_i32 s14, 25
	s_mov_b64 s[2:3], 0
	s_cbranch_scc0 .LBB119_835
; %bb.784:
	s_cmp_gt_i32 s14, 28
	s_cbranch_scc0 .LBB119_800
; %bb.785:
	s_cmp_gt_i32 s14, 43
	;; [unrolled: 3-line block ×3, first 2 shown]
	s_cbranch_scc0 .LBB119_790
; %bb.787:
	s_cmp_eq_u32 s14, 46
	s_mov_b64 s[2:3], -1
	s_cbranch_scc0 .LBB119_789
; %bb.788:
	s_lshl_b32 s2, s12, 8
	s_lshl_b32 s3, s12, 25
	s_lshr_b32 s6, s3, 4
	s_and_b32 s2, s2, 0x7f00
	s_or_b32 s6, s6, 0x70000000
	s_or_b32 s2, s2, 0.5
	s_cmp_lt_u32 s3, 0x8000000
	v_mov_b32_e32 v3, 0x7800000
	v_add_f32_e64 v2, s2, -0.5
	v_mul_f32_e32 v3, s6, v3
	s_cselect_b64 vcc, -1, 0
	s_lshl_b32 s2, s12, 24
	v_cndmask_b32_e32 v2, v3, v2, vcc
	s_and_b32 s2, s2, 0x80000000
	v_or_b32_e32 v3, s2, v2
	v_bfe_u32 v2, v2, 16, 1
	v_add_u32_e32 v2, v3, v2
	v_add_u32_e32 v2, 0x7fff, v2
	v_cmp_o_f32_e32 vcc, v3, v3
	v_mov_b32_e32 v3, 0x7fc0
	v_cndmask_b32_sdwa v2, v3, v2, vcc dst_sel:DWORD dst_unused:UNUSED_PAD src0_sel:DWORD src1_sel:WORD_1
	global_store_dword v[0:1], v2, off
	s_mov_b64 s[2:3], 0
.LBB119_789:
	s_mov_b64 s[6:7], 0
.LBB119_790:
	s_and_b64 vcc, exec, s[6:7]
	s_cbranch_vccz .LBB119_795
; %bb.791:
	s_cmp_eq_u32 s14, 44
	s_mov_b64 s[2:3], -1
	s_cbranch_scc0 .LBB119_795
; %bb.792:
	s_lshl_b32 s2, s12, 8
	s_lshl_b32 s3, s12, 25
	s_lshr_b32 s6, s3, 4
	s_and_b32 s2, s2, 0x7f00
	s_or_b32 s6, s6, 0x70000000
	s_or_b32 s2, s2, 0.5
	s_cmp_lt_u32 s3, 0x8000000
	v_mov_b32_e32 v3, 0x7800000
	v_add_f32_e64 v2, s2, -0.5
	v_mul_f32_e32 v3, s6, v3
	s_cselect_b64 vcc, -1, 0
	v_cndmask_b32_e32 v2, v3, v2, vcc
	v_readfirstlane_b32 s2, v2
	s_bfe_u32 s3, s2, 0x80017
	s_cmpk_eq_i32 s3, 0xff
	v_mov_b32_e32 v3, 0xff
	s_cbranch_scc1 .LBB119_794
; %bb.793:
	s_bitcmp1_b32 s2, 22
	s_cselect_b64 s[6:7], -1, 0
	s_and_b32 s2, s2, 0x3fffff
	s_or_b32 s2, s3, s2
	s_cmp_lg_u32 s2, 0
	s_cselect_b64 s[2:3], -1, 0
	s_and_b64 s[2:3], s[6:7], s[2:3]
	v_lshrrev_b32_e32 v2, 23, v2
	v_cndmask_b32_e64 v3, 0, 1, s[2:3]
	v_add_u32_e32 v3, v2, v3
.LBB119_794:
	s_mov_b64 s[2:3], 0
	global_store_byte v[0:1], v3, off
.LBB119_795:
	s_mov_b64 s[6:7], 0
.LBB119_796:
	s_and_b64 vcc, exec, s[6:7]
	s_cbranch_vccz .LBB119_799
; %bb.797:
	s_cmp_eq_u32 s14, 29
	s_mov_b64 s[2:3], -1
	s_cbranch_scc0 .LBB119_799
; %bb.798:
	s_lshl_b32 s2, s12, 8
	s_lshl_b32 s3, s12, 25
	s_lshr_b32 s6, s3, 4
	s_and_b32 s2, s2, 0x7f00
	s_or_b32 s6, s6, 0x70000000
	s_or_b32 s2, s2, 0.5
	s_cmp_lt_u32 s3, 0x8000000
	v_mov_b32_e32 v3, 0x7800000
	v_add_f32_e64 v2, s2, -0.5
	v_mul_f32_e32 v3, s6, v3
	s_cselect_b64 vcc, -1, 0
	s_lshl_b32 s2, s12, 24
	v_cndmask_b32_e32 v2, v3, v2, vcc
	s_and_b32 s2, s2, 0x80000000
	v_or_b32_e32 v2, s2, v2
	v_trunc_f32_e32 v2, v2
	v_mul_f32_e32 v3, 0x2f800000, v2
	v_floor_f32_e32 v3, v3
	v_fmac_f32_e32 v2, 0xcf800000, v3
	v_cvt_u32_f32_e32 v2, v2
	v_cvt_u32_f32_e32 v3, v3
	s_mov_b64 s[2:3], 0
	global_store_dwordx2 v[0:1], v[2:3], off
.LBB119_799:
	s_mov_b64 s[6:7], 0
.LBB119_800:
	s_and_b64 vcc, exec, s[6:7]
	s_cbranch_vccz .LBB119_834
; %bb.801:
	s_cmp_lt_i32 s14, 27
	s_mov_b64 s[6:7], -1
	s_cbranch_scc1 .LBB119_807
; %bb.802:
	s_cmp_gt_i32 s14, 27
	s_cbranch_scc0 .LBB119_804
; %bb.803:
	s_lshl_b32 s6, s12, 8
	s_lshl_b32 s7, s12, 25
	s_lshr_b32 s8, s7, 4
	s_and_b32 s6, s6, 0x7f00
	s_or_b32 s8, s8, 0x70000000
	s_or_b32 s6, s6, 0.5
	s_cmp_lt_u32 s7, 0x8000000
	v_mov_b32_e32 v3, 0x7800000
	v_add_f32_e64 v2, s6, -0.5
	v_mul_f32_e32 v3, s8, v3
	s_cselect_b64 vcc, -1, 0
	s_lshl_b32 s6, s12, 24
	v_cndmask_b32_e32 v2, v3, v2, vcc
	s_and_b32 s6, s6, 0x80000000
	v_or_b32_e32 v2, s6, v2
	v_cvt_u32_f32_e32 v2, v2
	s_mov_b64 s[6:7], 0
	global_store_dword v[0:1], v2, off
.LBB119_804:
	s_andn2_b64 vcc, exec, s[6:7]
	s_cbranch_vccnz .LBB119_806
; %bb.805:
	s_lshl_b32 s6, s12, 8
	s_lshl_b32 s7, s12, 25
	s_lshr_b32 s8, s7, 4
	s_and_b32 s6, s6, 0x7f00
	s_or_b32 s8, s8, 0x70000000
	s_or_b32 s6, s6, 0.5
	s_cmp_lt_u32 s7, 0x8000000
	v_mov_b32_e32 v3, 0x7800000
	v_add_f32_e64 v2, s6, -0.5
	v_mul_f32_e32 v3, s8, v3
	s_cselect_b64 vcc, -1, 0
	s_lshl_b32 s6, s12, 24
	v_cndmask_b32_e32 v2, v3, v2, vcc
	s_and_b32 s6, s6, 0x80000000
	v_or_b32_e32 v2, s6, v2
	v_cvt_u32_f32_e32 v2, v2
	global_store_short v[0:1], v2, off
.LBB119_806:
	s_mov_b64 s[6:7], 0
.LBB119_807:
	s_andn2_b64 vcc, exec, s[6:7]
	s_cbranch_vccnz .LBB119_834
; %bb.808:
	s_lshl_b32 s6, s12, 8
	s_lshl_b32 s7, s12, 25
	s_lshr_b32 s8, s7, 4
	s_and_b32 s6, s6, 0x7f00
	s_or_b32 s8, s8, 0x70000000
	s_or_b32 s6, s6, 0.5
	s_cmp_lt_u32 s7, 0x8000000
	v_mov_b32_e32 v3, 0x7800000
	v_add_f32_e64 v2, s6, -0.5
	v_mul_f32_e32 v3, s8, v3
	s_cselect_b64 vcc, -1, 0
	v_cndmask_b32_e32 v2, v3, v2, vcc
	s_lshl_b32 s6, s12, 24
	s_and_b32 s6, s6, 0x80000000
	v_readfirstlane_b32 s7, v2
	s_or_b32 s10, s6, s7
	s_and_b32 s6, s10, 0x7fffffff
	s_cmp_gt_u32 s6, 0x437fffff
	v_mov_b32_e32 v3, 0x80
	s_cbranch_scc1 .LBB119_833
; %bb.809:
	s_cmp_gt_u32 s6, 0x3bffffff
	s_cbranch_scc0 .LBB119_828
; %bb.810:
	v_bfe_u32 v2, v2, 20, 1
	v_add_u32_e32 v2, s10, v2
	v_add_u32_e32 v2, 0x487ffff, v2
	v_lshrrev_b32_e32 v2, 20, v2
	s_mov_b64 s[8:9], 0
	s_mov_b64 s[6:7], -1
	s_branch .LBB119_829
.LBB119_811:
	s_mov_b64 s[4:5], 0
	s_mov_b64 s[2:3], -1
	s_branch .LBB119_914
.LBB119_812:
	s_trap 2
	s_or_b64 s[0:1], s[0:1], exec
	s_cbranch_execz .LBB119_712
	s_branch .LBB119_713
.LBB119_813:
	s_mov_b64 s[10:11], -1
	s_mov_b64 s[8:9], 0
                                        ; implicit-def: $vgpr3
.LBB119_814:
	s_andn2_b64 vcc, exec, s[10:11]
	s_cbranch_vccnz .LBB119_816
; %bb.815:
	v_mov_b32_e32 v3, 0x46000000
	v_add_f32_e64 v3, |s15|, v3
	v_and_b32_e32 v3, 0xff, v3
	v_cmp_ne_u32_e64 s[8:9], 0, v3
.LBB119_816:
	s_andn2_b64 vcc, exec, s[8:9]
	v_mov_b32_e32 v4, 0
	s_cbranch_vccnz .LBB119_818
; %bb.817:
	s_lshr_b32 s8, s15, 24
	s_and_b32 s8, s8, 0x80
	v_or_b32_e32 v4, s8, v3
.LBB119_818:
	global_store_byte v[1:2], v4, off
.LBB119_819:
	s_mov_b64 s[8:9], -1
.LBB119_820:
	s_mov_b64 s[10:11], 0
.LBB119_821:
	s_and_b64 vcc, exec, s[10:11]
	s_cbranch_vccz .LBB119_871
; %bb.822:
	s_cmp_gt_i32 s14, 22
	s_mov_b64 s[6:7], -1
	s_cbranch_scc0 .LBB119_864
; %bb.823:
	s_cmp_lt_i32 s14, 24
	s_cbranch_scc1 .LBB119_861
; %bb.824:
	s_cmp_gt_i32 s14, 24
	s_cbranch_scc0 .LBB119_848
; %bb.825:
	s_lshl_b32 s6, s12, 8
	s_lshl_b32 s7, s12, 25
	s_lshr_b32 s8, s7, 4
	s_and_b32 s6, s6, 0x7f00
	s_or_b32 s8, s8, 0x70000000
	s_or_b32 s6, s6, 0.5
	s_cmp_lt_u32 s7, 0x8000000
	v_mov_b32_e32 v4, 0x7800000
	v_add_f32_e64 v3, s6, -0.5
	v_mul_f32_e32 v4, s8, v4
	s_cselect_b64 vcc, -1, 0
	v_cndmask_b32_e32 v3, v4, v3, vcc
	s_lshl_b32 s6, s12, 24
	s_and_b32 s6, s6, 0x80000000
	v_readfirstlane_b32 s7, v3
	s_or_b32 s10, s6, s7
	s_and_b32 s6, s10, 0x7fffffff
	s_cmp_gt_u32 s6, 0x477fffff
	v_mov_b32_e32 v4, 0x80
	s_cbranch_scc1 .LBB119_847
; %bb.826:
	s_cmp_gt_u32 s6, 0x37ffffff
	s_cbranch_scc0 .LBB119_842
; %bb.827:
	v_bfe_u32 v3, v3, 21, 1
	v_add_u32_e32 v3, s10, v3
	v_add_u32_e32 v3, 0x88fffff, v3
	v_lshrrev_b32_e32 v3, 21, v3
	s_mov_b64 s[8:9], 0
	s_mov_b64 s[6:7], -1
	s_branch .LBB119_843
.LBB119_828:
	s_mov_b64 s[8:9], -1
	s_mov_b64 s[6:7], 0
                                        ; implicit-def: $vgpr2
.LBB119_829:
	s_andn2_b64 vcc, exec, s[8:9]
	s_cbranch_vccnz .LBB119_831
; %bb.830:
	v_mov_b32_e32 v2, 0x46000000
	v_add_f32_e64 v2, |s10|, v2
	v_and_b32_e32 v2, 0xff, v2
	v_cmp_ne_u32_e64 s[6:7], 0, v2
.LBB119_831:
	s_andn2_b64 vcc, exec, s[6:7]
	v_mov_b32_e32 v3, 0
	s_cbranch_vccnz .LBB119_833
; %bb.832:
	s_lshr_b32 s6, s10, 24
	s_and_b32 s6, s6, 0x80
	v_or_b32_e32 v3, s6, v2
.LBB119_833:
	global_store_byte v[0:1], v3, off
.LBB119_834:
	s_mov_b64 s[6:7], 0
.LBB119_835:
	s_and_b64 vcc, exec, s[6:7]
	s_cbranch_vccz .LBB119_988
; %bb.836:
	s_cmp_gt_i32 s14, 22
	s_mov_b64 s[4:5], -1
	s_cbranch_scc0 .LBB119_981
; %bb.837:
	s_cmp_lt_i32 s14, 24
	s_cbranch_scc1 .LBB119_978
; %bb.838:
	s_cmp_gt_i32 s14, 24
	s_cbranch_scc0 .LBB119_965
; %bb.839:
	s_lshl_b32 s4, s12, 8
	s_lshl_b32 s5, s12, 25
	s_lshr_b32 s6, s5, 4
	s_and_b32 s4, s4, 0x7f00
	s_or_b32 s6, s6, 0x70000000
	s_or_b32 s4, s4, 0.5
	s_cmp_lt_u32 s5, 0x8000000
	v_mov_b32_e32 v3, 0x7800000
	v_add_f32_e64 v2, s4, -0.5
	v_mul_f32_e32 v3, s6, v3
	s_cselect_b64 vcc, -1, 0
	v_cndmask_b32_e32 v2, v3, v2, vcc
	s_lshl_b32 s4, s12, 24
	s_and_b32 s4, s4, 0x80000000
	v_readfirstlane_b32 s5, v2
	s_or_b32 s8, s4, s5
	s_and_b32 s4, s8, 0x7fffffff
	s_cmp_gt_u32 s4, 0x477fffff
	v_mov_b32_e32 v3, 0x80
	s_cbranch_scc1 .LBB119_964
; %bb.840:
	s_cmp_gt_u32 s4, 0x37ffffff
	s_cbranch_scc0 .LBB119_959
; %bb.841:
	v_bfe_u32 v2, v2, 21, 1
	v_add_u32_e32 v2, s8, v2
	v_add_u32_e32 v2, 0x88fffff, v2
	v_lshrrev_b32_e32 v2, 21, v2
	s_mov_b64 s[6:7], 0
	s_mov_b64 s[4:5], -1
	s_branch .LBB119_960
.LBB119_842:
	s_mov_b64 s[8:9], -1
	s_mov_b64 s[6:7], 0
                                        ; implicit-def: $vgpr3
.LBB119_843:
	s_andn2_b64 vcc, exec, s[8:9]
	s_cbranch_vccnz .LBB119_845
; %bb.844:
	v_mov_b32_e32 v3, 0x42800000
	v_add_f32_e64 v3, |s10|, v3
	v_and_b32_e32 v3, 0xff, v3
	v_cmp_ne_u32_e64 s[6:7], 0, v3
.LBB119_845:
	s_andn2_b64 vcc, exec, s[6:7]
	v_mov_b32_e32 v4, 0
	s_cbranch_vccnz .LBB119_847
; %bb.846:
	s_lshr_b32 s6, s10, 24
	s_and_b32 s6, s6, 0x80
	v_or_b32_e32 v4, s6, v3
.LBB119_847:
	s_mov_b64 s[6:7], 0
	global_store_byte v[1:2], v4, off
.LBB119_848:
	s_and_b64 vcc, exec, s[6:7]
	s_cbranch_vccz .LBB119_860
; %bb.849:
	s_lshl_b32 s6, s12, 8
	s_lshl_b32 s7, s12, 25
	s_lshr_b32 s8, s7, 4
	s_and_b32 s6, s6, 0x7f00
	s_or_b32 s8, s8, 0x70000000
	s_or_b32 s6, s6, 0.5
	s_cmp_lt_u32 s7, 0x8000000
	v_mov_b32_e32 v4, 0x7800000
	v_add_f32_e64 v3, s6, -0.5
	v_mul_f32_e32 v4, s8, v4
	s_cselect_b64 vcc, -1, 0
	v_cndmask_b32_e32 v3, v4, v3, vcc
	s_lshl_b32 s7, s12, 24
	v_readfirstlane_b32 s6, v3
	s_and_b32 s7, s7, 0x80000000
	s_or_b32 s8, s7, s6
	s_and_b32 s9, s8, 0x7fffffff
	s_cmp_lt_u32 s9, 0x43f00000
	s_cbranch_scc0 .LBB119_852
; %bb.850:
	s_cmp_gt_u32 s9, 0x3c7fffff
	s_cbranch_scc0 .LBB119_853
; %bb.851:
	s_bfe_u32 s6, s6, 0x10014
	s_add_i32 s6, s8, s6
	s_add_i32 s6, s6, 0x407ffff
	s_lshr_b32 s7, s6, 20
	s_and_b32 s6, s6, 0xff00000
	s_cmp_lg_u32 s6, 0x7f00000
	s_cselect_b32 s10, s7, 0x7e
	s_mov_b64 s[6:7], 0
	s_branch .LBB119_854
.LBB119_852:
	s_mov_b64 s[6:7], -1
                                        ; implicit-def: $vgpr3
	s_branch .LBB119_857
.LBB119_853:
	s_mov_b64 s[6:7], -1
                                        ; implicit-def: $sgpr10
.LBB119_854:
	s_andn2_b64 vcc, exec, s[6:7]
	v_mov_b32_e32 v3, s10
	s_cbranch_vccnz .LBB119_856
; %bb.855:
	v_mov_b32_e32 v3, 0x46800000
	v_add_f32_e64 v3, |s8|, v3
.LBB119_856:
	s_mov_b64 s[6:7], 0
.LBB119_857:
	s_andn2_b64 vcc, exec, s[6:7]
	s_cbranch_vccnz .LBB119_859
; %bb.858:
	s_cmp_gt_u32 s9, 0x7f800000
	s_movk_i32 s6, 0x7f
	s_cselect_b32 s6, s6, 0x7e
	v_mov_b32_e32 v3, s6
.LBB119_859:
	s_lshr_b32 s6, s8, 24
	s_and_b32 s6, s6, 0x80
	v_or_b32_e32 v3, s6, v3
	global_store_byte v[1:2], v3, off
.LBB119_860:
	s_mov_b64 s[6:7], 0
.LBB119_861:
	s_andn2_b64 vcc, exec, s[6:7]
	s_cbranch_vccnz .LBB119_863
; %bb.862:
	v_mov_b32_e32 v3, s12
	global_store_byte v[1:2], v3, off
.LBB119_863:
	s_mov_b64 s[6:7], 0
	s_mov_b64 s[8:9], -1
.LBB119_864:
	s_andn2_b64 vcc, exec, s[6:7]
	s_mov_b64 s[6:7], 0
	s_cbranch_vccnz .LBB119_871
; %bb.865:
	s_cmp_gt_i32 s14, 14
	s_mov_b64 s[10:11], -1
	s_cbranch_scc0 .LBB119_869
; %bb.866:
	s_cmp_eq_u32 s14, 15
	s_mov_b64 s[4:5], -1
	s_cbranch_scc0 .LBB119_868
; %bb.867:
	s_lshl_b32 s4, s12, 8
	s_lshl_b32 s5, s12, 25
	s_lshr_b32 s6, s5, 4
	s_and_b32 s4, s4, 0x7f00
	s_or_b32 s6, s6, 0x70000000
	s_or_b32 s4, s4, 0.5
	s_cmp_lt_u32 s5, 0x8000000
	v_mov_b32_e32 v4, 0x7800000
	v_add_f32_e64 v3, s4, -0.5
	v_mul_f32_e32 v4, s6, v4
	s_cselect_b64 vcc, -1, 0
	s_lshl_b32 s4, s12, 24
	v_cndmask_b32_e32 v3, v4, v3, vcc
	s_and_b32 s4, s4, 0x80000000
	v_or_b32_e32 v4, s4, v3
	v_bfe_u32 v3, v3, 16, 1
	v_add_u32_e32 v3, v4, v3
	v_add_u32_e32 v3, 0x7fff, v3
	v_cmp_o_f32_e32 vcc, v4, v4
	v_mov_b32_e32 v4, 0x7fc0
	v_cndmask_b32_sdwa v3, v4, v3, vcc dst_sel:DWORD dst_unused:UNUSED_PAD src0_sel:DWORD src1_sel:WORD_1
	global_store_short v[1:2], v3, off
	s_mov_b64 s[4:5], 0
	s_mov_b64 s[8:9], -1
.LBB119_868:
	s_mov_b64 s[10:11], 0
.LBB119_869:
	s_mov_b64 s[6:7], 0
	s_and_b64 vcc, exec, s[10:11]
	s_cbranch_vccz .LBB119_871
; %bb.870:
	s_cmp_lg_u32 s14, 11
	s_mov_b64 s[6:7], -1
	s_cselect_b64 s[4:5], -1, 0
.LBB119_871:
	s_and_b64 vcc, exec, s[4:5]
	s_cbranch_vccnz .LBB119_958
; %bb.872:
	s_andn2_b64 vcc, exec, s[6:7]
	s_cbranch_vccnz .LBB119_874
.LBB119_873:
	s_lshl_b32 s4, s12, 8
	s_lshl_b32 s5, s12, 25
	s_lshr_b32 s6, s5, 4
	s_and_b32 s4, s4, 0x7f00
	s_or_b32 s6, s6, 0x70000000
	s_or_b32 s4, s4, 0.5
	s_cmp_lt_u32 s5, 0x8000000
	v_mov_b32_e32 v4, 0x7800000
	v_add_f32_e64 v3, s4, -0.5
	v_mul_f32_e32 v4, s6, v4
	s_cselect_b64 vcc, -1, 0
	v_cndmask_b32_e32 v3, v4, v3, vcc
	v_cmp_neq_f32_e32 vcc, 0, v3
	v_cndmask_b32_e64 v3, 0, 1, vcc
	s_mov_b64 s[8:9], -1
	global_store_byte v[1:2], v3, off
.LBB119_874:
	s_branch .LBB119_781
.LBB119_875:
	s_cmp_lt_i32 s14, 5
	s_mov_b64 s[4:5], -1
	s_cbranch_scc1 .LBB119_896
; %bb.876:
	s_cmp_lt_i32 s14, 8
	s_cbranch_scc1 .LBB119_886
; %bb.877:
	s_cmp_lt_i32 s14, 9
	s_cbranch_scc1 .LBB119_883
; %bb.878:
	s_cmp_gt_i32 s14, 9
	s_cbranch_scc0 .LBB119_880
; %bb.879:
	s_lshl_b32 s4, s12, 8
	s_lshl_b32 s5, s12, 25
	s_lshr_b32 s6, s5, 4
	s_and_b32 s4, s4, 0x7f00
	s_or_b32 s6, s6, 0x70000000
	s_or_b32 s4, s4, 0.5
	s_cmp_lt_u32 s5, 0x8000000
	v_mov_b32_e32 v4, 0x7800000
	v_add_f32_e64 v3, s4, -0.5
	v_mul_f32_e32 v4, s6, v4
	s_cselect_b64 vcc, -1, 0
	s_lshl_b32 s4, s12, 24
	v_cndmask_b32_e32 v3, v4, v3, vcc
	s_and_b32 s4, s4, 0x80000000
	v_or_b32_e32 v3, s4, v3
	v_cvt_f64_f32_e32 v[3:4], v3
	v_mov_b32_e32 v5, 0
	v_mov_b32_e32 v6, v5
	s_mov_b64 s[4:5], 0
	global_store_dwordx4 v[1:2], v[3:6], off
.LBB119_880:
	s_andn2_b64 vcc, exec, s[4:5]
	s_cbranch_vccnz .LBB119_882
; %bb.881:
	s_lshl_b32 s4, s12, 8
	s_lshl_b32 s5, s12, 25
	s_lshr_b32 s6, s5, 4
	s_and_b32 s4, s4, 0x7f00
	s_or_b32 s6, s6, 0x70000000
	s_or_b32 s4, s4, 0.5
	s_cmp_lt_u32 s5, 0x8000000
	v_mov_b32_e32 v4, 0x7800000
	v_add_f32_e64 v3, s4, -0.5
	v_mul_f32_e32 v4, s6, v4
	s_cselect_b64 vcc, -1, 0
	s_lshl_b32 s4, s12, 24
	v_cndmask_b32_e32 v3, v4, v3, vcc
	s_and_b32 s4, s4, 0x80000000
	v_or_b32_e32 v3, s4, v3
	v_mov_b32_e32 v4, 0
	global_store_dwordx2 v[1:2], v[3:4], off
.LBB119_882:
	s_mov_b64 s[4:5], 0
.LBB119_883:
	s_andn2_b64 vcc, exec, s[4:5]
	s_cbranch_vccnz .LBB119_885
; %bb.884:
	s_lshl_b32 s4, s12, 8
	s_lshl_b32 s5, s12, 25
	s_lshr_b32 s6, s5, 4
	s_and_b32 s4, s4, 0x7f00
	s_or_b32 s6, s6, 0x70000000
	s_or_b32 s4, s4, 0.5
	s_cmp_lt_u32 s5, 0x8000000
	v_mov_b32_e32 v4, 0x7800000
	v_add_f32_e64 v3, s4, -0.5
	v_mul_f32_e32 v4, s6, v4
	s_cselect_b64 vcc, -1, 0
	s_lshl_b32 s4, s12, 24
	v_cndmask_b32_e32 v3, v4, v3, vcc
	s_and_b32 s4, s4, 0x80000000
	v_or_b32_e32 v3, s4, v3
	v_cvt_f16_f32_e32 v3, v3
	global_store_dword v[1:2], v3, off
.LBB119_885:
	s_mov_b64 s[4:5], 0
.LBB119_886:
	s_andn2_b64 vcc, exec, s[4:5]
	s_cbranch_vccnz .LBB119_895
; %bb.887:
	s_cmp_lt_i32 s14, 6
	s_mov_b64 s[4:5], -1
	s_cbranch_scc1 .LBB119_893
; %bb.888:
	s_cmp_gt_i32 s14, 6
	s_cbranch_scc0 .LBB119_890
; %bb.889:
	s_lshl_b32 s4, s12, 8
	s_lshl_b32 s5, s12, 25
	s_lshr_b32 s6, s5, 4
	s_and_b32 s4, s4, 0x7f00
	s_or_b32 s6, s6, 0x70000000
	s_or_b32 s4, s4, 0.5
	s_cmp_lt_u32 s5, 0x8000000
	v_mov_b32_e32 v4, 0x7800000
	v_add_f32_e64 v3, s4, -0.5
	v_mul_f32_e32 v4, s6, v4
	s_cselect_b64 vcc, -1, 0
	s_lshl_b32 s4, s12, 24
	v_cndmask_b32_e32 v3, v4, v3, vcc
	s_and_b32 s4, s4, 0x80000000
	v_or_b32_e32 v3, s4, v3
	v_cvt_f64_f32_e32 v[3:4], v3
	s_mov_b64 s[4:5], 0
	global_store_dwordx2 v[1:2], v[3:4], off
.LBB119_890:
	s_andn2_b64 vcc, exec, s[4:5]
	s_cbranch_vccnz .LBB119_892
; %bb.891:
	s_lshl_b32 s4, s12, 8
	s_lshl_b32 s5, s12, 25
	s_lshr_b32 s6, s5, 4
	s_and_b32 s4, s4, 0x7f00
	s_or_b32 s6, s6, 0x70000000
	s_or_b32 s4, s4, 0.5
	s_cmp_lt_u32 s5, 0x8000000
	v_mov_b32_e32 v4, 0x7800000
	v_add_f32_e64 v3, s4, -0.5
	v_mul_f32_e32 v4, s6, v4
	s_cselect_b64 vcc, -1, 0
	s_lshl_b32 s4, s12, 24
	v_cndmask_b32_e32 v3, v4, v3, vcc
	s_and_b32 s4, s4, 0x80000000
	v_or_b32_e32 v3, s4, v3
	global_store_dword v[1:2], v3, off
.LBB119_892:
	s_mov_b64 s[4:5], 0
.LBB119_893:
	s_andn2_b64 vcc, exec, s[4:5]
	s_cbranch_vccnz .LBB119_895
; %bb.894:
	s_lshl_b32 s4, s12, 8
	s_lshl_b32 s5, s12, 25
	s_lshr_b32 s6, s5, 4
	s_and_b32 s4, s4, 0x7f00
	s_or_b32 s6, s6, 0x70000000
	s_or_b32 s4, s4, 0.5
	s_cmp_lt_u32 s5, 0x8000000
	v_mov_b32_e32 v4, 0x7800000
	v_add_f32_e64 v3, s4, -0.5
	v_mul_f32_e32 v4, s6, v4
	s_cselect_b64 vcc, -1, 0
	s_lshl_b32 s4, s12, 24
	v_cndmask_b32_e32 v3, v4, v3, vcc
	s_and_b32 s4, s4, 0x80000000
	v_or_b32_e32 v3, s4, v3
	v_cvt_f16_f32_e32 v3, v3
	global_store_short v[1:2], v3, off
.LBB119_895:
	s_mov_b64 s[4:5], 0
.LBB119_896:
	s_andn2_b64 vcc, exec, s[4:5]
	s_cbranch_vccnz .LBB119_912
; %bb.897:
	s_cmp_lt_i32 s14, 2
	s_mov_b64 s[4:5], -1
	s_cbranch_scc1 .LBB119_907
; %bb.898:
	s_cmp_lt_i32 s14, 3
	s_cbranch_scc1 .LBB119_904
; %bb.899:
	s_cmp_gt_i32 s14, 3
	s_cbranch_scc0 .LBB119_901
; %bb.900:
	s_lshl_b32 s4, s12, 8
	s_lshl_b32 s5, s12, 25
	s_lshr_b32 s6, s5, 4
	s_and_b32 s4, s4, 0x7f00
	s_or_b32 s6, s6, 0x70000000
	s_or_b32 s4, s4, 0.5
	s_cmp_lt_u32 s5, 0x8000000
	v_mov_b32_e32 v4, 0x7800000
	v_add_f32_e64 v3, s4, -0.5
	v_mul_f32_e32 v4, s6, v4
	s_cselect_b64 vcc, -1, 0
	s_lshl_b32 s4, s12, 24
	v_cndmask_b32_e32 v3, v4, v3, vcc
	s_and_b32 s4, s4, 0x80000000
	v_or_b32_e32 v3, s4, v3
	v_trunc_f32_e32 v3, v3
	s_mov_b32 s4, 0x2f800000
	v_mul_f32_e64 v4, |v3|, s4
	v_floor_f32_e32 v4, v4
	s_mov_b32 s4, 0xcf800000
	v_fma_f32 v5, v4, s4, |v3|
	v_cvt_u32_f32_e32 v5, v5
	v_cvt_u32_f32_e32 v4, v4
	v_ashrrev_i32_e32 v6, 31, v3
	s_mov_b64 s[4:5], 0
	v_xor_b32_e32 v3, v5, v6
	v_xor_b32_e32 v4, v4, v6
	v_sub_co_u32_e32 v3, vcc, v3, v6
	v_subb_co_u32_e32 v4, vcc, v4, v6, vcc
	global_store_dwordx2 v[1:2], v[3:4], off
.LBB119_901:
	s_andn2_b64 vcc, exec, s[4:5]
	s_cbranch_vccnz .LBB119_903
; %bb.902:
	s_lshl_b32 s4, s12, 8
	s_lshl_b32 s5, s12, 25
	s_lshr_b32 s6, s5, 4
	s_and_b32 s4, s4, 0x7f00
	s_or_b32 s6, s6, 0x70000000
	s_or_b32 s4, s4, 0.5
	s_cmp_lt_u32 s5, 0x8000000
	v_mov_b32_e32 v4, 0x7800000
	v_add_f32_e64 v3, s4, -0.5
	v_mul_f32_e32 v4, s6, v4
	s_cselect_b64 vcc, -1, 0
	s_lshl_b32 s4, s12, 24
	v_cndmask_b32_e32 v3, v4, v3, vcc
	s_and_b32 s4, s4, 0x80000000
	v_or_b32_e32 v3, s4, v3
	v_cvt_i32_f32_e32 v3, v3
	global_store_dword v[1:2], v3, off
.LBB119_903:
	s_mov_b64 s[4:5], 0
.LBB119_904:
	s_andn2_b64 vcc, exec, s[4:5]
	s_cbranch_vccnz .LBB119_906
; %bb.905:
	s_lshl_b32 s4, s12, 8
	s_lshl_b32 s5, s12, 25
	s_lshr_b32 s6, s5, 4
	s_and_b32 s4, s4, 0x7f00
	s_or_b32 s6, s6, 0x70000000
	s_or_b32 s4, s4, 0.5
	s_cmp_lt_u32 s5, 0x8000000
	v_mov_b32_e32 v4, 0x7800000
	v_add_f32_e64 v3, s4, -0.5
	v_mul_f32_e32 v4, s6, v4
	s_cselect_b64 vcc, -1, 0
	s_lshl_b32 s4, s12, 24
	v_cndmask_b32_e32 v3, v4, v3, vcc
	s_and_b32 s4, s4, 0x80000000
	v_or_b32_e32 v3, s4, v3
	v_cvt_i32_f32_e32 v3, v3
	global_store_short v[1:2], v3, off
.LBB119_906:
	s_mov_b64 s[4:5], 0
.LBB119_907:
	s_andn2_b64 vcc, exec, s[4:5]
	s_cbranch_vccnz .LBB119_912
; %bb.908:
	s_cmp_gt_i32 s14, 0
	s_mov_b64 s[4:5], -1
	s_cbranch_scc0 .LBB119_910
; %bb.909:
	s_lshl_b32 s4, s12, 8
	s_lshl_b32 s5, s12, 25
	s_lshr_b32 s6, s5, 4
	s_and_b32 s4, s4, 0x7f00
	s_or_b32 s6, s6, 0x70000000
	s_or_b32 s4, s4, 0.5
	s_cmp_lt_u32 s5, 0x8000000
	v_mov_b32_e32 v4, 0x7800000
	v_add_f32_e64 v3, s4, -0.5
	v_mul_f32_e32 v4, s6, v4
	s_cselect_b64 vcc, -1, 0
	s_lshl_b32 s4, s12, 24
	v_cndmask_b32_e32 v3, v4, v3, vcc
	s_and_b32 s4, s4, 0x80000000
	v_or_b32_e32 v3, s4, v3
	v_cvt_i32_f32_e32 v3, v3
	s_mov_b64 s[4:5], 0
	global_store_byte v[1:2], v3, off
.LBB119_910:
	s_andn2_b64 vcc, exec, s[4:5]
	s_cbranch_vccnz .LBB119_912
; %bb.911:
	s_lshl_b32 s4, s12, 8
	s_lshl_b32 s5, s12, 25
	s_lshr_b32 s6, s5, 4
	s_and_b32 s4, s4, 0x7f00
	s_or_b32 s6, s6, 0x70000000
	s_or_b32 s4, s4, 0.5
	s_cmp_lt_u32 s5, 0x8000000
	v_mov_b32_e32 v4, 0x7800000
	v_add_f32_e64 v3, s4, -0.5
	v_mul_f32_e32 v4, s6, v4
	s_cselect_b64 vcc, -1, 0
	s_lshl_b32 s4, s12, 24
	v_cndmask_b32_e32 v3, v4, v3, vcc
	s_and_b32 s4, s4, 0x80000000
	v_or_b32_e32 v3, s4, v3
	v_trunc_f32_e32 v3, v3
	s_mov_b32 s4, 0x2f800000
	v_mul_f32_e64 v4, |v3|, s4
	v_floor_f32_e32 v4, v4
	s_mov_b32 s4, 0xcf800000
	v_fma_f32 v4, v4, s4, |v3|
	v_cvt_u32_f32_e32 v4, v4
	v_ashrrev_i32_e32 v3, 31, v3
	v_xor_b32_e32 v4, v4, v3
	v_sub_u32_e32 v3, v4, v3
	global_store_byte v[1:2], v3, off
.LBB119_912:
	s_branch .LBB119_782
.LBB119_913:
	s_mov_b64 s[2:3], 0
	s_mov_b64 s[4:5], 0
                                        ; implicit-def: $sgpr13
                                        ; implicit-def: $vgpr0_vgpr1
.LBB119_914:
	s_and_b64 s[6:7], s[4:5], exec
	s_andn2_b64 s[4:5], s[20:21], exec
	s_and_b64 s[0:1], s[0:1], exec
	s_and_b64 s[2:3], s[2:3], exec
	s_or_b64 s[20:21], s[4:5], s[0:1]
.LBB119_915:
	s_or_b64 exec, exec, s[22:23]
	s_and_saveexec_b64 s[0:1], s[20:21]
	s_cbranch_execz .LBB119_918
; %bb.916:
	; divergent unreachable
	s_or_b64 exec, exec, s[0:1]
	s_and_saveexec_b64 s[0:1], s[6:7]
	s_xor_b64 s[0:1], exec, s[0:1]
	s_cbranch_execnz .LBB119_919
.LBB119_917:
	s_or_b64 exec, exec, s[0:1]
	s_and_saveexec_b64 s[0:1], s[2:3]
	s_cbranch_execnz .LBB119_920
	s_branch .LBB119_957
.LBB119_918:
	s_or_b64 exec, exec, s[0:1]
	s_and_saveexec_b64 s[0:1], s[6:7]
	s_xor_b64 s[0:1], exec, s[0:1]
	s_cbranch_execz .LBB119_917
.LBB119_919:
	s_lshl_b32 s4, s12, 8
	s_lshl_b32 s5, s12, 25
	s_lshr_b32 s6, s5, 4
	s_and_b32 s4, s4, 0x7f00
	s_or_b32 s6, s6, 0x70000000
	s_or_b32 s4, s4, 0.5
	s_cmp_lt_u32 s5, 0x8000000
	v_mov_b32_e32 v3, 0x7800000
	v_add_f32_e64 v2, s4, -0.5
	v_mul_f32_e32 v3, s6, v3
	s_cselect_b64 vcc, -1, 0
	v_cndmask_b32_e32 v2, v3, v2, vcc
	v_cmp_neq_f32_e32 vcc, 0, v2
	v_cndmask_b32_e64 v2, 0, 1, vcc
	global_store_byte v[0:1], v2, off
	s_or_b64 exec, exec, s[0:1]
	s_and_saveexec_b64 s[0:1], s[2:3]
	s_cbranch_execz .LBB119_957
.LBB119_920:
	s_sext_i32_i16 s2, s13
	s_cmp_lt_i32 s2, 5
	s_mov_b64 s[0:1], -1
	s_cbranch_scc1 .LBB119_941
; %bb.921:
	s_cmp_lt_i32 s2, 8
	s_cbranch_scc1 .LBB119_931
; %bb.922:
	s_cmp_lt_i32 s2, 9
	s_cbranch_scc1 .LBB119_928
; %bb.923:
	s_cmp_gt_i32 s2, 9
	s_cbranch_scc0 .LBB119_925
; %bb.924:
	s_lshl_b32 s0, s12, 8
	s_lshl_b32 s1, s12, 25
	s_lshr_b32 s2, s1, 4
	s_and_b32 s0, s0, 0x7f00
	s_or_b32 s2, s2, 0x70000000
	s_or_b32 s0, s0, 0.5
	s_cmp_lt_u32 s1, 0x8000000
	v_mov_b32_e32 v3, 0x7800000
	v_add_f32_e64 v2, s0, -0.5
	v_mul_f32_e32 v3, s2, v3
	s_cselect_b64 vcc, -1, 0
	s_lshl_b32 s0, s12, 24
	v_cndmask_b32_e32 v2, v3, v2, vcc
	s_and_b32 s0, s0, 0x80000000
	v_or_b32_e32 v2, s0, v2
	v_cvt_f64_f32_e32 v[2:3], v2
	v_mov_b32_e32 v4, 0
	v_mov_b32_e32 v5, v4
	s_mov_b64 s[0:1], 0
	global_store_dwordx4 v[0:1], v[2:5], off
.LBB119_925:
	s_andn2_b64 vcc, exec, s[0:1]
	s_cbranch_vccnz .LBB119_927
; %bb.926:
	s_lshl_b32 s0, s12, 8
	s_lshl_b32 s1, s12, 25
	s_lshr_b32 s2, s1, 4
	s_and_b32 s0, s0, 0x7f00
	s_or_b32 s2, s2, 0x70000000
	s_or_b32 s0, s0, 0.5
	s_cmp_lt_u32 s1, 0x8000000
	v_mov_b32_e32 v3, 0x7800000
	v_add_f32_e64 v2, s0, -0.5
	v_mul_f32_e32 v3, s2, v3
	s_cselect_b64 vcc, -1, 0
	s_lshl_b32 s0, s12, 24
	v_cndmask_b32_e32 v2, v3, v2, vcc
	s_and_b32 s0, s0, 0x80000000
	v_or_b32_e32 v2, s0, v2
	v_mov_b32_e32 v3, 0
	global_store_dwordx2 v[0:1], v[2:3], off
.LBB119_927:
	s_mov_b64 s[0:1], 0
.LBB119_928:
	s_andn2_b64 vcc, exec, s[0:1]
	s_cbranch_vccnz .LBB119_930
; %bb.929:
	s_lshl_b32 s0, s12, 8
	s_lshl_b32 s1, s12, 25
	s_lshr_b32 s2, s1, 4
	s_and_b32 s0, s0, 0x7f00
	s_or_b32 s2, s2, 0x70000000
	s_or_b32 s0, s0, 0.5
	s_cmp_lt_u32 s1, 0x8000000
	v_mov_b32_e32 v3, 0x7800000
	v_add_f32_e64 v2, s0, -0.5
	v_mul_f32_e32 v3, s2, v3
	s_cselect_b64 vcc, -1, 0
	s_lshl_b32 s0, s12, 24
	v_cndmask_b32_e32 v2, v3, v2, vcc
	s_and_b32 s0, s0, 0x80000000
	v_or_b32_e32 v2, s0, v2
	v_cvt_f16_f32_e32 v2, v2
	global_store_dword v[0:1], v2, off
.LBB119_930:
	s_mov_b64 s[0:1], 0
.LBB119_931:
	s_andn2_b64 vcc, exec, s[0:1]
	s_cbranch_vccnz .LBB119_940
; %bb.932:
	s_sext_i32_i16 s2, s13
	s_cmp_lt_i32 s2, 6
	s_mov_b64 s[0:1], -1
	s_cbranch_scc1 .LBB119_938
; %bb.933:
	s_cmp_gt_i32 s2, 6
	s_cbranch_scc0 .LBB119_935
; %bb.934:
	s_lshl_b32 s0, s12, 8
	s_lshl_b32 s1, s12, 25
	s_lshr_b32 s2, s1, 4
	s_and_b32 s0, s0, 0x7f00
	s_or_b32 s2, s2, 0x70000000
	s_or_b32 s0, s0, 0.5
	s_cmp_lt_u32 s1, 0x8000000
	v_mov_b32_e32 v3, 0x7800000
	v_add_f32_e64 v2, s0, -0.5
	v_mul_f32_e32 v3, s2, v3
	s_cselect_b64 vcc, -1, 0
	s_lshl_b32 s0, s12, 24
	v_cndmask_b32_e32 v2, v3, v2, vcc
	s_and_b32 s0, s0, 0x80000000
	v_or_b32_e32 v2, s0, v2
	v_cvt_f64_f32_e32 v[2:3], v2
	s_mov_b64 s[0:1], 0
	global_store_dwordx2 v[0:1], v[2:3], off
.LBB119_935:
	s_andn2_b64 vcc, exec, s[0:1]
	s_cbranch_vccnz .LBB119_937
; %bb.936:
	s_lshl_b32 s0, s12, 8
	s_lshl_b32 s1, s12, 25
	s_lshr_b32 s2, s1, 4
	s_and_b32 s0, s0, 0x7f00
	s_or_b32 s2, s2, 0x70000000
	s_or_b32 s0, s0, 0.5
	s_cmp_lt_u32 s1, 0x8000000
	v_mov_b32_e32 v3, 0x7800000
	v_add_f32_e64 v2, s0, -0.5
	v_mul_f32_e32 v3, s2, v3
	s_cselect_b64 vcc, -1, 0
	s_lshl_b32 s0, s12, 24
	v_cndmask_b32_e32 v2, v3, v2, vcc
	s_and_b32 s0, s0, 0x80000000
	v_or_b32_e32 v2, s0, v2
	global_store_dword v[0:1], v2, off
.LBB119_937:
	s_mov_b64 s[0:1], 0
.LBB119_938:
	s_andn2_b64 vcc, exec, s[0:1]
	s_cbranch_vccnz .LBB119_940
; %bb.939:
	s_lshl_b32 s0, s12, 8
	s_lshl_b32 s1, s12, 25
	s_lshr_b32 s2, s1, 4
	s_and_b32 s0, s0, 0x7f00
	s_or_b32 s2, s2, 0x70000000
	s_or_b32 s0, s0, 0.5
	s_cmp_lt_u32 s1, 0x8000000
	v_mov_b32_e32 v3, 0x7800000
	v_add_f32_e64 v2, s0, -0.5
	v_mul_f32_e32 v3, s2, v3
	s_cselect_b64 vcc, -1, 0
	s_lshl_b32 s0, s12, 24
	v_cndmask_b32_e32 v2, v3, v2, vcc
	s_and_b32 s0, s0, 0x80000000
	v_or_b32_e32 v2, s0, v2
	v_cvt_f16_f32_e32 v2, v2
	global_store_short v[0:1], v2, off
.LBB119_940:
	s_mov_b64 s[0:1], 0
.LBB119_941:
	s_andn2_b64 vcc, exec, s[0:1]
	s_cbranch_vccnz .LBB119_957
; %bb.942:
	s_sext_i32_i16 s2, s13
	s_cmp_lt_i32 s2, 2
	s_mov_b64 s[0:1], -1
	s_cbranch_scc1 .LBB119_952
; %bb.943:
	s_cmp_lt_i32 s2, 3
	s_cbranch_scc1 .LBB119_949
; %bb.944:
	s_cmp_gt_i32 s2, 3
	s_cbranch_scc0 .LBB119_946
; %bb.945:
	s_lshl_b32 s0, s12, 8
	s_lshl_b32 s1, s12, 25
	s_lshr_b32 s2, s1, 4
	s_and_b32 s0, s0, 0x7f00
	s_or_b32 s2, s2, 0x70000000
	s_or_b32 s0, s0, 0.5
	s_cmp_lt_u32 s1, 0x8000000
	v_mov_b32_e32 v3, 0x7800000
	v_add_f32_e64 v2, s0, -0.5
	v_mul_f32_e32 v3, s2, v3
	s_cselect_b64 vcc, -1, 0
	s_lshl_b32 s0, s12, 24
	v_cndmask_b32_e32 v2, v3, v2, vcc
	s_and_b32 s0, s0, 0x80000000
	v_or_b32_e32 v2, s0, v2
	v_trunc_f32_e32 v2, v2
	s_mov_b32 s0, 0x2f800000
	v_mul_f32_e64 v3, |v2|, s0
	v_floor_f32_e32 v3, v3
	s_mov_b32 s0, 0xcf800000
	v_fma_f32 v4, v3, s0, |v2|
	v_cvt_u32_f32_e32 v4, v4
	v_cvt_u32_f32_e32 v3, v3
	v_ashrrev_i32_e32 v5, 31, v2
	s_mov_b64 s[0:1], 0
	v_xor_b32_e32 v2, v4, v5
	v_xor_b32_e32 v3, v3, v5
	v_sub_co_u32_e32 v2, vcc, v2, v5
	v_subb_co_u32_e32 v3, vcc, v3, v5, vcc
	global_store_dwordx2 v[0:1], v[2:3], off
.LBB119_946:
	s_andn2_b64 vcc, exec, s[0:1]
	s_cbranch_vccnz .LBB119_948
; %bb.947:
	s_lshl_b32 s0, s12, 8
	s_lshl_b32 s1, s12, 25
	s_lshr_b32 s2, s1, 4
	s_and_b32 s0, s0, 0x7f00
	s_or_b32 s2, s2, 0x70000000
	s_or_b32 s0, s0, 0.5
	s_cmp_lt_u32 s1, 0x8000000
	v_mov_b32_e32 v3, 0x7800000
	v_add_f32_e64 v2, s0, -0.5
	v_mul_f32_e32 v3, s2, v3
	s_cselect_b64 vcc, -1, 0
	s_lshl_b32 s0, s12, 24
	v_cndmask_b32_e32 v2, v3, v2, vcc
	s_and_b32 s0, s0, 0x80000000
	v_or_b32_e32 v2, s0, v2
	v_cvt_i32_f32_e32 v2, v2
	global_store_dword v[0:1], v2, off
.LBB119_948:
	s_mov_b64 s[0:1], 0
.LBB119_949:
	s_andn2_b64 vcc, exec, s[0:1]
	s_cbranch_vccnz .LBB119_951
; %bb.950:
	s_lshl_b32 s0, s12, 8
	s_lshl_b32 s1, s12, 25
	s_lshr_b32 s2, s1, 4
	s_and_b32 s0, s0, 0x7f00
	s_or_b32 s2, s2, 0x70000000
	s_or_b32 s0, s0, 0.5
	s_cmp_lt_u32 s1, 0x8000000
	v_mov_b32_e32 v3, 0x7800000
	v_add_f32_e64 v2, s0, -0.5
	v_mul_f32_e32 v3, s2, v3
	s_cselect_b64 vcc, -1, 0
	s_lshl_b32 s0, s12, 24
	v_cndmask_b32_e32 v2, v3, v2, vcc
	s_and_b32 s0, s0, 0x80000000
	v_or_b32_e32 v2, s0, v2
	v_cvt_i32_f32_e32 v2, v2
	global_store_short v[0:1], v2, off
.LBB119_951:
	s_mov_b64 s[0:1], 0
.LBB119_952:
	s_andn2_b64 vcc, exec, s[0:1]
	s_cbranch_vccnz .LBB119_957
; %bb.953:
	s_sext_i32_i16 s0, s13
	s_cmp_gt_i32 s0, 0
	s_mov_b64 s[0:1], -1
	s_cbranch_scc0 .LBB119_955
; %bb.954:
	s_lshl_b32 s0, s12, 8
	s_lshl_b32 s1, s12, 25
	s_lshr_b32 s2, s1, 4
	s_and_b32 s0, s0, 0x7f00
	s_or_b32 s2, s2, 0x70000000
	s_or_b32 s0, s0, 0.5
	s_cmp_lt_u32 s1, 0x8000000
	v_mov_b32_e32 v3, 0x7800000
	v_add_f32_e64 v2, s0, -0.5
	v_mul_f32_e32 v3, s2, v3
	s_cselect_b64 vcc, -1, 0
	s_lshl_b32 s0, s12, 24
	v_cndmask_b32_e32 v2, v3, v2, vcc
	s_and_b32 s0, s0, 0x80000000
	v_or_b32_e32 v2, s0, v2
	v_cvt_i32_f32_e32 v2, v2
	s_mov_b64 s[0:1], 0
	global_store_byte v[0:1], v2, off
.LBB119_955:
	s_andn2_b64 vcc, exec, s[0:1]
	s_cbranch_vccnz .LBB119_957
; %bb.956:
	s_lshl_b32 s0, s12, 8
	s_lshl_b32 s1, s12, 25
	s_lshr_b32 s2, s1, 4
	s_and_b32 s0, s0, 0x7f00
	s_or_b32 s2, s2, 0x70000000
	s_or_b32 s0, s0, 0.5
	s_cmp_lt_u32 s1, 0x8000000
	v_mov_b32_e32 v3, 0x7800000
	v_add_f32_e64 v2, s0, -0.5
	v_mul_f32_e32 v3, s2, v3
	s_cselect_b64 vcc, -1, 0
	s_lshl_b32 s0, s12, 24
	v_cndmask_b32_e32 v2, v3, v2, vcc
	s_and_b32 s0, s0, 0x80000000
	v_or_b32_e32 v2, s0, v2
	v_trunc_f32_e32 v2, v2
	s_mov_b32 s0, 0x2f800000
	v_mul_f32_e64 v3, |v2|, s0
	v_floor_f32_e32 v3, v3
	s_mov_b32 s0, 0xcf800000
	v_fma_f32 v3, v3, s0, |v2|
	v_cvt_u32_f32_e32 v3, v3
	v_ashrrev_i32_e32 v2, 31, v2
	v_xor_b32_e32 v3, v3, v2
	v_sub_u32_e32 v2, v3, v2
	global_store_byte v[0:1], v2, off
	s_endpgm
.LBB119_957:
	s_endpgm
.LBB119_958:
	s_trap 2
	s_or_b64 s[0:1], s[0:1], exec
	s_cbranch_execz .LBB119_873
	s_branch .LBB119_874
.LBB119_959:
	s_mov_b64 s[6:7], -1
	s_mov_b64 s[4:5], 0
                                        ; implicit-def: $vgpr2
.LBB119_960:
	s_andn2_b64 vcc, exec, s[6:7]
	s_cbranch_vccnz .LBB119_962
; %bb.961:
	v_mov_b32_e32 v2, 0x42800000
	v_add_f32_e64 v2, |s8|, v2
	v_and_b32_e32 v2, 0xff, v2
	v_cmp_ne_u32_e64 s[4:5], 0, v2
.LBB119_962:
	s_andn2_b64 vcc, exec, s[4:5]
	v_mov_b32_e32 v3, 0
	s_cbranch_vccnz .LBB119_964
; %bb.963:
	s_lshr_b32 s4, s8, 24
	s_and_b32 s4, s4, 0x80
	v_or_b32_e32 v3, s4, v2
.LBB119_964:
	s_mov_b64 s[4:5], 0
	global_store_byte v[0:1], v3, off
.LBB119_965:
	s_and_b64 vcc, exec, s[4:5]
	s_cbranch_vccz .LBB119_977
; %bb.966:
	s_lshl_b32 s4, s12, 8
	s_lshl_b32 s5, s12, 25
	s_lshr_b32 s6, s5, 4
	s_and_b32 s4, s4, 0x7f00
	s_or_b32 s6, s6, 0x70000000
	s_or_b32 s4, s4, 0.5
	s_cmp_lt_u32 s5, 0x8000000
	v_mov_b32_e32 v3, 0x7800000
	v_add_f32_e64 v2, s4, -0.5
	v_mul_f32_e32 v3, s6, v3
	s_cselect_b64 vcc, -1, 0
	v_cndmask_b32_e32 v2, v3, v2, vcc
	s_lshl_b32 s5, s12, 24
	v_readfirstlane_b32 s4, v2
	s_and_b32 s5, s5, 0x80000000
	s_or_b32 s6, s5, s4
	s_and_b32 s7, s6, 0x7fffffff
	s_cmp_lt_u32 s7, 0x43f00000
	s_cbranch_scc0 .LBB119_969
; %bb.967:
	s_cmp_gt_u32 s7, 0x3c7fffff
	s_cbranch_scc0 .LBB119_970
; %bb.968:
	s_bfe_u32 s4, s4, 0x10014
	s_add_i32 s4, s6, s4
	s_add_i32 s4, s4, 0x407ffff
	s_lshr_b32 s5, s4, 20
	s_and_b32 s4, s4, 0xff00000
	s_cmp_lg_u32 s4, 0x7f00000
	s_cselect_b32 s8, s5, 0x7e
	s_mov_b64 s[4:5], 0
	s_branch .LBB119_971
.LBB119_969:
	s_mov_b64 s[4:5], -1
                                        ; implicit-def: $vgpr2
	s_branch .LBB119_974
.LBB119_970:
	s_mov_b64 s[4:5], -1
                                        ; implicit-def: $sgpr8
.LBB119_971:
	s_andn2_b64 vcc, exec, s[4:5]
	v_mov_b32_e32 v2, s8
	s_cbranch_vccnz .LBB119_973
; %bb.972:
	v_mov_b32_e32 v2, 0x46800000
	v_add_f32_e64 v2, |s6|, v2
.LBB119_973:
	s_mov_b64 s[4:5], 0
.LBB119_974:
	s_andn2_b64 vcc, exec, s[4:5]
	s_cbranch_vccnz .LBB119_976
; %bb.975:
	s_cmp_gt_u32 s7, 0x7f800000
	s_movk_i32 s4, 0x7f
	s_cselect_b32 s4, s4, 0x7e
	v_mov_b32_e32 v2, s4
.LBB119_976:
	s_lshr_b32 s4, s6, 24
	s_and_b32 s4, s4, 0x80
	v_or_b32_e32 v2, s4, v2
	global_store_byte v[0:1], v2, off
.LBB119_977:
	s_mov_b64 s[4:5], 0
.LBB119_978:
	s_andn2_b64 vcc, exec, s[4:5]
	s_cbranch_vccnz .LBB119_980
; %bb.979:
	v_mov_b32_e32 v2, s12
	global_store_byte v[0:1], v2, off
.LBB119_980:
	s_mov_b64 s[4:5], 0
.LBB119_981:
	s_andn2_b64 vcc, exec, s[4:5]
	s_mov_b64 s[4:5], 0
	s_cbranch_vccnz .LBB119_988
; %bb.982:
	s_cmp_gt_i32 s14, 14
	s_mov_b64 s[6:7], -1
	s_cbranch_scc0 .LBB119_986
; %bb.983:
	s_cmp_eq_u32 s14, 15
	s_mov_b64 s[2:3], -1
	s_cbranch_scc0 .LBB119_985
; %bb.984:
	s_lshl_b32 s2, s12, 8
	s_lshl_b32 s3, s12, 25
	s_lshr_b32 s4, s3, 4
	s_and_b32 s2, s2, 0x7f00
	s_or_b32 s4, s4, 0x70000000
	s_or_b32 s2, s2, 0.5
	s_cmp_lt_u32 s3, 0x8000000
	v_mov_b32_e32 v3, 0x7800000
	v_add_f32_e64 v2, s2, -0.5
	v_mul_f32_e32 v3, s4, v3
	s_cselect_b64 vcc, -1, 0
	s_lshl_b32 s2, s12, 24
	v_cndmask_b32_e32 v2, v3, v2, vcc
	s_and_b32 s2, s2, 0x80000000
	v_or_b32_e32 v3, s2, v2
	v_bfe_u32 v2, v2, 16, 1
	v_add_u32_e32 v2, v3, v2
	v_add_u32_e32 v2, 0x7fff, v2
	v_cmp_o_f32_e32 vcc, v3, v3
	v_mov_b32_e32 v3, 0x7fc0
	v_cndmask_b32_sdwa v2, v3, v2, vcc dst_sel:DWORD dst_unused:UNUSED_PAD src0_sel:DWORD src1_sel:WORD_1
	global_store_short v[0:1], v2, off
	s_mov_b64 s[2:3], 0
.LBB119_985:
	s_mov_b64 s[6:7], 0
.LBB119_986:
	s_mov_b64 s[4:5], 0
	s_and_b64 vcc, exec, s[6:7]
	s_cbranch_vccz .LBB119_988
; %bb.987:
	s_cmp_lg_u32 s14, 11
	s_mov_b64 s[4:5], -1
	s_cselect_b64 s[2:3], -1, 0
.LBB119_988:
	s_and_b64 vcc, exec, s[2:3]
	s_cbranch_vccnz .LBB119_990
.LBB119_989:
	s_mov_b64 s[2:3], 0
	s_branch .LBB119_914
.LBB119_990:
	s_mov_b64 s[4:5], 0
	s_or_b64 s[0:1], s[0:1], exec
	s_trap 2
	s_branch .LBB119_989
	.section	.rodata,"a",@progbits
	.p2align	6, 0x0
	.amdhsa_kernel _ZN2at6native32elementwise_kernel_manual_unrollILi128ELi4EZNS0_15gpu_kernel_implINS0_11FillFunctorIN3c1011Float8_e5m2EEEEEvRNS_18TensorIteratorBaseERKT_EUlibE0_EEviT1_
		.amdhsa_group_segment_fixed_size 0
		.amdhsa_private_segment_fixed_size 0
		.amdhsa_kernarg_size 288
		.amdhsa_user_sgpr_count 6
		.amdhsa_user_sgpr_private_segment_buffer 1
		.amdhsa_user_sgpr_dispatch_ptr 0
		.amdhsa_user_sgpr_queue_ptr 0
		.amdhsa_user_sgpr_kernarg_segment_ptr 1
		.amdhsa_user_sgpr_dispatch_id 0
		.amdhsa_user_sgpr_flat_scratch_init 0
		.amdhsa_user_sgpr_private_segment_size 0
		.amdhsa_uses_dynamic_stack 0
		.amdhsa_system_sgpr_private_segment_wavefront_offset 0
		.amdhsa_system_sgpr_workgroup_id_x 1
		.amdhsa_system_sgpr_workgroup_id_y 0
		.amdhsa_system_sgpr_workgroup_id_z 0
		.amdhsa_system_sgpr_workgroup_info 0
		.amdhsa_system_vgpr_workitem_id 0
		.amdhsa_next_free_vgpr 24
		.amdhsa_next_free_sgpr 88
		.amdhsa_reserve_vcc 1
		.amdhsa_reserve_flat_scratch 0
		.amdhsa_float_round_mode_32 0
		.amdhsa_float_round_mode_16_64 0
		.amdhsa_float_denorm_mode_32 3
		.amdhsa_float_denorm_mode_16_64 3
		.amdhsa_dx10_clamp 1
		.amdhsa_ieee_mode 1
		.amdhsa_fp16_overflow 0
		.amdhsa_exception_fp_ieee_invalid_op 0
		.amdhsa_exception_fp_denorm_src 0
		.amdhsa_exception_fp_ieee_div_zero 0
		.amdhsa_exception_fp_ieee_overflow 0
		.amdhsa_exception_fp_ieee_underflow 0
		.amdhsa_exception_fp_ieee_inexact 0
		.amdhsa_exception_int_div_zero 0
	.end_amdhsa_kernel
	.section	.text._ZN2at6native32elementwise_kernel_manual_unrollILi128ELi4EZNS0_15gpu_kernel_implINS0_11FillFunctorIN3c1011Float8_e5m2EEEEEvRNS_18TensorIteratorBaseERKT_EUlibE0_EEviT1_,"axG",@progbits,_ZN2at6native32elementwise_kernel_manual_unrollILi128ELi4EZNS0_15gpu_kernel_implINS0_11FillFunctorIN3c1011Float8_e5m2EEEEEvRNS_18TensorIteratorBaseERKT_EUlibE0_EEviT1_,comdat
.Lfunc_end119:
	.size	_ZN2at6native32elementwise_kernel_manual_unrollILi128ELi4EZNS0_15gpu_kernel_implINS0_11FillFunctorIN3c1011Float8_e5m2EEEEEvRNS_18TensorIteratorBaseERKT_EUlibE0_EEviT1_, .Lfunc_end119-_ZN2at6native32elementwise_kernel_manual_unrollILi128ELi4EZNS0_15gpu_kernel_implINS0_11FillFunctorIN3c1011Float8_e5m2EEEEEvRNS_18TensorIteratorBaseERKT_EUlibE0_EEviT1_
                                        ; -- End function
	.set _ZN2at6native32elementwise_kernel_manual_unrollILi128ELi4EZNS0_15gpu_kernel_implINS0_11FillFunctorIN3c1011Float8_e5m2EEEEEvRNS_18TensorIteratorBaseERKT_EUlibE0_EEviT1_.num_vgpr, 24
	.set _ZN2at6native32elementwise_kernel_manual_unrollILi128ELi4EZNS0_15gpu_kernel_implINS0_11FillFunctorIN3c1011Float8_e5m2EEEEEvRNS_18TensorIteratorBaseERKT_EUlibE0_EEviT1_.num_agpr, 0
	.set _ZN2at6native32elementwise_kernel_manual_unrollILi128ELi4EZNS0_15gpu_kernel_implINS0_11FillFunctorIN3c1011Float8_e5m2EEEEEvRNS_18TensorIteratorBaseERKT_EUlibE0_EEviT1_.numbered_sgpr, 88
	.set _ZN2at6native32elementwise_kernel_manual_unrollILi128ELi4EZNS0_15gpu_kernel_implINS0_11FillFunctorIN3c1011Float8_e5m2EEEEEvRNS_18TensorIteratorBaseERKT_EUlibE0_EEviT1_.num_named_barrier, 0
	.set _ZN2at6native32elementwise_kernel_manual_unrollILi128ELi4EZNS0_15gpu_kernel_implINS0_11FillFunctorIN3c1011Float8_e5m2EEEEEvRNS_18TensorIteratorBaseERKT_EUlibE0_EEviT1_.private_seg_size, 0
	.set _ZN2at6native32elementwise_kernel_manual_unrollILi128ELi4EZNS0_15gpu_kernel_implINS0_11FillFunctorIN3c1011Float8_e5m2EEEEEvRNS_18TensorIteratorBaseERKT_EUlibE0_EEviT1_.uses_vcc, 1
	.set _ZN2at6native32elementwise_kernel_manual_unrollILi128ELi4EZNS0_15gpu_kernel_implINS0_11FillFunctorIN3c1011Float8_e5m2EEEEEvRNS_18TensorIteratorBaseERKT_EUlibE0_EEviT1_.uses_flat_scratch, 0
	.set _ZN2at6native32elementwise_kernel_manual_unrollILi128ELi4EZNS0_15gpu_kernel_implINS0_11FillFunctorIN3c1011Float8_e5m2EEEEEvRNS_18TensorIteratorBaseERKT_EUlibE0_EEviT1_.has_dyn_sized_stack, 0
	.set _ZN2at6native32elementwise_kernel_manual_unrollILi128ELi4EZNS0_15gpu_kernel_implINS0_11FillFunctorIN3c1011Float8_e5m2EEEEEvRNS_18TensorIteratorBaseERKT_EUlibE0_EEviT1_.has_recursion, 0
	.set _ZN2at6native32elementwise_kernel_manual_unrollILi128ELi4EZNS0_15gpu_kernel_implINS0_11FillFunctorIN3c1011Float8_e5m2EEEEEvRNS_18TensorIteratorBaseERKT_EUlibE0_EEviT1_.has_indirect_call, 0
	.section	.AMDGPU.csdata,"",@progbits
; Kernel info:
; codeLenInByte = 23532
; TotalNumSgprs: 92
; NumVgprs: 24
; ScratchSize: 0
; MemoryBound: 0
; FloatMode: 240
; IeeeMode: 1
; LDSByteSize: 0 bytes/workgroup (compile time only)
; SGPRBlocks: 11
; VGPRBlocks: 5
; NumSGPRsForWavesPerEU: 92
; NumVGPRsForWavesPerEU: 24
; Occupancy: 8
; WaveLimiterHint : 1
; COMPUTE_PGM_RSRC2:SCRATCH_EN: 0
; COMPUTE_PGM_RSRC2:USER_SGPR: 6
; COMPUTE_PGM_RSRC2:TRAP_HANDLER: 0
; COMPUTE_PGM_RSRC2:TGID_X_EN: 1
; COMPUTE_PGM_RSRC2:TGID_Y_EN: 0
; COMPUTE_PGM_RSRC2:TGID_Z_EN: 0
; COMPUTE_PGM_RSRC2:TIDIG_COMP_CNT: 0
	.section	.text._ZN2at6native29vectorized_elementwise_kernelILi16ENS0_11FillFunctorIN3c1015Float8_e5m2fnuzEEESt5arrayIPcLm1EEEEviT0_T1_,"axG",@progbits,_ZN2at6native29vectorized_elementwise_kernelILi16ENS0_11FillFunctorIN3c1015Float8_e5m2fnuzEEESt5arrayIPcLm1EEEEviT0_T1_,comdat
	.protected	_ZN2at6native29vectorized_elementwise_kernelILi16ENS0_11FillFunctorIN3c1015Float8_e5m2fnuzEEESt5arrayIPcLm1EEEEviT0_T1_ ; -- Begin function _ZN2at6native29vectorized_elementwise_kernelILi16ENS0_11FillFunctorIN3c1015Float8_e5m2fnuzEEESt5arrayIPcLm1EEEEviT0_T1_
	.globl	_ZN2at6native29vectorized_elementwise_kernelILi16ENS0_11FillFunctorIN3c1015Float8_e5m2fnuzEEESt5arrayIPcLm1EEEEviT0_T1_
	.p2align	8
	.type	_ZN2at6native29vectorized_elementwise_kernelILi16ENS0_11FillFunctorIN3c1015Float8_e5m2fnuzEEESt5arrayIPcLm1EEEEviT0_T1_,@function
_ZN2at6native29vectorized_elementwise_kernelILi16ENS0_11FillFunctorIN3c1015Float8_e5m2fnuzEEESt5arrayIPcLm1EEEEviT0_T1_: ; @_ZN2at6native29vectorized_elementwise_kernelILi16ENS0_11FillFunctorIN3c1015Float8_e5m2fnuzEEESt5arrayIPcLm1EEEEviT0_T1_
; %bb.0:
	s_load_dwordx4 s[0:3], s[4:5], 0x0
	s_lshl_b32 s6, s6, 12
	s_mov_b64 s[4:5], -1
	s_waitcnt lgkmcnt(0)
	s_sub_i32 s0, s0, s6
	s_cmpk_gt_i32 s0, 0xfff
	s_cbranch_scc0 .LBB120_2
; %bb.1:
	s_ashr_i32 s5, s6, 31
	s_add_u32 s4, s2, s6
	s_addc_u32 s5, s3, s5
	s_lshl_b32 s7, s1, 8
	s_and_b32 s8, s1, 0xff
	s_or_b32 s7, s8, s7
	s_and_b32 s8, s7, 0xffff
	s_lshl_b32 s7, s7, 16
	s_or_b32 s7, s8, s7
	v_lshlrev_b32_e32 v5, 4, v0
	v_mov_b32_e32 v1, s7
	v_mov_b32_e32 v2, s7
	;; [unrolled: 1-line block ×4, first 2 shown]
	global_store_dwordx4 v5, v[1:4], s[4:5]
	s_mov_b64 s[4:5], 0
.LBB120_2:
	s_andn2_b64 vcc, exec, s[4:5]
	s_cbranch_vccnz .LBB120_20
; %bb.3:
	v_cmp_gt_i32_e32 vcc, s0, v0
	s_and_saveexec_b64 s[4:5], vcc
	s_cbranch_execnz .LBB120_21
; %bb.4:
	s_or_b64 exec, exec, s[4:5]
	v_cmp_gt_i32_e32 vcc, s0, v0
	s_and_saveexec_b64 s[4:5], vcc
	s_cbranch_execnz .LBB120_22
.LBB120_5:
	s_or_b64 exec, exec, s[4:5]
	v_cmp_gt_i32_e32 vcc, s0, v0
	s_and_saveexec_b64 s[4:5], vcc
	s_cbranch_execnz .LBB120_23
.LBB120_6:
	s_or_b64 exec, exec, s[4:5]
	v_cmp_gt_i32_e32 vcc, s0, v0
	s_and_saveexec_b64 s[4:5], vcc
	s_cbranch_execnz .LBB120_24
.LBB120_7:
	s_or_b64 exec, exec, s[4:5]
	v_cmp_gt_i32_e32 vcc, s0, v0
	s_and_saveexec_b64 s[4:5], vcc
	s_cbranch_execnz .LBB120_25
.LBB120_8:
	s_or_b64 exec, exec, s[4:5]
	v_cmp_gt_i32_e32 vcc, s0, v0
	s_and_saveexec_b64 s[4:5], vcc
	s_cbranch_execnz .LBB120_26
.LBB120_9:
	s_or_b64 exec, exec, s[4:5]
	v_cmp_gt_i32_e32 vcc, s0, v0
	s_and_saveexec_b64 s[4:5], vcc
	s_cbranch_execnz .LBB120_27
.LBB120_10:
	s_or_b64 exec, exec, s[4:5]
	v_cmp_gt_i32_e32 vcc, s0, v0
	s_and_saveexec_b64 s[4:5], vcc
	s_cbranch_execnz .LBB120_28
.LBB120_11:
	s_or_b64 exec, exec, s[4:5]
	v_cmp_gt_i32_e32 vcc, s0, v0
	s_and_saveexec_b64 s[4:5], vcc
	s_cbranch_execnz .LBB120_29
.LBB120_12:
	s_or_b64 exec, exec, s[4:5]
	v_cmp_gt_i32_e32 vcc, s0, v0
	s_and_saveexec_b64 s[4:5], vcc
	s_cbranch_execnz .LBB120_30
.LBB120_13:
	s_or_b64 exec, exec, s[4:5]
	v_cmp_gt_i32_e32 vcc, s0, v0
	s_and_saveexec_b64 s[4:5], vcc
	s_cbranch_execnz .LBB120_31
.LBB120_14:
	s_or_b64 exec, exec, s[4:5]
	v_cmp_gt_i32_e32 vcc, s0, v0
	s_and_saveexec_b64 s[4:5], vcc
	s_cbranch_execnz .LBB120_32
.LBB120_15:
	s_or_b64 exec, exec, s[4:5]
	v_cmp_gt_i32_e32 vcc, s0, v0
	s_and_saveexec_b64 s[4:5], vcc
	s_cbranch_execnz .LBB120_33
.LBB120_16:
	s_or_b64 exec, exec, s[4:5]
	v_cmp_gt_i32_e32 vcc, s0, v0
	s_and_saveexec_b64 s[4:5], vcc
	s_cbranch_execnz .LBB120_34
.LBB120_17:
	s_or_b64 exec, exec, s[4:5]
	v_cmp_gt_i32_e32 vcc, s0, v0
	s_and_saveexec_b64 s[4:5], vcc
	s_cbranch_execnz .LBB120_35
.LBB120_18:
	s_or_b64 exec, exec, s[4:5]
	v_cmp_gt_i32_e32 vcc, s0, v0
	s_and_saveexec_b64 s[4:5], vcc
	s_cbranch_execz .LBB120_20
.LBB120_19:
	v_add_u32_e32 v0, s6, v0
	v_mov_b32_e32 v1, s1
	global_store_byte v0, v1, s[2:3]
.LBB120_20:
	s_endpgm
.LBB120_21:
	v_or_b32_e32 v1, 0x100, v0
	v_or_b32_e32 v0, s6, v0
	v_mov_b32_e32 v2, s1
	global_store_byte v0, v2, s[2:3]
	v_mov_b32_e32 v0, v1
	s_or_b64 exec, exec, s[4:5]
	v_cmp_gt_i32_e32 vcc, s0, v0
	s_and_saveexec_b64 s[4:5], vcc
	s_cbranch_execz .LBB120_5
.LBB120_22:
	v_add_u32_e32 v1, s6, v0
	v_add_u32_e32 v0, 0x100, v0
	v_mov_b32_e32 v2, s1
	global_store_byte v1, v2, s[2:3]
	s_or_b64 exec, exec, s[4:5]
	v_cmp_gt_i32_e32 vcc, s0, v0
	s_and_saveexec_b64 s[4:5], vcc
	s_cbranch_execz .LBB120_6
.LBB120_23:
	v_add_u32_e32 v1, s6, v0
	v_add_u32_e32 v0, 0x100, v0
	v_mov_b32_e32 v2, s1
	global_store_byte v1, v2, s[2:3]
	s_or_b64 exec, exec, s[4:5]
	v_cmp_gt_i32_e32 vcc, s0, v0
	s_and_saveexec_b64 s[4:5], vcc
	s_cbranch_execz .LBB120_7
.LBB120_24:
	v_add_u32_e32 v1, s6, v0
	v_add_u32_e32 v0, 0x100, v0
	v_mov_b32_e32 v2, s1
	global_store_byte v1, v2, s[2:3]
	s_or_b64 exec, exec, s[4:5]
	v_cmp_gt_i32_e32 vcc, s0, v0
	s_and_saveexec_b64 s[4:5], vcc
	s_cbranch_execz .LBB120_8
.LBB120_25:
	v_add_u32_e32 v1, s6, v0
	v_add_u32_e32 v0, 0x100, v0
	v_mov_b32_e32 v2, s1
	global_store_byte v1, v2, s[2:3]
	s_or_b64 exec, exec, s[4:5]
	v_cmp_gt_i32_e32 vcc, s0, v0
	s_and_saveexec_b64 s[4:5], vcc
	s_cbranch_execz .LBB120_9
.LBB120_26:
	v_add_u32_e32 v1, s6, v0
	v_add_u32_e32 v0, 0x100, v0
	v_mov_b32_e32 v2, s1
	global_store_byte v1, v2, s[2:3]
	s_or_b64 exec, exec, s[4:5]
	v_cmp_gt_i32_e32 vcc, s0, v0
	s_and_saveexec_b64 s[4:5], vcc
	s_cbranch_execz .LBB120_10
.LBB120_27:
	v_add_u32_e32 v1, s6, v0
	v_add_u32_e32 v0, 0x100, v0
	v_mov_b32_e32 v2, s1
	global_store_byte v1, v2, s[2:3]
	s_or_b64 exec, exec, s[4:5]
	v_cmp_gt_i32_e32 vcc, s0, v0
	s_and_saveexec_b64 s[4:5], vcc
	s_cbranch_execz .LBB120_11
.LBB120_28:
	v_add_u32_e32 v1, s6, v0
	v_add_u32_e32 v0, 0x100, v0
	v_mov_b32_e32 v2, s1
	global_store_byte v1, v2, s[2:3]
	s_or_b64 exec, exec, s[4:5]
	v_cmp_gt_i32_e32 vcc, s0, v0
	s_and_saveexec_b64 s[4:5], vcc
	s_cbranch_execz .LBB120_12
.LBB120_29:
	v_add_u32_e32 v1, s6, v0
	v_add_u32_e32 v0, 0x100, v0
	v_mov_b32_e32 v2, s1
	global_store_byte v1, v2, s[2:3]
	s_or_b64 exec, exec, s[4:5]
	v_cmp_gt_i32_e32 vcc, s0, v0
	s_and_saveexec_b64 s[4:5], vcc
	s_cbranch_execz .LBB120_13
.LBB120_30:
	v_add_u32_e32 v1, s6, v0
	v_add_u32_e32 v0, 0x100, v0
	v_mov_b32_e32 v2, s1
	global_store_byte v1, v2, s[2:3]
	s_or_b64 exec, exec, s[4:5]
	v_cmp_gt_i32_e32 vcc, s0, v0
	s_and_saveexec_b64 s[4:5], vcc
	s_cbranch_execz .LBB120_14
.LBB120_31:
	v_add_u32_e32 v1, s6, v0
	v_add_u32_e32 v0, 0x100, v0
	v_mov_b32_e32 v2, s1
	global_store_byte v1, v2, s[2:3]
	s_or_b64 exec, exec, s[4:5]
	v_cmp_gt_i32_e32 vcc, s0, v0
	s_and_saveexec_b64 s[4:5], vcc
	s_cbranch_execz .LBB120_15
.LBB120_32:
	v_add_u32_e32 v1, s6, v0
	v_add_u32_e32 v0, 0x100, v0
	v_mov_b32_e32 v2, s1
	global_store_byte v1, v2, s[2:3]
	s_or_b64 exec, exec, s[4:5]
	v_cmp_gt_i32_e32 vcc, s0, v0
	s_and_saveexec_b64 s[4:5], vcc
	s_cbranch_execz .LBB120_16
.LBB120_33:
	v_add_u32_e32 v1, s6, v0
	v_add_u32_e32 v0, 0x100, v0
	v_mov_b32_e32 v2, s1
	global_store_byte v1, v2, s[2:3]
	s_or_b64 exec, exec, s[4:5]
	v_cmp_gt_i32_e32 vcc, s0, v0
	s_and_saveexec_b64 s[4:5], vcc
	s_cbranch_execz .LBB120_17
.LBB120_34:
	v_add_u32_e32 v1, s6, v0
	v_add_u32_e32 v0, 0x100, v0
	v_mov_b32_e32 v2, s1
	global_store_byte v1, v2, s[2:3]
	s_or_b64 exec, exec, s[4:5]
	v_cmp_gt_i32_e32 vcc, s0, v0
	s_and_saveexec_b64 s[4:5], vcc
	s_cbranch_execz .LBB120_18
.LBB120_35:
	v_add_u32_e32 v1, s6, v0
	v_add_u32_e32 v0, 0x100, v0
	v_mov_b32_e32 v2, s1
	global_store_byte v1, v2, s[2:3]
	s_or_b64 exec, exec, s[4:5]
	v_cmp_gt_i32_e32 vcc, s0, v0
	s_and_saveexec_b64 s[4:5], vcc
	s_cbranch_execnz .LBB120_19
	s_branch .LBB120_20
	.section	.rodata,"a",@progbits
	.p2align	6, 0x0
	.amdhsa_kernel _ZN2at6native29vectorized_elementwise_kernelILi16ENS0_11FillFunctorIN3c1015Float8_e5m2fnuzEEESt5arrayIPcLm1EEEEviT0_T1_
		.amdhsa_group_segment_fixed_size 0
		.amdhsa_private_segment_fixed_size 0
		.amdhsa_kernarg_size 16
		.amdhsa_user_sgpr_count 6
		.amdhsa_user_sgpr_private_segment_buffer 1
		.amdhsa_user_sgpr_dispatch_ptr 0
		.amdhsa_user_sgpr_queue_ptr 0
		.amdhsa_user_sgpr_kernarg_segment_ptr 1
		.amdhsa_user_sgpr_dispatch_id 0
		.amdhsa_user_sgpr_flat_scratch_init 0
		.amdhsa_user_sgpr_private_segment_size 0
		.amdhsa_uses_dynamic_stack 0
		.amdhsa_system_sgpr_private_segment_wavefront_offset 0
		.amdhsa_system_sgpr_workgroup_id_x 1
		.amdhsa_system_sgpr_workgroup_id_y 0
		.amdhsa_system_sgpr_workgroup_id_z 0
		.amdhsa_system_sgpr_workgroup_info 0
		.amdhsa_system_vgpr_workitem_id 0
		.amdhsa_next_free_vgpr 6
		.amdhsa_next_free_sgpr 9
		.amdhsa_reserve_vcc 1
		.amdhsa_reserve_flat_scratch 0
		.amdhsa_float_round_mode_32 0
		.amdhsa_float_round_mode_16_64 0
		.amdhsa_float_denorm_mode_32 3
		.amdhsa_float_denorm_mode_16_64 3
		.amdhsa_dx10_clamp 1
		.amdhsa_ieee_mode 1
		.amdhsa_fp16_overflow 0
		.amdhsa_exception_fp_ieee_invalid_op 0
		.amdhsa_exception_fp_denorm_src 0
		.amdhsa_exception_fp_ieee_div_zero 0
		.amdhsa_exception_fp_ieee_overflow 0
		.amdhsa_exception_fp_ieee_underflow 0
		.amdhsa_exception_fp_ieee_inexact 0
		.amdhsa_exception_int_div_zero 0
	.end_amdhsa_kernel
	.section	.text._ZN2at6native29vectorized_elementwise_kernelILi16ENS0_11FillFunctorIN3c1015Float8_e5m2fnuzEEESt5arrayIPcLm1EEEEviT0_T1_,"axG",@progbits,_ZN2at6native29vectorized_elementwise_kernelILi16ENS0_11FillFunctorIN3c1015Float8_e5m2fnuzEEESt5arrayIPcLm1EEEEviT0_T1_,comdat
.Lfunc_end120:
	.size	_ZN2at6native29vectorized_elementwise_kernelILi16ENS0_11FillFunctorIN3c1015Float8_e5m2fnuzEEESt5arrayIPcLm1EEEEviT0_T1_, .Lfunc_end120-_ZN2at6native29vectorized_elementwise_kernelILi16ENS0_11FillFunctorIN3c1015Float8_e5m2fnuzEEESt5arrayIPcLm1EEEEviT0_T1_
                                        ; -- End function
	.set _ZN2at6native29vectorized_elementwise_kernelILi16ENS0_11FillFunctorIN3c1015Float8_e5m2fnuzEEESt5arrayIPcLm1EEEEviT0_T1_.num_vgpr, 6
	.set _ZN2at6native29vectorized_elementwise_kernelILi16ENS0_11FillFunctorIN3c1015Float8_e5m2fnuzEEESt5arrayIPcLm1EEEEviT0_T1_.num_agpr, 0
	.set _ZN2at6native29vectorized_elementwise_kernelILi16ENS0_11FillFunctorIN3c1015Float8_e5m2fnuzEEESt5arrayIPcLm1EEEEviT0_T1_.numbered_sgpr, 9
	.set _ZN2at6native29vectorized_elementwise_kernelILi16ENS0_11FillFunctorIN3c1015Float8_e5m2fnuzEEESt5arrayIPcLm1EEEEviT0_T1_.num_named_barrier, 0
	.set _ZN2at6native29vectorized_elementwise_kernelILi16ENS0_11FillFunctorIN3c1015Float8_e5m2fnuzEEESt5arrayIPcLm1EEEEviT0_T1_.private_seg_size, 0
	.set _ZN2at6native29vectorized_elementwise_kernelILi16ENS0_11FillFunctorIN3c1015Float8_e5m2fnuzEEESt5arrayIPcLm1EEEEviT0_T1_.uses_vcc, 1
	.set _ZN2at6native29vectorized_elementwise_kernelILi16ENS0_11FillFunctorIN3c1015Float8_e5m2fnuzEEESt5arrayIPcLm1EEEEviT0_T1_.uses_flat_scratch, 0
	.set _ZN2at6native29vectorized_elementwise_kernelILi16ENS0_11FillFunctorIN3c1015Float8_e5m2fnuzEEESt5arrayIPcLm1EEEEviT0_T1_.has_dyn_sized_stack, 0
	.set _ZN2at6native29vectorized_elementwise_kernelILi16ENS0_11FillFunctorIN3c1015Float8_e5m2fnuzEEESt5arrayIPcLm1EEEEviT0_T1_.has_recursion, 0
	.set _ZN2at6native29vectorized_elementwise_kernelILi16ENS0_11FillFunctorIN3c1015Float8_e5m2fnuzEEESt5arrayIPcLm1EEEEviT0_T1_.has_indirect_call, 0
	.section	.AMDGPU.csdata,"",@progbits
; Kernel info:
; codeLenInByte = 996
; TotalNumSgprs: 13
; NumVgprs: 6
; ScratchSize: 0
; MemoryBound: 0
; FloatMode: 240
; IeeeMode: 1
; LDSByteSize: 0 bytes/workgroup (compile time only)
; SGPRBlocks: 1
; VGPRBlocks: 1
; NumSGPRsForWavesPerEU: 13
; NumVGPRsForWavesPerEU: 6
; Occupancy: 10
; WaveLimiterHint : 0
; COMPUTE_PGM_RSRC2:SCRATCH_EN: 0
; COMPUTE_PGM_RSRC2:USER_SGPR: 6
; COMPUTE_PGM_RSRC2:TRAP_HANDLER: 0
; COMPUTE_PGM_RSRC2:TGID_X_EN: 1
; COMPUTE_PGM_RSRC2:TGID_Y_EN: 0
; COMPUTE_PGM_RSRC2:TGID_Z_EN: 0
; COMPUTE_PGM_RSRC2:TIDIG_COMP_CNT: 0
	.section	.text._ZN2at6native29vectorized_elementwise_kernelILi8ENS0_11FillFunctorIN3c1015Float8_e5m2fnuzEEESt5arrayIPcLm1EEEEviT0_T1_,"axG",@progbits,_ZN2at6native29vectorized_elementwise_kernelILi8ENS0_11FillFunctorIN3c1015Float8_e5m2fnuzEEESt5arrayIPcLm1EEEEviT0_T1_,comdat
	.protected	_ZN2at6native29vectorized_elementwise_kernelILi8ENS0_11FillFunctorIN3c1015Float8_e5m2fnuzEEESt5arrayIPcLm1EEEEviT0_T1_ ; -- Begin function _ZN2at6native29vectorized_elementwise_kernelILi8ENS0_11FillFunctorIN3c1015Float8_e5m2fnuzEEESt5arrayIPcLm1EEEEviT0_T1_
	.globl	_ZN2at6native29vectorized_elementwise_kernelILi8ENS0_11FillFunctorIN3c1015Float8_e5m2fnuzEEESt5arrayIPcLm1EEEEviT0_T1_
	.p2align	8
	.type	_ZN2at6native29vectorized_elementwise_kernelILi8ENS0_11FillFunctorIN3c1015Float8_e5m2fnuzEEESt5arrayIPcLm1EEEEviT0_T1_,@function
_ZN2at6native29vectorized_elementwise_kernelILi8ENS0_11FillFunctorIN3c1015Float8_e5m2fnuzEEESt5arrayIPcLm1EEEEviT0_T1_: ; @_ZN2at6native29vectorized_elementwise_kernelILi8ENS0_11FillFunctorIN3c1015Float8_e5m2fnuzEEESt5arrayIPcLm1EEEEviT0_T1_
; %bb.0:
	s_load_dwordx4 s[0:3], s[4:5], 0x0
	s_lshl_b32 s6, s6, 12
	s_mov_b64 s[4:5], -1
	s_waitcnt lgkmcnt(0)
	s_sub_i32 s0, s0, s6
	s_cmpk_gt_i32 s0, 0xfff
	s_cbranch_scc0 .LBB121_2
; %bb.1:
	s_and_b32 s4, s1, 0xff
	s_mul_i32 s4, s4, 0x1010101
	s_ashr_i32 s7, s6, 31
	s_mov_b32 s5, s4
	s_add_u32 s8, s2, s6
	v_mov_b32_e32 v1, s4
	s_addc_u32 s9, s3, s7
	v_lshlrev_b32_e32 v3, 3, v0
	v_mov_b32_e32 v2, s5
	global_store_dwordx2 v3, v[1:2], s[8:9]
	global_store_dwordx2 v3, v[1:2], s[8:9] offset:2048
	s_mov_b64 s[4:5], 0
.LBB121_2:
	s_andn2_b64 vcc, exec, s[4:5]
	s_cbranch_vccnz .LBB121_20
; %bb.3:
	v_cmp_gt_i32_e32 vcc, s0, v0
	s_and_saveexec_b64 s[4:5], vcc
	s_cbranch_execnz .LBB121_21
; %bb.4:
	s_or_b64 exec, exec, s[4:5]
	v_cmp_gt_i32_e32 vcc, s0, v0
	s_and_saveexec_b64 s[4:5], vcc
	s_cbranch_execnz .LBB121_22
.LBB121_5:
	s_or_b64 exec, exec, s[4:5]
	v_cmp_gt_i32_e32 vcc, s0, v0
	s_and_saveexec_b64 s[4:5], vcc
	s_cbranch_execnz .LBB121_23
.LBB121_6:
	s_or_b64 exec, exec, s[4:5]
	v_cmp_gt_i32_e32 vcc, s0, v0
	s_and_saveexec_b64 s[4:5], vcc
	s_cbranch_execnz .LBB121_24
.LBB121_7:
	s_or_b64 exec, exec, s[4:5]
	v_cmp_gt_i32_e32 vcc, s0, v0
	s_and_saveexec_b64 s[4:5], vcc
	s_cbranch_execnz .LBB121_25
.LBB121_8:
	s_or_b64 exec, exec, s[4:5]
	v_cmp_gt_i32_e32 vcc, s0, v0
	s_and_saveexec_b64 s[4:5], vcc
	s_cbranch_execnz .LBB121_26
.LBB121_9:
	s_or_b64 exec, exec, s[4:5]
	v_cmp_gt_i32_e32 vcc, s0, v0
	s_and_saveexec_b64 s[4:5], vcc
	s_cbranch_execnz .LBB121_27
.LBB121_10:
	s_or_b64 exec, exec, s[4:5]
	v_cmp_gt_i32_e32 vcc, s0, v0
	s_and_saveexec_b64 s[4:5], vcc
	s_cbranch_execnz .LBB121_28
.LBB121_11:
	s_or_b64 exec, exec, s[4:5]
	v_cmp_gt_i32_e32 vcc, s0, v0
	s_and_saveexec_b64 s[4:5], vcc
	s_cbranch_execnz .LBB121_29
.LBB121_12:
	s_or_b64 exec, exec, s[4:5]
	v_cmp_gt_i32_e32 vcc, s0, v0
	s_and_saveexec_b64 s[4:5], vcc
	s_cbranch_execnz .LBB121_30
.LBB121_13:
	s_or_b64 exec, exec, s[4:5]
	v_cmp_gt_i32_e32 vcc, s0, v0
	s_and_saveexec_b64 s[4:5], vcc
	s_cbranch_execnz .LBB121_31
.LBB121_14:
	s_or_b64 exec, exec, s[4:5]
	v_cmp_gt_i32_e32 vcc, s0, v0
	s_and_saveexec_b64 s[4:5], vcc
	s_cbranch_execnz .LBB121_32
.LBB121_15:
	s_or_b64 exec, exec, s[4:5]
	v_cmp_gt_i32_e32 vcc, s0, v0
	s_and_saveexec_b64 s[4:5], vcc
	s_cbranch_execnz .LBB121_33
.LBB121_16:
	s_or_b64 exec, exec, s[4:5]
	v_cmp_gt_i32_e32 vcc, s0, v0
	s_and_saveexec_b64 s[4:5], vcc
	s_cbranch_execnz .LBB121_34
.LBB121_17:
	s_or_b64 exec, exec, s[4:5]
	v_cmp_gt_i32_e32 vcc, s0, v0
	s_and_saveexec_b64 s[4:5], vcc
	s_cbranch_execnz .LBB121_35
.LBB121_18:
	s_or_b64 exec, exec, s[4:5]
	v_cmp_gt_i32_e32 vcc, s0, v0
	s_and_saveexec_b64 s[4:5], vcc
	s_cbranch_execz .LBB121_20
.LBB121_19:
	v_add_u32_e32 v0, s6, v0
	v_mov_b32_e32 v1, s1
	global_store_byte v0, v1, s[2:3]
.LBB121_20:
	s_endpgm
.LBB121_21:
	v_or_b32_e32 v1, 0x100, v0
	v_or_b32_e32 v0, s6, v0
	v_mov_b32_e32 v2, s1
	global_store_byte v0, v2, s[2:3]
	v_mov_b32_e32 v0, v1
	s_or_b64 exec, exec, s[4:5]
	v_cmp_gt_i32_e32 vcc, s0, v0
	s_and_saveexec_b64 s[4:5], vcc
	s_cbranch_execz .LBB121_5
.LBB121_22:
	v_add_u32_e32 v1, s6, v0
	v_add_u32_e32 v0, 0x100, v0
	v_mov_b32_e32 v2, s1
	global_store_byte v1, v2, s[2:3]
	s_or_b64 exec, exec, s[4:5]
	v_cmp_gt_i32_e32 vcc, s0, v0
	s_and_saveexec_b64 s[4:5], vcc
	s_cbranch_execz .LBB121_6
.LBB121_23:
	v_add_u32_e32 v1, s6, v0
	v_add_u32_e32 v0, 0x100, v0
	v_mov_b32_e32 v2, s1
	global_store_byte v1, v2, s[2:3]
	s_or_b64 exec, exec, s[4:5]
	v_cmp_gt_i32_e32 vcc, s0, v0
	s_and_saveexec_b64 s[4:5], vcc
	s_cbranch_execz .LBB121_7
.LBB121_24:
	v_add_u32_e32 v1, s6, v0
	v_add_u32_e32 v0, 0x100, v0
	v_mov_b32_e32 v2, s1
	global_store_byte v1, v2, s[2:3]
	s_or_b64 exec, exec, s[4:5]
	v_cmp_gt_i32_e32 vcc, s0, v0
	s_and_saveexec_b64 s[4:5], vcc
	s_cbranch_execz .LBB121_8
.LBB121_25:
	v_add_u32_e32 v1, s6, v0
	v_add_u32_e32 v0, 0x100, v0
	v_mov_b32_e32 v2, s1
	global_store_byte v1, v2, s[2:3]
	s_or_b64 exec, exec, s[4:5]
	v_cmp_gt_i32_e32 vcc, s0, v0
	s_and_saveexec_b64 s[4:5], vcc
	s_cbranch_execz .LBB121_9
.LBB121_26:
	v_add_u32_e32 v1, s6, v0
	v_add_u32_e32 v0, 0x100, v0
	v_mov_b32_e32 v2, s1
	global_store_byte v1, v2, s[2:3]
	s_or_b64 exec, exec, s[4:5]
	v_cmp_gt_i32_e32 vcc, s0, v0
	s_and_saveexec_b64 s[4:5], vcc
	s_cbranch_execz .LBB121_10
.LBB121_27:
	v_add_u32_e32 v1, s6, v0
	v_add_u32_e32 v0, 0x100, v0
	v_mov_b32_e32 v2, s1
	global_store_byte v1, v2, s[2:3]
	s_or_b64 exec, exec, s[4:5]
	v_cmp_gt_i32_e32 vcc, s0, v0
	s_and_saveexec_b64 s[4:5], vcc
	s_cbranch_execz .LBB121_11
.LBB121_28:
	v_add_u32_e32 v1, s6, v0
	v_add_u32_e32 v0, 0x100, v0
	v_mov_b32_e32 v2, s1
	global_store_byte v1, v2, s[2:3]
	s_or_b64 exec, exec, s[4:5]
	v_cmp_gt_i32_e32 vcc, s0, v0
	s_and_saveexec_b64 s[4:5], vcc
	s_cbranch_execz .LBB121_12
.LBB121_29:
	v_add_u32_e32 v1, s6, v0
	v_add_u32_e32 v0, 0x100, v0
	v_mov_b32_e32 v2, s1
	global_store_byte v1, v2, s[2:3]
	s_or_b64 exec, exec, s[4:5]
	v_cmp_gt_i32_e32 vcc, s0, v0
	s_and_saveexec_b64 s[4:5], vcc
	s_cbranch_execz .LBB121_13
.LBB121_30:
	v_add_u32_e32 v1, s6, v0
	v_add_u32_e32 v0, 0x100, v0
	v_mov_b32_e32 v2, s1
	global_store_byte v1, v2, s[2:3]
	s_or_b64 exec, exec, s[4:5]
	v_cmp_gt_i32_e32 vcc, s0, v0
	s_and_saveexec_b64 s[4:5], vcc
	s_cbranch_execz .LBB121_14
.LBB121_31:
	v_add_u32_e32 v1, s6, v0
	v_add_u32_e32 v0, 0x100, v0
	v_mov_b32_e32 v2, s1
	global_store_byte v1, v2, s[2:3]
	s_or_b64 exec, exec, s[4:5]
	v_cmp_gt_i32_e32 vcc, s0, v0
	s_and_saveexec_b64 s[4:5], vcc
	s_cbranch_execz .LBB121_15
.LBB121_32:
	v_add_u32_e32 v1, s6, v0
	v_add_u32_e32 v0, 0x100, v0
	v_mov_b32_e32 v2, s1
	global_store_byte v1, v2, s[2:3]
	s_or_b64 exec, exec, s[4:5]
	v_cmp_gt_i32_e32 vcc, s0, v0
	s_and_saveexec_b64 s[4:5], vcc
	s_cbranch_execz .LBB121_16
.LBB121_33:
	v_add_u32_e32 v1, s6, v0
	v_add_u32_e32 v0, 0x100, v0
	v_mov_b32_e32 v2, s1
	global_store_byte v1, v2, s[2:3]
	s_or_b64 exec, exec, s[4:5]
	v_cmp_gt_i32_e32 vcc, s0, v0
	s_and_saveexec_b64 s[4:5], vcc
	s_cbranch_execz .LBB121_17
.LBB121_34:
	v_add_u32_e32 v1, s6, v0
	v_add_u32_e32 v0, 0x100, v0
	v_mov_b32_e32 v2, s1
	global_store_byte v1, v2, s[2:3]
	s_or_b64 exec, exec, s[4:5]
	v_cmp_gt_i32_e32 vcc, s0, v0
	s_and_saveexec_b64 s[4:5], vcc
	s_cbranch_execz .LBB121_18
.LBB121_35:
	v_add_u32_e32 v1, s6, v0
	v_add_u32_e32 v0, 0x100, v0
	v_mov_b32_e32 v2, s1
	global_store_byte v1, v2, s[2:3]
	s_or_b64 exec, exec, s[4:5]
	v_cmp_gt_i32_e32 vcc, s0, v0
	s_and_saveexec_b64 s[4:5], vcc
	s_cbranch_execnz .LBB121_19
	s_branch .LBB121_20
	.section	.rodata,"a",@progbits
	.p2align	6, 0x0
	.amdhsa_kernel _ZN2at6native29vectorized_elementwise_kernelILi8ENS0_11FillFunctorIN3c1015Float8_e5m2fnuzEEESt5arrayIPcLm1EEEEviT0_T1_
		.amdhsa_group_segment_fixed_size 0
		.amdhsa_private_segment_fixed_size 0
		.amdhsa_kernarg_size 16
		.amdhsa_user_sgpr_count 6
		.amdhsa_user_sgpr_private_segment_buffer 1
		.amdhsa_user_sgpr_dispatch_ptr 0
		.amdhsa_user_sgpr_queue_ptr 0
		.amdhsa_user_sgpr_kernarg_segment_ptr 1
		.amdhsa_user_sgpr_dispatch_id 0
		.amdhsa_user_sgpr_flat_scratch_init 0
		.amdhsa_user_sgpr_private_segment_size 0
		.amdhsa_uses_dynamic_stack 0
		.amdhsa_system_sgpr_private_segment_wavefront_offset 0
		.amdhsa_system_sgpr_workgroup_id_x 1
		.amdhsa_system_sgpr_workgroup_id_y 0
		.amdhsa_system_sgpr_workgroup_id_z 0
		.amdhsa_system_sgpr_workgroup_info 0
		.amdhsa_system_vgpr_workitem_id 0
		.amdhsa_next_free_vgpr 4
		.amdhsa_next_free_sgpr 10
		.amdhsa_reserve_vcc 1
		.amdhsa_reserve_flat_scratch 0
		.amdhsa_float_round_mode_32 0
		.amdhsa_float_round_mode_16_64 0
		.amdhsa_float_denorm_mode_32 3
		.amdhsa_float_denorm_mode_16_64 3
		.amdhsa_dx10_clamp 1
		.amdhsa_ieee_mode 1
		.amdhsa_fp16_overflow 0
		.amdhsa_exception_fp_ieee_invalid_op 0
		.amdhsa_exception_fp_denorm_src 0
		.amdhsa_exception_fp_ieee_div_zero 0
		.amdhsa_exception_fp_ieee_overflow 0
		.amdhsa_exception_fp_ieee_underflow 0
		.amdhsa_exception_fp_ieee_inexact 0
		.amdhsa_exception_int_div_zero 0
	.end_amdhsa_kernel
	.section	.text._ZN2at6native29vectorized_elementwise_kernelILi8ENS0_11FillFunctorIN3c1015Float8_e5m2fnuzEEESt5arrayIPcLm1EEEEviT0_T1_,"axG",@progbits,_ZN2at6native29vectorized_elementwise_kernelILi8ENS0_11FillFunctorIN3c1015Float8_e5m2fnuzEEESt5arrayIPcLm1EEEEviT0_T1_,comdat
.Lfunc_end121:
	.size	_ZN2at6native29vectorized_elementwise_kernelILi8ENS0_11FillFunctorIN3c1015Float8_e5m2fnuzEEESt5arrayIPcLm1EEEEviT0_T1_, .Lfunc_end121-_ZN2at6native29vectorized_elementwise_kernelILi8ENS0_11FillFunctorIN3c1015Float8_e5m2fnuzEEESt5arrayIPcLm1EEEEviT0_T1_
                                        ; -- End function
	.set _ZN2at6native29vectorized_elementwise_kernelILi8ENS0_11FillFunctorIN3c1015Float8_e5m2fnuzEEESt5arrayIPcLm1EEEEviT0_T1_.num_vgpr, 4
	.set _ZN2at6native29vectorized_elementwise_kernelILi8ENS0_11FillFunctorIN3c1015Float8_e5m2fnuzEEESt5arrayIPcLm1EEEEviT0_T1_.num_agpr, 0
	.set _ZN2at6native29vectorized_elementwise_kernelILi8ENS0_11FillFunctorIN3c1015Float8_e5m2fnuzEEESt5arrayIPcLm1EEEEviT0_T1_.numbered_sgpr, 10
	.set _ZN2at6native29vectorized_elementwise_kernelILi8ENS0_11FillFunctorIN3c1015Float8_e5m2fnuzEEESt5arrayIPcLm1EEEEviT0_T1_.num_named_barrier, 0
	.set _ZN2at6native29vectorized_elementwise_kernelILi8ENS0_11FillFunctorIN3c1015Float8_e5m2fnuzEEESt5arrayIPcLm1EEEEviT0_T1_.private_seg_size, 0
	.set _ZN2at6native29vectorized_elementwise_kernelILi8ENS0_11FillFunctorIN3c1015Float8_e5m2fnuzEEESt5arrayIPcLm1EEEEviT0_T1_.uses_vcc, 1
	.set _ZN2at6native29vectorized_elementwise_kernelILi8ENS0_11FillFunctorIN3c1015Float8_e5m2fnuzEEESt5arrayIPcLm1EEEEviT0_T1_.uses_flat_scratch, 0
	.set _ZN2at6native29vectorized_elementwise_kernelILi8ENS0_11FillFunctorIN3c1015Float8_e5m2fnuzEEESt5arrayIPcLm1EEEEviT0_T1_.has_dyn_sized_stack, 0
	.set _ZN2at6native29vectorized_elementwise_kernelILi8ENS0_11FillFunctorIN3c1015Float8_e5m2fnuzEEESt5arrayIPcLm1EEEEviT0_T1_.has_recursion, 0
	.set _ZN2at6native29vectorized_elementwise_kernelILi8ENS0_11FillFunctorIN3c1015Float8_e5m2fnuzEEESt5arrayIPcLm1EEEEviT0_T1_.has_indirect_call, 0
	.section	.AMDGPU.csdata,"",@progbits
; Kernel info:
; codeLenInByte = 984
; TotalNumSgprs: 14
; NumVgprs: 4
; ScratchSize: 0
; MemoryBound: 0
; FloatMode: 240
; IeeeMode: 1
; LDSByteSize: 0 bytes/workgroup (compile time only)
; SGPRBlocks: 1
; VGPRBlocks: 0
; NumSGPRsForWavesPerEU: 14
; NumVGPRsForWavesPerEU: 4
; Occupancy: 10
; WaveLimiterHint : 1
; COMPUTE_PGM_RSRC2:SCRATCH_EN: 0
; COMPUTE_PGM_RSRC2:USER_SGPR: 6
; COMPUTE_PGM_RSRC2:TRAP_HANDLER: 0
; COMPUTE_PGM_RSRC2:TGID_X_EN: 1
; COMPUTE_PGM_RSRC2:TGID_Y_EN: 0
; COMPUTE_PGM_RSRC2:TGID_Z_EN: 0
; COMPUTE_PGM_RSRC2:TIDIG_COMP_CNT: 0
	.section	.text._ZN2at6native29vectorized_elementwise_kernelILi4ENS0_11FillFunctorIN3c1015Float8_e5m2fnuzEEESt5arrayIPcLm1EEEEviT0_T1_,"axG",@progbits,_ZN2at6native29vectorized_elementwise_kernelILi4ENS0_11FillFunctorIN3c1015Float8_e5m2fnuzEEESt5arrayIPcLm1EEEEviT0_T1_,comdat
	.protected	_ZN2at6native29vectorized_elementwise_kernelILi4ENS0_11FillFunctorIN3c1015Float8_e5m2fnuzEEESt5arrayIPcLm1EEEEviT0_T1_ ; -- Begin function _ZN2at6native29vectorized_elementwise_kernelILi4ENS0_11FillFunctorIN3c1015Float8_e5m2fnuzEEESt5arrayIPcLm1EEEEviT0_T1_
	.globl	_ZN2at6native29vectorized_elementwise_kernelILi4ENS0_11FillFunctorIN3c1015Float8_e5m2fnuzEEESt5arrayIPcLm1EEEEviT0_T1_
	.p2align	8
	.type	_ZN2at6native29vectorized_elementwise_kernelILi4ENS0_11FillFunctorIN3c1015Float8_e5m2fnuzEEESt5arrayIPcLm1EEEEviT0_T1_,@function
_ZN2at6native29vectorized_elementwise_kernelILi4ENS0_11FillFunctorIN3c1015Float8_e5m2fnuzEEESt5arrayIPcLm1EEEEviT0_T1_: ; @_ZN2at6native29vectorized_elementwise_kernelILi4ENS0_11FillFunctorIN3c1015Float8_e5m2fnuzEEESt5arrayIPcLm1EEEEviT0_T1_
; %bb.0:
	s_load_dwordx4 s[0:3], s[4:5], 0x0
	s_lshl_b32 s6, s6, 12
	s_mov_b64 s[4:5], -1
	s_waitcnt lgkmcnt(0)
	s_sub_i32 s0, s0, s6
	s_cmpk_gt_i32 s0, 0xfff
	s_cbranch_scc0 .LBB122_2
; %bb.1:
	s_and_b32 s4, s1, 0xff
	s_ashr_i32 s5, s6, 31
	s_mul_i32 s7, s4, 0x1010101
	s_add_u32 s4, s2, s6
	s_addc_u32 s5, s3, s5
	v_lshlrev_b32_e32 v1, 2, v0
	v_mov_b32_e32 v2, s7
	global_store_dword v1, v2, s[4:5]
	global_store_dword v1, v2, s[4:5] offset:1024
	global_store_dword v1, v2, s[4:5] offset:2048
	;; [unrolled: 1-line block ×3, first 2 shown]
	s_mov_b64 s[4:5], 0
.LBB122_2:
	s_andn2_b64 vcc, exec, s[4:5]
	s_cbranch_vccnz .LBB122_20
; %bb.3:
	v_cmp_gt_i32_e32 vcc, s0, v0
	s_and_saveexec_b64 s[4:5], vcc
	s_cbranch_execnz .LBB122_21
; %bb.4:
	s_or_b64 exec, exec, s[4:5]
	v_cmp_gt_i32_e32 vcc, s0, v0
	s_and_saveexec_b64 s[4:5], vcc
	s_cbranch_execnz .LBB122_22
.LBB122_5:
	s_or_b64 exec, exec, s[4:5]
	v_cmp_gt_i32_e32 vcc, s0, v0
	s_and_saveexec_b64 s[4:5], vcc
	s_cbranch_execnz .LBB122_23
.LBB122_6:
	s_or_b64 exec, exec, s[4:5]
	v_cmp_gt_i32_e32 vcc, s0, v0
	s_and_saveexec_b64 s[4:5], vcc
	s_cbranch_execnz .LBB122_24
.LBB122_7:
	s_or_b64 exec, exec, s[4:5]
	v_cmp_gt_i32_e32 vcc, s0, v0
	s_and_saveexec_b64 s[4:5], vcc
	s_cbranch_execnz .LBB122_25
.LBB122_8:
	s_or_b64 exec, exec, s[4:5]
	v_cmp_gt_i32_e32 vcc, s0, v0
	s_and_saveexec_b64 s[4:5], vcc
	s_cbranch_execnz .LBB122_26
.LBB122_9:
	s_or_b64 exec, exec, s[4:5]
	v_cmp_gt_i32_e32 vcc, s0, v0
	s_and_saveexec_b64 s[4:5], vcc
	s_cbranch_execnz .LBB122_27
.LBB122_10:
	s_or_b64 exec, exec, s[4:5]
	v_cmp_gt_i32_e32 vcc, s0, v0
	s_and_saveexec_b64 s[4:5], vcc
	s_cbranch_execnz .LBB122_28
.LBB122_11:
	s_or_b64 exec, exec, s[4:5]
	v_cmp_gt_i32_e32 vcc, s0, v0
	s_and_saveexec_b64 s[4:5], vcc
	s_cbranch_execnz .LBB122_29
.LBB122_12:
	s_or_b64 exec, exec, s[4:5]
	v_cmp_gt_i32_e32 vcc, s0, v0
	s_and_saveexec_b64 s[4:5], vcc
	s_cbranch_execnz .LBB122_30
.LBB122_13:
	s_or_b64 exec, exec, s[4:5]
	v_cmp_gt_i32_e32 vcc, s0, v0
	s_and_saveexec_b64 s[4:5], vcc
	s_cbranch_execnz .LBB122_31
.LBB122_14:
	s_or_b64 exec, exec, s[4:5]
	v_cmp_gt_i32_e32 vcc, s0, v0
	s_and_saveexec_b64 s[4:5], vcc
	s_cbranch_execnz .LBB122_32
.LBB122_15:
	s_or_b64 exec, exec, s[4:5]
	v_cmp_gt_i32_e32 vcc, s0, v0
	s_and_saveexec_b64 s[4:5], vcc
	s_cbranch_execnz .LBB122_33
.LBB122_16:
	s_or_b64 exec, exec, s[4:5]
	v_cmp_gt_i32_e32 vcc, s0, v0
	s_and_saveexec_b64 s[4:5], vcc
	s_cbranch_execnz .LBB122_34
.LBB122_17:
	s_or_b64 exec, exec, s[4:5]
	v_cmp_gt_i32_e32 vcc, s0, v0
	s_and_saveexec_b64 s[4:5], vcc
	s_cbranch_execnz .LBB122_35
.LBB122_18:
	s_or_b64 exec, exec, s[4:5]
	v_cmp_gt_i32_e32 vcc, s0, v0
	s_and_saveexec_b64 s[4:5], vcc
	s_cbranch_execz .LBB122_20
.LBB122_19:
	v_add_u32_e32 v0, s6, v0
	v_mov_b32_e32 v1, s1
	global_store_byte v0, v1, s[2:3]
.LBB122_20:
	s_endpgm
.LBB122_21:
	v_or_b32_e32 v1, 0x100, v0
	v_or_b32_e32 v0, s6, v0
	v_mov_b32_e32 v2, s1
	global_store_byte v0, v2, s[2:3]
	v_mov_b32_e32 v0, v1
	s_or_b64 exec, exec, s[4:5]
	v_cmp_gt_i32_e32 vcc, s0, v0
	s_and_saveexec_b64 s[4:5], vcc
	s_cbranch_execz .LBB122_5
.LBB122_22:
	v_add_u32_e32 v1, s6, v0
	v_add_u32_e32 v0, 0x100, v0
	v_mov_b32_e32 v2, s1
	global_store_byte v1, v2, s[2:3]
	s_or_b64 exec, exec, s[4:5]
	v_cmp_gt_i32_e32 vcc, s0, v0
	s_and_saveexec_b64 s[4:5], vcc
	s_cbranch_execz .LBB122_6
.LBB122_23:
	v_add_u32_e32 v1, s6, v0
	v_add_u32_e32 v0, 0x100, v0
	v_mov_b32_e32 v2, s1
	global_store_byte v1, v2, s[2:3]
	s_or_b64 exec, exec, s[4:5]
	v_cmp_gt_i32_e32 vcc, s0, v0
	s_and_saveexec_b64 s[4:5], vcc
	s_cbranch_execz .LBB122_7
.LBB122_24:
	v_add_u32_e32 v1, s6, v0
	v_add_u32_e32 v0, 0x100, v0
	v_mov_b32_e32 v2, s1
	global_store_byte v1, v2, s[2:3]
	s_or_b64 exec, exec, s[4:5]
	v_cmp_gt_i32_e32 vcc, s0, v0
	s_and_saveexec_b64 s[4:5], vcc
	s_cbranch_execz .LBB122_8
.LBB122_25:
	v_add_u32_e32 v1, s6, v0
	v_add_u32_e32 v0, 0x100, v0
	v_mov_b32_e32 v2, s1
	global_store_byte v1, v2, s[2:3]
	s_or_b64 exec, exec, s[4:5]
	v_cmp_gt_i32_e32 vcc, s0, v0
	s_and_saveexec_b64 s[4:5], vcc
	s_cbranch_execz .LBB122_9
.LBB122_26:
	v_add_u32_e32 v1, s6, v0
	v_add_u32_e32 v0, 0x100, v0
	v_mov_b32_e32 v2, s1
	global_store_byte v1, v2, s[2:3]
	s_or_b64 exec, exec, s[4:5]
	v_cmp_gt_i32_e32 vcc, s0, v0
	s_and_saveexec_b64 s[4:5], vcc
	s_cbranch_execz .LBB122_10
.LBB122_27:
	v_add_u32_e32 v1, s6, v0
	v_add_u32_e32 v0, 0x100, v0
	v_mov_b32_e32 v2, s1
	global_store_byte v1, v2, s[2:3]
	s_or_b64 exec, exec, s[4:5]
	v_cmp_gt_i32_e32 vcc, s0, v0
	s_and_saveexec_b64 s[4:5], vcc
	s_cbranch_execz .LBB122_11
.LBB122_28:
	v_add_u32_e32 v1, s6, v0
	v_add_u32_e32 v0, 0x100, v0
	v_mov_b32_e32 v2, s1
	global_store_byte v1, v2, s[2:3]
	s_or_b64 exec, exec, s[4:5]
	v_cmp_gt_i32_e32 vcc, s0, v0
	s_and_saveexec_b64 s[4:5], vcc
	s_cbranch_execz .LBB122_12
.LBB122_29:
	v_add_u32_e32 v1, s6, v0
	v_add_u32_e32 v0, 0x100, v0
	v_mov_b32_e32 v2, s1
	global_store_byte v1, v2, s[2:3]
	s_or_b64 exec, exec, s[4:5]
	v_cmp_gt_i32_e32 vcc, s0, v0
	s_and_saveexec_b64 s[4:5], vcc
	s_cbranch_execz .LBB122_13
.LBB122_30:
	v_add_u32_e32 v1, s6, v0
	v_add_u32_e32 v0, 0x100, v0
	v_mov_b32_e32 v2, s1
	global_store_byte v1, v2, s[2:3]
	s_or_b64 exec, exec, s[4:5]
	v_cmp_gt_i32_e32 vcc, s0, v0
	s_and_saveexec_b64 s[4:5], vcc
	s_cbranch_execz .LBB122_14
.LBB122_31:
	v_add_u32_e32 v1, s6, v0
	v_add_u32_e32 v0, 0x100, v0
	v_mov_b32_e32 v2, s1
	global_store_byte v1, v2, s[2:3]
	s_or_b64 exec, exec, s[4:5]
	v_cmp_gt_i32_e32 vcc, s0, v0
	s_and_saveexec_b64 s[4:5], vcc
	s_cbranch_execz .LBB122_15
.LBB122_32:
	v_add_u32_e32 v1, s6, v0
	v_add_u32_e32 v0, 0x100, v0
	v_mov_b32_e32 v2, s1
	global_store_byte v1, v2, s[2:3]
	s_or_b64 exec, exec, s[4:5]
	v_cmp_gt_i32_e32 vcc, s0, v0
	s_and_saveexec_b64 s[4:5], vcc
	s_cbranch_execz .LBB122_16
.LBB122_33:
	v_add_u32_e32 v1, s6, v0
	v_add_u32_e32 v0, 0x100, v0
	v_mov_b32_e32 v2, s1
	global_store_byte v1, v2, s[2:3]
	s_or_b64 exec, exec, s[4:5]
	v_cmp_gt_i32_e32 vcc, s0, v0
	s_and_saveexec_b64 s[4:5], vcc
	s_cbranch_execz .LBB122_17
.LBB122_34:
	v_add_u32_e32 v1, s6, v0
	v_add_u32_e32 v0, 0x100, v0
	v_mov_b32_e32 v2, s1
	global_store_byte v1, v2, s[2:3]
	s_or_b64 exec, exec, s[4:5]
	v_cmp_gt_i32_e32 vcc, s0, v0
	s_and_saveexec_b64 s[4:5], vcc
	s_cbranch_execz .LBB122_18
.LBB122_35:
	v_add_u32_e32 v1, s6, v0
	v_add_u32_e32 v0, 0x100, v0
	v_mov_b32_e32 v2, s1
	global_store_byte v1, v2, s[2:3]
	s_or_b64 exec, exec, s[4:5]
	v_cmp_gt_i32_e32 vcc, s0, v0
	s_and_saveexec_b64 s[4:5], vcc
	s_cbranch_execnz .LBB122_19
	s_branch .LBB122_20
	.section	.rodata,"a",@progbits
	.p2align	6, 0x0
	.amdhsa_kernel _ZN2at6native29vectorized_elementwise_kernelILi4ENS0_11FillFunctorIN3c1015Float8_e5m2fnuzEEESt5arrayIPcLm1EEEEviT0_T1_
		.amdhsa_group_segment_fixed_size 0
		.amdhsa_private_segment_fixed_size 0
		.amdhsa_kernarg_size 16
		.amdhsa_user_sgpr_count 6
		.amdhsa_user_sgpr_private_segment_buffer 1
		.amdhsa_user_sgpr_dispatch_ptr 0
		.amdhsa_user_sgpr_queue_ptr 0
		.amdhsa_user_sgpr_kernarg_segment_ptr 1
		.amdhsa_user_sgpr_dispatch_id 0
		.amdhsa_user_sgpr_flat_scratch_init 0
		.amdhsa_user_sgpr_private_segment_size 0
		.amdhsa_uses_dynamic_stack 0
		.amdhsa_system_sgpr_private_segment_wavefront_offset 0
		.amdhsa_system_sgpr_workgroup_id_x 1
		.amdhsa_system_sgpr_workgroup_id_y 0
		.amdhsa_system_sgpr_workgroup_id_z 0
		.amdhsa_system_sgpr_workgroup_info 0
		.amdhsa_system_vgpr_workitem_id 0
		.amdhsa_next_free_vgpr 3
		.amdhsa_next_free_sgpr 8
		.amdhsa_reserve_vcc 1
		.amdhsa_reserve_flat_scratch 0
		.amdhsa_float_round_mode_32 0
		.amdhsa_float_round_mode_16_64 0
		.amdhsa_float_denorm_mode_32 3
		.amdhsa_float_denorm_mode_16_64 3
		.amdhsa_dx10_clamp 1
		.amdhsa_ieee_mode 1
		.amdhsa_fp16_overflow 0
		.amdhsa_exception_fp_ieee_invalid_op 0
		.amdhsa_exception_fp_denorm_src 0
		.amdhsa_exception_fp_ieee_div_zero 0
		.amdhsa_exception_fp_ieee_overflow 0
		.amdhsa_exception_fp_ieee_underflow 0
		.amdhsa_exception_fp_ieee_inexact 0
		.amdhsa_exception_int_div_zero 0
	.end_amdhsa_kernel
	.section	.text._ZN2at6native29vectorized_elementwise_kernelILi4ENS0_11FillFunctorIN3c1015Float8_e5m2fnuzEEESt5arrayIPcLm1EEEEviT0_T1_,"axG",@progbits,_ZN2at6native29vectorized_elementwise_kernelILi4ENS0_11FillFunctorIN3c1015Float8_e5m2fnuzEEESt5arrayIPcLm1EEEEviT0_T1_,comdat
.Lfunc_end122:
	.size	_ZN2at6native29vectorized_elementwise_kernelILi4ENS0_11FillFunctorIN3c1015Float8_e5m2fnuzEEESt5arrayIPcLm1EEEEviT0_T1_, .Lfunc_end122-_ZN2at6native29vectorized_elementwise_kernelILi4ENS0_11FillFunctorIN3c1015Float8_e5m2fnuzEEESt5arrayIPcLm1EEEEviT0_T1_
                                        ; -- End function
	.set _ZN2at6native29vectorized_elementwise_kernelILi4ENS0_11FillFunctorIN3c1015Float8_e5m2fnuzEEESt5arrayIPcLm1EEEEviT0_T1_.num_vgpr, 3
	.set _ZN2at6native29vectorized_elementwise_kernelILi4ENS0_11FillFunctorIN3c1015Float8_e5m2fnuzEEESt5arrayIPcLm1EEEEviT0_T1_.num_agpr, 0
	.set _ZN2at6native29vectorized_elementwise_kernelILi4ENS0_11FillFunctorIN3c1015Float8_e5m2fnuzEEESt5arrayIPcLm1EEEEviT0_T1_.numbered_sgpr, 8
	.set _ZN2at6native29vectorized_elementwise_kernelILi4ENS0_11FillFunctorIN3c1015Float8_e5m2fnuzEEESt5arrayIPcLm1EEEEviT0_T1_.num_named_barrier, 0
	.set _ZN2at6native29vectorized_elementwise_kernelILi4ENS0_11FillFunctorIN3c1015Float8_e5m2fnuzEEESt5arrayIPcLm1EEEEviT0_T1_.private_seg_size, 0
	.set _ZN2at6native29vectorized_elementwise_kernelILi4ENS0_11FillFunctorIN3c1015Float8_e5m2fnuzEEESt5arrayIPcLm1EEEEviT0_T1_.uses_vcc, 1
	.set _ZN2at6native29vectorized_elementwise_kernelILi4ENS0_11FillFunctorIN3c1015Float8_e5m2fnuzEEESt5arrayIPcLm1EEEEviT0_T1_.uses_flat_scratch, 0
	.set _ZN2at6native29vectorized_elementwise_kernelILi4ENS0_11FillFunctorIN3c1015Float8_e5m2fnuzEEESt5arrayIPcLm1EEEEviT0_T1_.has_dyn_sized_stack, 0
	.set _ZN2at6native29vectorized_elementwise_kernelILi4ENS0_11FillFunctorIN3c1015Float8_e5m2fnuzEEESt5arrayIPcLm1EEEEviT0_T1_.has_recursion, 0
	.set _ZN2at6native29vectorized_elementwise_kernelILi4ENS0_11FillFunctorIN3c1015Float8_e5m2fnuzEEESt5arrayIPcLm1EEEEviT0_T1_.has_indirect_call, 0
	.section	.AMDGPU.csdata,"",@progbits
; Kernel info:
; codeLenInByte = 992
; TotalNumSgprs: 12
; NumVgprs: 3
; ScratchSize: 0
; MemoryBound: 0
; FloatMode: 240
; IeeeMode: 1
; LDSByteSize: 0 bytes/workgroup (compile time only)
; SGPRBlocks: 1
; VGPRBlocks: 0
; NumSGPRsForWavesPerEU: 12
; NumVGPRsForWavesPerEU: 3
; Occupancy: 10
; WaveLimiterHint : 1
; COMPUTE_PGM_RSRC2:SCRATCH_EN: 0
; COMPUTE_PGM_RSRC2:USER_SGPR: 6
; COMPUTE_PGM_RSRC2:TRAP_HANDLER: 0
; COMPUTE_PGM_RSRC2:TGID_X_EN: 1
; COMPUTE_PGM_RSRC2:TGID_Y_EN: 0
; COMPUTE_PGM_RSRC2:TGID_Z_EN: 0
; COMPUTE_PGM_RSRC2:TIDIG_COMP_CNT: 0
	.section	.text._ZN2at6native29vectorized_elementwise_kernelILi2ENS0_11FillFunctorIN3c1015Float8_e5m2fnuzEEESt5arrayIPcLm1EEEEviT0_T1_,"axG",@progbits,_ZN2at6native29vectorized_elementwise_kernelILi2ENS0_11FillFunctorIN3c1015Float8_e5m2fnuzEEESt5arrayIPcLm1EEEEviT0_T1_,comdat
	.protected	_ZN2at6native29vectorized_elementwise_kernelILi2ENS0_11FillFunctorIN3c1015Float8_e5m2fnuzEEESt5arrayIPcLm1EEEEviT0_T1_ ; -- Begin function _ZN2at6native29vectorized_elementwise_kernelILi2ENS0_11FillFunctorIN3c1015Float8_e5m2fnuzEEESt5arrayIPcLm1EEEEviT0_T1_
	.globl	_ZN2at6native29vectorized_elementwise_kernelILi2ENS0_11FillFunctorIN3c1015Float8_e5m2fnuzEEESt5arrayIPcLm1EEEEviT0_T1_
	.p2align	8
	.type	_ZN2at6native29vectorized_elementwise_kernelILi2ENS0_11FillFunctorIN3c1015Float8_e5m2fnuzEEESt5arrayIPcLm1EEEEviT0_T1_,@function
_ZN2at6native29vectorized_elementwise_kernelILi2ENS0_11FillFunctorIN3c1015Float8_e5m2fnuzEEESt5arrayIPcLm1EEEEviT0_T1_: ; @_ZN2at6native29vectorized_elementwise_kernelILi2ENS0_11FillFunctorIN3c1015Float8_e5m2fnuzEEESt5arrayIPcLm1EEEEviT0_T1_
; %bb.0:
	s_load_dwordx4 s[0:3], s[4:5], 0x0
	s_lshl_b32 s6, s6, 12
	s_mov_b64 s[4:5], -1
	s_waitcnt lgkmcnt(0)
	s_sub_i32 s0, s0, s6
	s_cmpk_gt_i32 s0, 0xfff
	s_cbranch_scc0 .LBB123_2
; %bb.1:
	s_and_b32 s4, s1, 0xff
	s_ashr_i32 s5, s6, 31
	s_mul_i32 s7, s4, 0x101
	s_add_u32 s4, s2, s6
	s_addc_u32 s5, s3, s5
	v_lshlrev_b32_e32 v1, 1, v0
	v_mov_b32_e32 v2, s7
	global_store_short v1, v2, s[4:5]
	global_store_short v1, v2, s[4:5] offset:512
	global_store_short v1, v2, s[4:5] offset:1024
	;; [unrolled: 1-line block ×7, first 2 shown]
	s_mov_b64 s[4:5], 0
.LBB123_2:
	s_andn2_b64 vcc, exec, s[4:5]
	s_cbranch_vccnz .LBB123_20
; %bb.3:
	v_cmp_gt_i32_e32 vcc, s0, v0
	s_and_saveexec_b64 s[4:5], vcc
	s_cbranch_execnz .LBB123_21
; %bb.4:
	s_or_b64 exec, exec, s[4:5]
	v_cmp_gt_i32_e32 vcc, s0, v0
	s_and_saveexec_b64 s[4:5], vcc
	s_cbranch_execnz .LBB123_22
.LBB123_5:
	s_or_b64 exec, exec, s[4:5]
	v_cmp_gt_i32_e32 vcc, s0, v0
	s_and_saveexec_b64 s[4:5], vcc
	s_cbranch_execnz .LBB123_23
.LBB123_6:
	s_or_b64 exec, exec, s[4:5]
	v_cmp_gt_i32_e32 vcc, s0, v0
	s_and_saveexec_b64 s[4:5], vcc
	s_cbranch_execnz .LBB123_24
.LBB123_7:
	s_or_b64 exec, exec, s[4:5]
	v_cmp_gt_i32_e32 vcc, s0, v0
	s_and_saveexec_b64 s[4:5], vcc
	s_cbranch_execnz .LBB123_25
.LBB123_8:
	s_or_b64 exec, exec, s[4:5]
	v_cmp_gt_i32_e32 vcc, s0, v0
	s_and_saveexec_b64 s[4:5], vcc
	s_cbranch_execnz .LBB123_26
.LBB123_9:
	s_or_b64 exec, exec, s[4:5]
	v_cmp_gt_i32_e32 vcc, s0, v0
	s_and_saveexec_b64 s[4:5], vcc
	s_cbranch_execnz .LBB123_27
.LBB123_10:
	s_or_b64 exec, exec, s[4:5]
	v_cmp_gt_i32_e32 vcc, s0, v0
	s_and_saveexec_b64 s[4:5], vcc
	s_cbranch_execnz .LBB123_28
.LBB123_11:
	s_or_b64 exec, exec, s[4:5]
	v_cmp_gt_i32_e32 vcc, s0, v0
	s_and_saveexec_b64 s[4:5], vcc
	s_cbranch_execnz .LBB123_29
.LBB123_12:
	s_or_b64 exec, exec, s[4:5]
	v_cmp_gt_i32_e32 vcc, s0, v0
	s_and_saveexec_b64 s[4:5], vcc
	s_cbranch_execnz .LBB123_30
.LBB123_13:
	s_or_b64 exec, exec, s[4:5]
	v_cmp_gt_i32_e32 vcc, s0, v0
	s_and_saveexec_b64 s[4:5], vcc
	s_cbranch_execnz .LBB123_31
.LBB123_14:
	s_or_b64 exec, exec, s[4:5]
	v_cmp_gt_i32_e32 vcc, s0, v0
	s_and_saveexec_b64 s[4:5], vcc
	s_cbranch_execnz .LBB123_32
.LBB123_15:
	s_or_b64 exec, exec, s[4:5]
	v_cmp_gt_i32_e32 vcc, s0, v0
	s_and_saveexec_b64 s[4:5], vcc
	s_cbranch_execnz .LBB123_33
.LBB123_16:
	s_or_b64 exec, exec, s[4:5]
	v_cmp_gt_i32_e32 vcc, s0, v0
	s_and_saveexec_b64 s[4:5], vcc
	s_cbranch_execnz .LBB123_34
.LBB123_17:
	s_or_b64 exec, exec, s[4:5]
	v_cmp_gt_i32_e32 vcc, s0, v0
	s_and_saveexec_b64 s[4:5], vcc
	s_cbranch_execnz .LBB123_35
.LBB123_18:
	s_or_b64 exec, exec, s[4:5]
	v_cmp_gt_i32_e32 vcc, s0, v0
	s_and_saveexec_b64 s[4:5], vcc
	s_cbranch_execz .LBB123_20
.LBB123_19:
	v_add_u32_e32 v0, s6, v0
	v_mov_b32_e32 v1, s1
	global_store_byte v0, v1, s[2:3]
.LBB123_20:
	s_endpgm
.LBB123_21:
	v_or_b32_e32 v1, 0x100, v0
	v_or_b32_e32 v0, s6, v0
	v_mov_b32_e32 v2, s1
	global_store_byte v0, v2, s[2:3]
	v_mov_b32_e32 v0, v1
	s_or_b64 exec, exec, s[4:5]
	v_cmp_gt_i32_e32 vcc, s0, v0
	s_and_saveexec_b64 s[4:5], vcc
	s_cbranch_execz .LBB123_5
.LBB123_22:
	v_add_u32_e32 v1, s6, v0
	v_add_u32_e32 v0, 0x100, v0
	v_mov_b32_e32 v2, s1
	global_store_byte v1, v2, s[2:3]
	s_or_b64 exec, exec, s[4:5]
	v_cmp_gt_i32_e32 vcc, s0, v0
	s_and_saveexec_b64 s[4:5], vcc
	s_cbranch_execz .LBB123_6
.LBB123_23:
	v_add_u32_e32 v1, s6, v0
	v_add_u32_e32 v0, 0x100, v0
	v_mov_b32_e32 v2, s1
	global_store_byte v1, v2, s[2:3]
	s_or_b64 exec, exec, s[4:5]
	v_cmp_gt_i32_e32 vcc, s0, v0
	s_and_saveexec_b64 s[4:5], vcc
	s_cbranch_execz .LBB123_7
.LBB123_24:
	v_add_u32_e32 v1, s6, v0
	v_add_u32_e32 v0, 0x100, v0
	v_mov_b32_e32 v2, s1
	global_store_byte v1, v2, s[2:3]
	s_or_b64 exec, exec, s[4:5]
	v_cmp_gt_i32_e32 vcc, s0, v0
	s_and_saveexec_b64 s[4:5], vcc
	s_cbranch_execz .LBB123_8
.LBB123_25:
	v_add_u32_e32 v1, s6, v0
	v_add_u32_e32 v0, 0x100, v0
	v_mov_b32_e32 v2, s1
	global_store_byte v1, v2, s[2:3]
	s_or_b64 exec, exec, s[4:5]
	v_cmp_gt_i32_e32 vcc, s0, v0
	s_and_saveexec_b64 s[4:5], vcc
	s_cbranch_execz .LBB123_9
.LBB123_26:
	v_add_u32_e32 v1, s6, v0
	v_add_u32_e32 v0, 0x100, v0
	v_mov_b32_e32 v2, s1
	global_store_byte v1, v2, s[2:3]
	s_or_b64 exec, exec, s[4:5]
	v_cmp_gt_i32_e32 vcc, s0, v0
	s_and_saveexec_b64 s[4:5], vcc
	s_cbranch_execz .LBB123_10
.LBB123_27:
	v_add_u32_e32 v1, s6, v0
	v_add_u32_e32 v0, 0x100, v0
	v_mov_b32_e32 v2, s1
	global_store_byte v1, v2, s[2:3]
	s_or_b64 exec, exec, s[4:5]
	v_cmp_gt_i32_e32 vcc, s0, v0
	s_and_saveexec_b64 s[4:5], vcc
	s_cbranch_execz .LBB123_11
.LBB123_28:
	v_add_u32_e32 v1, s6, v0
	v_add_u32_e32 v0, 0x100, v0
	v_mov_b32_e32 v2, s1
	global_store_byte v1, v2, s[2:3]
	s_or_b64 exec, exec, s[4:5]
	v_cmp_gt_i32_e32 vcc, s0, v0
	s_and_saveexec_b64 s[4:5], vcc
	s_cbranch_execz .LBB123_12
.LBB123_29:
	v_add_u32_e32 v1, s6, v0
	v_add_u32_e32 v0, 0x100, v0
	v_mov_b32_e32 v2, s1
	global_store_byte v1, v2, s[2:3]
	s_or_b64 exec, exec, s[4:5]
	v_cmp_gt_i32_e32 vcc, s0, v0
	s_and_saveexec_b64 s[4:5], vcc
	s_cbranch_execz .LBB123_13
.LBB123_30:
	v_add_u32_e32 v1, s6, v0
	v_add_u32_e32 v0, 0x100, v0
	v_mov_b32_e32 v2, s1
	global_store_byte v1, v2, s[2:3]
	s_or_b64 exec, exec, s[4:5]
	v_cmp_gt_i32_e32 vcc, s0, v0
	s_and_saveexec_b64 s[4:5], vcc
	s_cbranch_execz .LBB123_14
.LBB123_31:
	v_add_u32_e32 v1, s6, v0
	v_add_u32_e32 v0, 0x100, v0
	v_mov_b32_e32 v2, s1
	global_store_byte v1, v2, s[2:3]
	s_or_b64 exec, exec, s[4:5]
	v_cmp_gt_i32_e32 vcc, s0, v0
	s_and_saveexec_b64 s[4:5], vcc
	s_cbranch_execz .LBB123_15
.LBB123_32:
	v_add_u32_e32 v1, s6, v0
	v_add_u32_e32 v0, 0x100, v0
	v_mov_b32_e32 v2, s1
	global_store_byte v1, v2, s[2:3]
	s_or_b64 exec, exec, s[4:5]
	v_cmp_gt_i32_e32 vcc, s0, v0
	s_and_saveexec_b64 s[4:5], vcc
	s_cbranch_execz .LBB123_16
.LBB123_33:
	v_add_u32_e32 v1, s6, v0
	v_add_u32_e32 v0, 0x100, v0
	v_mov_b32_e32 v2, s1
	global_store_byte v1, v2, s[2:3]
	s_or_b64 exec, exec, s[4:5]
	v_cmp_gt_i32_e32 vcc, s0, v0
	s_and_saveexec_b64 s[4:5], vcc
	s_cbranch_execz .LBB123_17
.LBB123_34:
	v_add_u32_e32 v1, s6, v0
	v_add_u32_e32 v0, 0x100, v0
	v_mov_b32_e32 v2, s1
	global_store_byte v1, v2, s[2:3]
	s_or_b64 exec, exec, s[4:5]
	v_cmp_gt_i32_e32 vcc, s0, v0
	s_and_saveexec_b64 s[4:5], vcc
	s_cbranch_execz .LBB123_18
.LBB123_35:
	v_add_u32_e32 v1, s6, v0
	v_add_u32_e32 v0, 0x100, v0
	v_mov_b32_e32 v2, s1
	global_store_byte v1, v2, s[2:3]
	s_or_b64 exec, exec, s[4:5]
	v_cmp_gt_i32_e32 vcc, s0, v0
	s_and_saveexec_b64 s[4:5], vcc
	s_cbranch_execnz .LBB123_19
	s_branch .LBB123_20
	.section	.rodata,"a",@progbits
	.p2align	6, 0x0
	.amdhsa_kernel _ZN2at6native29vectorized_elementwise_kernelILi2ENS0_11FillFunctorIN3c1015Float8_e5m2fnuzEEESt5arrayIPcLm1EEEEviT0_T1_
		.amdhsa_group_segment_fixed_size 0
		.amdhsa_private_segment_fixed_size 0
		.amdhsa_kernarg_size 16
		.amdhsa_user_sgpr_count 6
		.amdhsa_user_sgpr_private_segment_buffer 1
		.amdhsa_user_sgpr_dispatch_ptr 0
		.amdhsa_user_sgpr_queue_ptr 0
		.amdhsa_user_sgpr_kernarg_segment_ptr 1
		.amdhsa_user_sgpr_dispatch_id 0
		.amdhsa_user_sgpr_flat_scratch_init 0
		.amdhsa_user_sgpr_private_segment_size 0
		.amdhsa_uses_dynamic_stack 0
		.amdhsa_system_sgpr_private_segment_wavefront_offset 0
		.amdhsa_system_sgpr_workgroup_id_x 1
		.amdhsa_system_sgpr_workgroup_id_y 0
		.amdhsa_system_sgpr_workgroup_id_z 0
		.amdhsa_system_sgpr_workgroup_info 0
		.amdhsa_system_vgpr_workitem_id 0
		.amdhsa_next_free_vgpr 3
		.amdhsa_next_free_sgpr 8
		.amdhsa_reserve_vcc 1
		.amdhsa_reserve_flat_scratch 0
		.amdhsa_float_round_mode_32 0
		.amdhsa_float_round_mode_16_64 0
		.amdhsa_float_denorm_mode_32 3
		.amdhsa_float_denorm_mode_16_64 3
		.amdhsa_dx10_clamp 1
		.amdhsa_ieee_mode 1
		.amdhsa_fp16_overflow 0
		.amdhsa_exception_fp_ieee_invalid_op 0
		.amdhsa_exception_fp_denorm_src 0
		.amdhsa_exception_fp_ieee_div_zero 0
		.amdhsa_exception_fp_ieee_overflow 0
		.amdhsa_exception_fp_ieee_underflow 0
		.amdhsa_exception_fp_ieee_inexact 0
		.amdhsa_exception_int_div_zero 0
	.end_amdhsa_kernel
	.section	.text._ZN2at6native29vectorized_elementwise_kernelILi2ENS0_11FillFunctorIN3c1015Float8_e5m2fnuzEEESt5arrayIPcLm1EEEEviT0_T1_,"axG",@progbits,_ZN2at6native29vectorized_elementwise_kernelILi2ENS0_11FillFunctorIN3c1015Float8_e5m2fnuzEEESt5arrayIPcLm1EEEEviT0_T1_,comdat
.Lfunc_end123:
	.size	_ZN2at6native29vectorized_elementwise_kernelILi2ENS0_11FillFunctorIN3c1015Float8_e5m2fnuzEEESt5arrayIPcLm1EEEEviT0_T1_, .Lfunc_end123-_ZN2at6native29vectorized_elementwise_kernelILi2ENS0_11FillFunctorIN3c1015Float8_e5m2fnuzEEESt5arrayIPcLm1EEEEviT0_T1_
                                        ; -- End function
	.set _ZN2at6native29vectorized_elementwise_kernelILi2ENS0_11FillFunctorIN3c1015Float8_e5m2fnuzEEESt5arrayIPcLm1EEEEviT0_T1_.num_vgpr, 3
	.set _ZN2at6native29vectorized_elementwise_kernelILi2ENS0_11FillFunctorIN3c1015Float8_e5m2fnuzEEESt5arrayIPcLm1EEEEviT0_T1_.num_agpr, 0
	.set _ZN2at6native29vectorized_elementwise_kernelILi2ENS0_11FillFunctorIN3c1015Float8_e5m2fnuzEEESt5arrayIPcLm1EEEEviT0_T1_.numbered_sgpr, 8
	.set _ZN2at6native29vectorized_elementwise_kernelILi2ENS0_11FillFunctorIN3c1015Float8_e5m2fnuzEEESt5arrayIPcLm1EEEEviT0_T1_.num_named_barrier, 0
	.set _ZN2at6native29vectorized_elementwise_kernelILi2ENS0_11FillFunctorIN3c1015Float8_e5m2fnuzEEESt5arrayIPcLm1EEEEviT0_T1_.private_seg_size, 0
	.set _ZN2at6native29vectorized_elementwise_kernelILi2ENS0_11FillFunctorIN3c1015Float8_e5m2fnuzEEESt5arrayIPcLm1EEEEviT0_T1_.uses_vcc, 1
	.set _ZN2at6native29vectorized_elementwise_kernelILi2ENS0_11FillFunctorIN3c1015Float8_e5m2fnuzEEESt5arrayIPcLm1EEEEviT0_T1_.uses_flat_scratch, 0
	.set _ZN2at6native29vectorized_elementwise_kernelILi2ENS0_11FillFunctorIN3c1015Float8_e5m2fnuzEEESt5arrayIPcLm1EEEEviT0_T1_.has_dyn_sized_stack, 0
	.set _ZN2at6native29vectorized_elementwise_kernelILi2ENS0_11FillFunctorIN3c1015Float8_e5m2fnuzEEESt5arrayIPcLm1EEEEviT0_T1_.has_recursion, 0
	.set _ZN2at6native29vectorized_elementwise_kernelILi2ENS0_11FillFunctorIN3c1015Float8_e5m2fnuzEEESt5arrayIPcLm1EEEEviT0_T1_.has_indirect_call, 0
	.section	.AMDGPU.csdata,"",@progbits
; Kernel info:
; codeLenInByte = 1024
; TotalNumSgprs: 12
; NumVgprs: 3
; ScratchSize: 0
; MemoryBound: 0
; FloatMode: 240
; IeeeMode: 1
; LDSByteSize: 0 bytes/workgroup (compile time only)
; SGPRBlocks: 1
; VGPRBlocks: 0
; NumSGPRsForWavesPerEU: 12
; NumVGPRsForWavesPerEU: 3
; Occupancy: 10
; WaveLimiterHint : 1
; COMPUTE_PGM_RSRC2:SCRATCH_EN: 0
; COMPUTE_PGM_RSRC2:USER_SGPR: 6
; COMPUTE_PGM_RSRC2:TRAP_HANDLER: 0
; COMPUTE_PGM_RSRC2:TGID_X_EN: 1
; COMPUTE_PGM_RSRC2:TGID_Y_EN: 0
; COMPUTE_PGM_RSRC2:TGID_Z_EN: 0
; COMPUTE_PGM_RSRC2:TIDIG_COMP_CNT: 0
	.section	.text._ZN2at6native27unrolled_elementwise_kernelINS0_11FillFunctorIN3c1015Float8_e5m2fnuzEEESt5arrayIPcLm1EELi4E23TrivialOffsetCalculatorILi0EjES9_ILi1EjENS0_6memory15LoadWithoutCastENSC_16StoreWithoutCastEEEviT_T0_T2_T3_T4_T5_,"axG",@progbits,_ZN2at6native27unrolled_elementwise_kernelINS0_11FillFunctorIN3c1015Float8_e5m2fnuzEEESt5arrayIPcLm1EELi4E23TrivialOffsetCalculatorILi0EjES9_ILi1EjENS0_6memory15LoadWithoutCastENSC_16StoreWithoutCastEEEviT_T0_T2_T3_T4_T5_,comdat
	.protected	_ZN2at6native27unrolled_elementwise_kernelINS0_11FillFunctorIN3c1015Float8_e5m2fnuzEEESt5arrayIPcLm1EELi4E23TrivialOffsetCalculatorILi0EjES9_ILi1EjENS0_6memory15LoadWithoutCastENSC_16StoreWithoutCastEEEviT_T0_T2_T3_T4_T5_ ; -- Begin function _ZN2at6native27unrolled_elementwise_kernelINS0_11FillFunctorIN3c1015Float8_e5m2fnuzEEESt5arrayIPcLm1EELi4E23TrivialOffsetCalculatorILi0EjES9_ILi1EjENS0_6memory15LoadWithoutCastENSC_16StoreWithoutCastEEEviT_T0_T2_T3_T4_T5_
	.globl	_ZN2at6native27unrolled_elementwise_kernelINS0_11FillFunctorIN3c1015Float8_e5m2fnuzEEESt5arrayIPcLm1EELi4E23TrivialOffsetCalculatorILi0EjES9_ILi1EjENS0_6memory15LoadWithoutCastENSC_16StoreWithoutCastEEEviT_T0_T2_T3_T4_T5_
	.p2align	8
	.type	_ZN2at6native27unrolled_elementwise_kernelINS0_11FillFunctorIN3c1015Float8_e5m2fnuzEEESt5arrayIPcLm1EELi4E23TrivialOffsetCalculatorILi0EjES9_ILi1EjENS0_6memory15LoadWithoutCastENSC_16StoreWithoutCastEEEviT_T0_T2_T3_T4_T5_,@function
_ZN2at6native27unrolled_elementwise_kernelINS0_11FillFunctorIN3c1015Float8_e5m2fnuzEEESt5arrayIPcLm1EELi4E23TrivialOffsetCalculatorILi0EjES9_ILi1EjENS0_6memory15LoadWithoutCastENSC_16StoreWithoutCastEEEviT_T0_T2_T3_T4_T5_: ; @_ZN2at6native27unrolled_elementwise_kernelINS0_11FillFunctorIN3c1015Float8_e5m2fnuzEEESt5arrayIPcLm1EELi4E23TrivialOffsetCalculatorILi0EjES9_ILi1EjENS0_6memory15LoadWithoutCastENSC_16StoreWithoutCastEEEviT_T0_T2_T3_T4_T5_
; %bb.0:
	s_load_dwordx4 s[0:3], s[4:5], 0x0
	s_lshl_b32 s6, s6, 10
	s_waitcnt lgkmcnt(0)
	s_sub_i32 s0, s0, s6
	v_cmp_gt_i32_e32 vcc, s0, v0
	s_and_saveexec_b64 s[4:5], vcc
	s_cbranch_execnz .LBB124_5
; %bb.1:
	s_or_b64 exec, exec, s[4:5]
	v_cmp_gt_i32_e32 vcc, s0, v0
	s_and_saveexec_b64 s[4:5], vcc
	s_cbranch_execnz .LBB124_6
.LBB124_2:
	s_or_b64 exec, exec, s[4:5]
	v_cmp_gt_i32_e32 vcc, s0, v0
	s_and_saveexec_b64 s[4:5], vcc
	s_cbranch_execnz .LBB124_7
.LBB124_3:
	s_or_b64 exec, exec, s[4:5]
	v_cmp_gt_i32_e32 vcc, s0, v0
	s_and_saveexec_b64 s[4:5], vcc
	s_cbranch_execnz .LBB124_8
.LBB124_4:
	s_endpgm
.LBB124_5:
	v_or_b32_e32 v1, s6, v0
	v_or_b32_e32 v0, 0x100, v0
	v_mov_b32_e32 v2, s1
	global_store_byte v1, v2, s[2:3]
	s_or_b64 exec, exec, s[4:5]
	v_cmp_gt_i32_e32 vcc, s0, v0
	s_and_saveexec_b64 s[4:5], vcc
	s_cbranch_execz .LBB124_2
.LBB124_6:
	v_add_u32_e32 v1, 0x100, v0
	v_add_u32_e32 v0, s6, v0
	v_mov_b32_e32 v2, s1
	global_store_byte v0, v2, s[2:3]
	v_mov_b32_e32 v0, v1
	s_or_b64 exec, exec, s[4:5]
	v_cmp_gt_i32_e32 vcc, s0, v0
	s_and_saveexec_b64 s[4:5], vcc
	s_cbranch_execz .LBB124_3
.LBB124_7:
	v_add_u32_e32 v1, 0x100, v0
	v_add_u32_e32 v0, s6, v0
	v_mov_b32_e32 v2, s1
	global_store_byte v0, v2, s[2:3]
	v_mov_b32_e32 v0, v1
	s_or_b64 exec, exec, s[4:5]
	v_cmp_gt_i32_e32 vcc, s0, v0
	s_and_saveexec_b64 s[4:5], vcc
	s_cbranch_execz .LBB124_4
.LBB124_8:
	v_add_u32_e32 v0, s6, v0
	v_mov_b32_e32 v1, s1
	global_store_byte v0, v1, s[2:3]
	s_endpgm
	.section	.rodata,"a",@progbits
	.p2align	6, 0x0
	.amdhsa_kernel _ZN2at6native27unrolled_elementwise_kernelINS0_11FillFunctorIN3c1015Float8_e5m2fnuzEEESt5arrayIPcLm1EELi4E23TrivialOffsetCalculatorILi0EjES9_ILi1EjENS0_6memory15LoadWithoutCastENSC_16StoreWithoutCastEEEviT_T0_T2_T3_T4_T5_
		.amdhsa_group_segment_fixed_size 0
		.amdhsa_private_segment_fixed_size 0
		.amdhsa_kernarg_size 20
		.amdhsa_user_sgpr_count 6
		.amdhsa_user_sgpr_private_segment_buffer 1
		.amdhsa_user_sgpr_dispatch_ptr 0
		.amdhsa_user_sgpr_queue_ptr 0
		.amdhsa_user_sgpr_kernarg_segment_ptr 1
		.amdhsa_user_sgpr_dispatch_id 0
		.amdhsa_user_sgpr_flat_scratch_init 0
		.amdhsa_user_sgpr_private_segment_size 0
		.amdhsa_uses_dynamic_stack 0
		.amdhsa_system_sgpr_private_segment_wavefront_offset 0
		.amdhsa_system_sgpr_workgroup_id_x 1
		.amdhsa_system_sgpr_workgroup_id_y 0
		.amdhsa_system_sgpr_workgroup_id_z 0
		.amdhsa_system_sgpr_workgroup_info 0
		.amdhsa_system_vgpr_workitem_id 0
		.amdhsa_next_free_vgpr 3
		.amdhsa_next_free_sgpr 7
		.amdhsa_reserve_vcc 1
		.amdhsa_reserve_flat_scratch 0
		.amdhsa_float_round_mode_32 0
		.amdhsa_float_round_mode_16_64 0
		.amdhsa_float_denorm_mode_32 3
		.amdhsa_float_denorm_mode_16_64 3
		.amdhsa_dx10_clamp 1
		.amdhsa_ieee_mode 1
		.amdhsa_fp16_overflow 0
		.amdhsa_exception_fp_ieee_invalid_op 0
		.amdhsa_exception_fp_denorm_src 0
		.amdhsa_exception_fp_ieee_div_zero 0
		.amdhsa_exception_fp_ieee_overflow 0
		.amdhsa_exception_fp_ieee_underflow 0
		.amdhsa_exception_fp_ieee_inexact 0
		.amdhsa_exception_int_div_zero 0
	.end_amdhsa_kernel
	.section	.text._ZN2at6native27unrolled_elementwise_kernelINS0_11FillFunctorIN3c1015Float8_e5m2fnuzEEESt5arrayIPcLm1EELi4E23TrivialOffsetCalculatorILi0EjES9_ILi1EjENS0_6memory15LoadWithoutCastENSC_16StoreWithoutCastEEEviT_T0_T2_T3_T4_T5_,"axG",@progbits,_ZN2at6native27unrolled_elementwise_kernelINS0_11FillFunctorIN3c1015Float8_e5m2fnuzEEESt5arrayIPcLm1EELi4E23TrivialOffsetCalculatorILi0EjES9_ILi1EjENS0_6memory15LoadWithoutCastENSC_16StoreWithoutCastEEEviT_T0_T2_T3_T4_T5_,comdat
.Lfunc_end124:
	.size	_ZN2at6native27unrolled_elementwise_kernelINS0_11FillFunctorIN3c1015Float8_e5m2fnuzEEESt5arrayIPcLm1EELi4E23TrivialOffsetCalculatorILi0EjES9_ILi1EjENS0_6memory15LoadWithoutCastENSC_16StoreWithoutCastEEEviT_T0_T2_T3_T4_T5_, .Lfunc_end124-_ZN2at6native27unrolled_elementwise_kernelINS0_11FillFunctorIN3c1015Float8_e5m2fnuzEEESt5arrayIPcLm1EELi4E23TrivialOffsetCalculatorILi0EjES9_ILi1EjENS0_6memory15LoadWithoutCastENSC_16StoreWithoutCastEEEviT_T0_T2_T3_T4_T5_
                                        ; -- End function
	.set _ZN2at6native27unrolled_elementwise_kernelINS0_11FillFunctorIN3c1015Float8_e5m2fnuzEEESt5arrayIPcLm1EELi4E23TrivialOffsetCalculatorILi0EjES9_ILi1EjENS0_6memory15LoadWithoutCastENSC_16StoreWithoutCastEEEviT_T0_T2_T3_T4_T5_.num_vgpr, 3
	.set _ZN2at6native27unrolled_elementwise_kernelINS0_11FillFunctorIN3c1015Float8_e5m2fnuzEEESt5arrayIPcLm1EELi4E23TrivialOffsetCalculatorILi0EjES9_ILi1EjENS0_6memory15LoadWithoutCastENSC_16StoreWithoutCastEEEviT_T0_T2_T3_T4_T5_.num_agpr, 0
	.set _ZN2at6native27unrolled_elementwise_kernelINS0_11FillFunctorIN3c1015Float8_e5m2fnuzEEESt5arrayIPcLm1EELi4E23TrivialOffsetCalculatorILi0EjES9_ILi1EjENS0_6memory15LoadWithoutCastENSC_16StoreWithoutCastEEEviT_T0_T2_T3_T4_T5_.numbered_sgpr, 7
	.set _ZN2at6native27unrolled_elementwise_kernelINS0_11FillFunctorIN3c1015Float8_e5m2fnuzEEESt5arrayIPcLm1EELi4E23TrivialOffsetCalculatorILi0EjES9_ILi1EjENS0_6memory15LoadWithoutCastENSC_16StoreWithoutCastEEEviT_T0_T2_T3_T4_T5_.num_named_barrier, 0
	.set _ZN2at6native27unrolled_elementwise_kernelINS0_11FillFunctorIN3c1015Float8_e5m2fnuzEEESt5arrayIPcLm1EELi4E23TrivialOffsetCalculatorILi0EjES9_ILi1EjENS0_6memory15LoadWithoutCastENSC_16StoreWithoutCastEEEviT_T0_T2_T3_T4_T5_.private_seg_size, 0
	.set _ZN2at6native27unrolled_elementwise_kernelINS0_11FillFunctorIN3c1015Float8_e5m2fnuzEEESt5arrayIPcLm1EELi4E23TrivialOffsetCalculatorILi0EjES9_ILi1EjENS0_6memory15LoadWithoutCastENSC_16StoreWithoutCastEEEviT_T0_T2_T3_T4_T5_.uses_vcc, 1
	.set _ZN2at6native27unrolled_elementwise_kernelINS0_11FillFunctorIN3c1015Float8_e5m2fnuzEEESt5arrayIPcLm1EELi4E23TrivialOffsetCalculatorILi0EjES9_ILi1EjENS0_6memory15LoadWithoutCastENSC_16StoreWithoutCastEEEviT_T0_T2_T3_T4_T5_.uses_flat_scratch, 0
	.set _ZN2at6native27unrolled_elementwise_kernelINS0_11FillFunctorIN3c1015Float8_e5m2fnuzEEESt5arrayIPcLm1EELi4E23TrivialOffsetCalculatorILi0EjES9_ILi1EjENS0_6memory15LoadWithoutCastENSC_16StoreWithoutCastEEEviT_T0_T2_T3_T4_T5_.has_dyn_sized_stack, 0
	.set _ZN2at6native27unrolled_elementwise_kernelINS0_11FillFunctorIN3c1015Float8_e5m2fnuzEEESt5arrayIPcLm1EELi4E23TrivialOffsetCalculatorILi0EjES9_ILi1EjENS0_6memory15LoadWithoutCastENSC_16StoreWithoutCastEEEviT_T0_T2_T3_T4_T5_.has_recursion, 0
	.set _ZN2at6native27unrolled_elementwise_kernelINS0_11FillFunctorIN3c1015Float8_e5m2fnuzEEESt5arrayIPcLm1EELi4E23TrivialOffsetCalculatorILi0EjES9_ILi1EjENS0_6memory15LoadWithoutCastENSC_16StoreWithoutCastEEEviT_T0_T2_T3_T4_T5_.has_indirect_call, 0
	.section	.AMDGPU.csdata,"",@progbits
; Kernel info:
; codeLenInByte = 232
; TotalNumSgprs: 11
; NumVgprs: 3
; ScratchSize: 0
; MemoryBound: 0
; FloatMode: 240
; IeeeMode: 1
; LDSByteSize: 0 bytes/workgroup (compile time only)
; SGPRBlocks: 1
; VGPRBlocks: 0
; NumSGPRsForWavesPerEU: 11
; NumVGPRsForWavesPerEU: 3
; Occupancy: 10
; WaveLimiterHint : 0
; COMPUTE_PGM_RSRC2:SCRATCH_EN: 0
; COMPUTE_PGM_RSRC2:USER_SGPR: 6
; COMPUTE_PGM_RSRC2:TRAP_HANDLER: 0
; COMPUTE_PGM_RSRC2:TGID_X_EN: 1
; COMPUTE_PGM_RSRC2:TGID_Y_EN: 0
; COMPUTE_PGM_RSRC2:TGID_Z_EN: 0
; COMPUTE_PGM_RSRC2:TIDIG_COMP_CNT: 0
	.section	.text._ZN2at6native32elementwise_kernel_manual_unrollILi128ELi8EZNS0_22gpu_kernel_impl_nocastINS0_11FillFunctorIN3c1015Float8_e5m2fnuzEEEEEvRNS_18TensorIteratorBaseERKT_EUlibE_EEviT1_,"axG",@progbits,_ZN2at6native32elementwise_kernel_manual_unrollILi128ELi8EZNS0_22gpu_kernel_impl_nocastINS0_11FillFunctorIN3c1015Float8_e5m2fnuzEEEEEvRNS_18TensorIteratorBaseERKT_EUlibE_EEviT1_,comdat
	.protected	_ZN2at6native32elementwise_kernel_manual_unrollILi128ELi8EZNS0_22gpu_kernel_impl_nocastINS0_11FillFunctorIN3c1015Float8_e5m2fnuzEEEEEvRNS_18TensorIteratorBaseERKT_EUlibE_EEviT1_ ; -- Begin function _ZN2at6native32elementwise_kernel_manual_unrollILi128ELi8EZNS0_22gpu_kernel_impl_nocastINS0_11FillFunctorIN3c1015Float8_e5m2fnuzEEEEEvRNS_18TensorIteratorBaseERKT_EUlibE_EEviT1_
	.globl	_ZN2at6native32elementwise_kernel_manual_unrollILi128ELi8EZNS0_22gpu_kernel_impl_nocastINS0_11FillFunctorIN3c1015Float8_e5m2fnuzEEEEEvRNS_18TensorIteratorBaseERKT_EUlibE_EEviT1_
	.p2align	8
	.type	_ZN2at6native32elementwise_kernel_manual_unrollILi128ELi8EZNS0_22gpu_kernel_impl_nocastINS0_11FillFunctorIN3c1015Float8_e5m2fnuzEEEEEvRNS_18TensorIteratorBaseERKT_EUlibE_EEviT1_,@function
_ZN2at6native32elementwise_kernel_manual_unrollILi128ELi8EZNS0_22gpu_kernel_impl_nocastINS0_11FillFunctorIN3c1015Float8_e5m2fnuzEEEEEvRNS_18TensorIteratorBaseERKT_EUlibE_EEviT1_: ; @_ZN2at6native32elementwise_kernel_manual_unrollILi128ELi8EZNS0_22gpu_kernel_impl_nocastINS0_11FillFunctorIN3c1015Float8_e5m2fnuzEEEEEvRNS_18TensorIteratorBaseERKT_EUlibE_EEviT1_
; %bb.0:
	s_load_dword s48, s[4:5], 0x0
	s_load_dword s33, s[4:5], 0x8
	s_add_u32 s20, s4, 8
	s_addc_u32 s21, s5, 0
	v_lshl_or_b32 v7, s6, 10, v0
	v_or_b32_e32 v9, 0x380, v7
	s_waitcnt lgkmcnt(0)
	s_add_i32 s46, s33, -1
	s_cmp_gt_u32 s46, 1
	v_cmp_le_i32_e32 vcc, s48, v9
	s_cselect_b64 s[22:23], -1, 0
	s_and_saveexec_b64 s[0:1], vcc
	s_xor_b64 s[24:25], exec, s[0:1]
	s_cbranch_execz .LBB125_7
; %bb.1:
	s_load_dwordx4 s[8:11], s[20:21], 0x4
	s_load_dwordx2 s[30:31], s[20:21], 0x14
	s_load_dwordx2 s[28:29], s[20:21], 0xc4
	;; [unrolled: 1-line block ×3, first 2 shown]
	s_load_dword s47, s[20:21], 0x110
	s_cmp_lg_u32 s33, 0
	s_cselect_b64 s[38:39], -1, 0
	s_add_u32 s36, s20, 0xc4
	s_addc_u32 s37, s21, 0
	s_min_u32 s49, s46, 15
	s_cmp_gt_u32 s33, 1
	s_cselect_b64 s[34:35], -1, 0
	v_cmp_gt_i32_e32 vcc, s48, v7
	s_and_saveexec_b64 s[40:41], vcc
	s_cbranch_execz .LBB125_14
; %bb.2:
	s_andn2_b64 vcc, exec, s[22:23]
	s_cbranch_vccnz .LBB125_21
; %bb.3:
	s_andn2_b64 vcc, exec, s[38:39]
	s_cbranch_vccnz .LBB125_129
; %bb.4:
	s_add_i32 s51, s49, 1
	s_cmp_eq_u32 s46, 2
	s_cbranch_scc1 .LBB125_131
; %bb.5:
	s_and_b32 s50, s51, 28
	s_mov_b32 s52, 0
	v_mov_b32_e32 v0, 0
	s_mov_b64 s[42:43], s[20:21]
	s_mov_b64 s[44:45], s[36:37]
	v_mov_b32_e32 v1, v7
.LBB125_6:                              ; =>This Inner Loop Header: Depth=1
	s_load_dwordx8 s[0:7], s[42:43], 0x4
	s_load_dwordx4 s[12:15], s[42:43], 0x24
	s_load_dwordx4 s[16:19], s[44:45], 0x0
	s_add_u32 s42, s42, 48
	s_addc_u32 s43, s43, 0
	s_waitcnt lgkmcnt(0)
	v_mul_hi_u32 v2, s1, v1
	s_add_i32 s52, s52, 4
	s_add_u32 s44, s44, 16
	s_addc_u32 s45, s45, 0
	v_add_u32_e32 v2, v1, v2
	v_lshrrev_b32_e32 v2, s2, v2
	v_mul_lo_u32 v3, v2, s0
	v_mul_hi_u32 v4, s4, v2
	s_cmp_lg_u32 s50, s52
	v_sub_u32_e32 v1, v1, v3
	v_add_u32_e32 v3, v2, v4
	v_lshrrev_b32_e32 v3, s5, v3
	v_mul_lo_u32 v4, v1, s16
	v_mul_hi_u32 v1, s7, v3
	v_mul_lo_u32 v6, v3, s3
	v_add_u32_e32 v1, v3, v1
	v_lshrrev_b32_e32 v5, s12, v1
	v_mul_hi_u32 v1, s14, v5
	v_sub_u32_e32 v2, v2, v6
	v_mul_lo_u32 v6, v5, s6
	v_mul_lo_u32 v2, v2, s17
	v_add_u32_e32 v1, v5, v1
	v_lshrrev_b32_e32 v1, s15, v1
	v_mul_lo_u32 v8, v1, s13
	v_sub_u32_e32 v3, v3, v6
	v_mul_lo_u32 v3, v3, s18
	v_add3_u32 v0, v4, v0, v2
	v_sub_u32_e32 v5, v5, v8
	v_mul_lo_u32 v5, v5, s19
	v_add3_u32 v0, v3, v0, v5
	s_cbranch_scc1 .LBB125_6
	s_branch .LBB125_132
.LBB125_7:
	s_andn2_saveexec_b64 s[0:1], s[24:25]
	s_cbranch_execz .LBB125_221
.LBB125_8:
	v_cndmask_b32_e64 v0, 0, 1, s[22:23]
	v_cmp_ne_u32_e64 s[0:1], 1, v0
	s_andn2_b64 vcc, exec, s[22:23]
	s_cbranch_vccnz .LBB125_20
; %bb.9:
	s_cmp_lg_u32 s33, 0
	s_mov_b32 s24, 0
	s_cbranch_scc0 .LBB125_23
; %bb.10:
	s_min_u32 s25, s46, 15
	s_add_i32 s25, s25, 1
	s_cmp_eq_u32 s46, 2
	s_cbranch_scc1 .LBB125_24
; %bb.11:
	s_and_b32 s24, s25, 28
	s_add_u32 s2, s20, 0xc4
	s_addc_u32 s3, s21, 0
	s_waitcnt lgkmcnt(0)
	s_mov_b32 s26, 0
	v_mov_b32_e32 v0, 0
	s_mov_b64 s[22:23], s[20:21]
	v_mov_b32_e32 v1, v7
.LBB125_12:                             ; =>This Inner Loop Header: Depth=1
	s_load_dwordx8 s[4:11], s[22:23], 0x4
	s_load_dwordx4 s[12:15], s[22:23], 0x24
	s_load_dwordx4 s[16:19], s[2:3], 0x0
	s_add_u32 s22, s22, 48
	s_addc_u32 s23, s23, 0
	s_waitcnt lgkmcnt(0)
	v_mul_hi_u32 v2, s5, v1
	s_add_i32 s26, s26, 4
	s_add_u32 s2, s2, 16
	s_addc_u32 s3, s3, 0
	v_add_u32_e32 v2, v1, v2
	v_lshrrev_b32_e32 v2, s6, v2
	v_mul_lo_u32 v3, v2, s4
	v_mul_hi_u32 v4, s8, v2
	s_cmp_lg_u32 s24, s26
	v_sub_u32_e32 v1, v1, v3
	v_add_u32_e32 v3, v2, v4
	v_lshrrev_b32_e32 v3, s9, v3
	v_mul_lo_u32 v4, v1, s16
	v_mul_hi_u32 v1, s11, v3
	v_mul_lo_u32 v6, v3, s7
	v_add_u32_e32 v1, v3, v1
	v_lshrrev_b32_e32 v5, s12, v1
	v_mul_hi_u32 v1, s14, v5
	v_sub_u32_e32 v2, v2, v6
	v_mul_lo_u32 v6, v5, s10
	v_mul_lo_u32 v2, v2, s17
	v_add_u32_e32 v1, v5, v1
	v_lshrrev_b32_e32 v1, s15, v1
	v_mul_lo_u32 v8, v1, s13
	v_sub_u32_e32 v3, v3, v6
	v_mul_lo_u32 v3, v3, s18
	v_add3_u32 v0, v4, v0, v2
	v_sub_u32_e32 v5, v5, v8
	v_mul_lo_u32 v5, v5, s19
	v_add3_u32 v0, v3, v0, v5
	s_cbranch_scc1 .LBB125_12
; %bb.13:
	s_and_b32 s6, s25, 3
	s_cmp_eq_u32 s6, 0
	s_cbranch_scc0 .LBB125_25
	s_branch .LBB125_27
.LBB125_14:
	s_or_b64 exec, exec, s[40:41]
	v_cmp_gt_i32_e32 vcc, s48, v7
	s_and_saveexec_b64 s[40:41], vcc
	s_cbranch_execz .LBB125_139
.LBB125_15:
	s_andn2_b64 vcc, exec, s[22:23]
	s_cbranch_vccnz .LBB125_22
; %bb.16:
	s_andn2_b64 vcc, exec, s[38:39]
	s_cbranch_vccnz .LBB125_130
; %bb.17:
	s_add_i32 s51, s49, 1
	s_cmp_eq_u32 s46, 2
	s_cbranch_scc1 .LBB125_147
; %bb.18:
	s_and_b32 s50, s51, 28
	s_mov_b32 s52, 0
	v_mov_b32_e32 v0, 0
	s_mov_b64 s[42:43], s[20:21]
	s_mov_b64 s[44:45], s[36:37]
	v_mov_b32_e32 v1, v7
.LBB125_19:                             ; =>This Inner Loop Header: Depth=1
	s_load_dwordx8 s[0:7], s[42:43], 0x4
	s_load_dwordx4 s[12:15], s[42:43], 0x24
	s_load_dwordx4 s[16:19], s[44:45], 0x0
	s_add_u32 s42, s42, 48
	s_addc_u32 s43, s43, 0
	s_waitcnt lgkmcnt(0)
	v_mul_hi_u32 v2, s1, v1
	s_add_i32 s52, s52, 4
	s_add_u32 s44, s44, 16
	s_addc_u32 s45, s45, 0
	v_add_u32_e32 v2, v1, v2
	v_lshrrev_b32_e32 v2, s2, v2
	v_mul_lo_u32 v3, v2, s0
	v_mul_hi_u32 v4, s4, v2
	s_cmp_eq_u32 s50, s52
	v_sub_u32_e32 v1, v1, v3
	v_add_u32_e32 v3, v2, v4
	v_lshrrev_b32_e32 v3, s5, v3
	v_mul_lo_u32 v4, v1, s16
	v_mul_hi_u32 v1, s7, v3
	v_mul_lo_u32 v6, v3, s3
	v_add_u32_e32 v1, v3, v1
	v_lshrrev_b32_e32 v5, s12, v1
	v_mul_hi_u32 v1, s14, v5
	v_sub_u32_e32 v2, v2, v6
	v_mul_lo_u32 v6, v5, s6
	v_mul_lo_u32 v2, v2, s17
	v_add_u32_e32 v1, v5, v1
	v_lshrrev_b32_e32 v1, s15, v1
	v_mul_lo_u32 v8, v1, s13
	v_sub_u32_e32 v3, v3, v6
	v_mul_lo_u32 v3, v3, s18
	v_add3_u32 v0, v4, v0, v2
	v_sub_u32_e32 v5, v5, v8
	v_mul_lo_u32 v5, v5, s19
	v_add3_u32 v0, v3, v0, v5
	s_cbranch_scc0 .LBB125_19
	s_branch .LBB125_148
.LBB125_20:
                                        ; implicit-def: $vgpr0
	s_branch .LBB125_28
.LBB125_21:
                                        ; implicit-def: $vgpr0
	s_branch .LBB125_136
.LBB125_22:
                                        ; implicit-def: $vgpr0
	s_branch .LBB125_152
.LBB125_23:
	v_mov_b32_e32 v0, 0
	s_branch .LBB125_27
.LBB125_24:
	v_mov_b32_e32 v0, 0
	v_mov_b32_e32 v1, v7
	s_and_b32 s6, s25, 3
	s_cmp_eq_u32 s6, 0
	s_cbranch_scc1 .LBB125_27
.LBB125_25:
	s_lshl_b32 s2, s24, 2
	s_add_u32 s2, s20, s2
	s_addc_u32 s3, s21, 0
	s_add_u32 s2, s2, 0xc4
	s_addc_u32 s3, s3, 0
	s_mul_i32 s4, s24, 12
	s_add_u32 s4, s20, s4
	s_addc_u32 s5, s21, 0
.LBB125_26:                             ; =>This Inner Loop Header: Depth=1
	s_waitcnt lgkmcnt(0)
	s_load_dwordx2 s[8:9], s[4:5], 0x4
	s_load_dword s7, s[4:5], 0xc
	s_add_u32 s4, s4, 12
	s_addc_u32 s5, s5, 0
	s_waitcnt lgkmcnt(0)
	v_mul_hi_u32 v2, s9, v1
	s_load_dword s9, s[2:3], 0x0
	s_add_u32 s2, s2, 4
	s_addc_u32 s3, s3, 0
	v_add_u32_e32 v2, v1, v2
	v_lshrrev_b32_e32 v2, s7, v2
	v_mul_lo_u32 v3, v2, s8
	s_add_i32 s6, s6, -1
	s_cmp_lg_u32 s6, 0
	v_sub_u32_e32 v1, v1, v3
	s_waitcnt lgkmcnt(0)
	v_mad_u64_u32 v[0:1], s[8:9], v1, s9, v[0:1]
	v_mov_b32_e32 v1, v2
	s_cbranch_scc1 .LBB125_26
.LBB125_27:
	s_cbranch_execnz .LBB125_30
.LBB125_28:
	s_load_dwordx4 s[4:7], s[20:21], 0x4
	s_load_dword s2, s[20:21], 0xc4
	s_cmp_lt_u32 s33, 2
	s_waitcnt lgkmcnt(0)
	v_mul_hi_u32 v0, s5, v7
	v_add_u32_e32 v0, v7, v0
	v_lshrrev_b32_e32 v1, s6, v0
	v_mul_lo_u32 v0, v1, s4
	v_sub_u32_e32 v0, v7, v0
	v_mul_lo_u32 v0, v0, s2
	s_cbranch_scc1 .LBB125_30
; %bb.29:
	s_load_dwordx4 s[4:7], s[20:21], 0x10
	s_load_dword s2, s[20:21], 0xc8
	s_waitcnt lgkmcnt(0)
	v_mul_hi_u32 v2, s5, v1
	v_add_u32_e32 v2, v1, v2
	v_lshrrev_b32_e32 v2, s6, v2
	v_mul_lo_u32 v2, v2, s4
	v_sub_u32_e32 v1, v1, v2
	v_mad_u64_u32 v[0:1], s[2:3], v1, s2, v[0:1]
.LBB125_30:
	s_and_b64 vcc, exec, s[0:1]
	v_add_u32_e32 v3, 0x80, v7
	s_cbranch_vccnz .LBB125_36
; %bb.31:
	s_cmp_lg_u32 s33, 0
	s_mov_b32 s24, 0
	s_cbranch_scc0 .LBB125_37
; %bb.32:
	s_min_u32 s25, s46, 15
	s_add_i32 s25, s25, 1
	s_cmp_eq_u32 s46, 2
	s_cbranch_scc1 .LBB125_38
; %bb.33:
	s_and_b32 s24, s25, 28
	s_add_u32 s2, s20, 0xc4
	s_addc_u32 s3, s21, 0
	s_waitcnt lgkmcnt(0)
	s_mov_b32 s26, 0
	v_mov_b32_e32 v1, 0
	s_mov_b64 s[22:23], s[20:21]
	v_mov_b32_e32 v2, v3
.LBB125_34:                             ; =>This Inner Loop Header: Depth=1
	s_load_dwordx8 s[4:11], s[22:23], 0x4
	s_load_dwordx4 s[12:15], s[22:23], 0x24
	s_load_dwordx4 s[16:19], s[2:3], 0x0
	s_add_u32 s22, s22, 48
	s_addc_u32 s23, s23, 0
	s_waitcnt lgkmcnt(0)
	v_mul_hi_u32 v4, s5, v2
	s_add_i32 s26, s26, 4
	s_add_u32 s2, s2, 16
	s_addc_u32 s3, s3, 0
	v_add_u32_e32 v4, v2, v4
	v_lshrrev_b32_e32 v4, s6, v4
	v_mul_lo_u32 v5, v4, s4
	v_mul_hi_u32 v6, s8, v4
	s_cmp_lg_u32 s24, s26
	v_sub_u32_e32 v2, v2, v5
	v_add_u32_e32 v5, v4, v6
	v_lshrrev_b32_e32 v5, s9, v5
	v_mul_lo_u32 v6, v2, s16
	v_mul_hi_u32 v2, s11, v5
	v_mul_lo_u32 v10, v5, s7
	v_add_u32_e32 v2, v5, v2
	v_lshrrev_b32_e32 v8, s12, v2
	v_mul_hi_u32 v2, s14, v8
	v_sub_u32_e32 v4, v4, v10
	v_mul_lo_u32 v10, v8, s10
	v_mul_lo_u32 v4, v4, s17
	v_add_u32_e32 v2, v8, v2
	v_lshrrev_b32_e32 v2, s15, v2
	v_mul_lo_u32 v11, v2, s13
	v_sub_u32_e32 v5, v5, v10
	v_mul_lo_u32 v5, v5, s18
	v_add3_u32 v1, v6, v1, v4
	v_sub_u32_e32 v8, v8, v11
	v_mul_lo_u32 v8, v8, s19
	v_add3_u32 v1, v5, v1, v8
	s_cbranch_scc1 .LBB125_34
; %bb.35:
	s_and_b32 s6, s25, 3
	s_cmp_eq_u32 s6, 0
	s_cbranch_scc0 .LBB125_39
	s_branch .LBB125_41
.LBB125_36:
                                        ; implicit-def: $vgpr1
	s_branch .LBB125_42
.LBB125_37:
	v_mov_b32_e32 v1, 0
	s_branch .LBB125_41
.LBB125_38:
	v_mov_b32_e32 v1, 0
	v_mov_b32_e32 v2, v3
	s_and_b32 s6, s25, 3
	s_cmp_eq_u32 s6, 0
	s_cbranch_scc1 .LBB125_41
.LBB125_39:
	s_lshl_b32 s2, s24, 2
	s_add_u32 s2, s20, s2
	s_addc_u32 s3, s21, 0
	s_add_u32 s2, s2, 0xc4
	s_addc_u32 s3, s3, 0
	s_mul_i32 s4, s24, 12
	s_add_u32 s4, s20, s4
	s_addc_u32 s5, s21, 0
.LBB125_40:                             ; =>This Inner Loop Header: Depth=1
	s_waitcnt lgkmcnt(0)
	s_load_dwordx2 s[8:9], s[4:5], 0x4
	s_load_dword s7, s[4:5], 0xc
	s_add_u32 s4, s4, 12
	s_addc_u32 s5, s5, 0
	s_waitcnt lgkmcnt(0)
	v_mul_hi_u32 v4, s9, v2
	s_load_dword s9, s[2:3], 0x0
	s_add_u32 s2, s2, 4
	s_addc_u32 s3, s3, 0
	v_add_u32_e32 v4, v2, v4
	v_lshrrev_b32_e32 v4, s7, v4
	v_mul_lo_u32 v5, v4, s8
	s_add_i32 s6, s6, -1
	s_cmp_lg_u32 s6, 0
	v_sub_u32_e32 v2, v2, v5
	s_waitcnt lgkmcnt(0)
	v_mad_u64_u32 v[1:2], s[8:9], v2, s9, v[1:2]
	v_mov_b32_e32 v2, v4
	s_cbranch_scc1 .LBB125_40
.LBB125_41:
	s_cbranch_execnz .LBB125_44
.LBB125_42:
	s_load_dwordx4 s[4:7], s[20:21], 0x4
	s_load_dword s2, s[20:21], 0xc4
	s_cmp_lt_u32 s33, 2
	s_waitcnt lgkmcnt(0)
	v_mul_hi_u32 v1, s5, v3
	v_add_u32_e32 v1, v3, v1
	v_lshrrev_b32_e32 v2, s6, v1
	v_mul_lo_u32 v1, v2, s4
	v_sub_u32_e32 v1, v3, v1
	v_mul_lo_u32 v1, v1, s2
	s_cbranch_scc1 .LBB125_44
; %bb.43:
	s_load_dwordx4 s[4:7], s[20:21], 0x10
	s_load_dword s2, s[20:21], 0xc8
	s_waitcnt lgkmcnt(0)
	v_mul_hi_u32 v3, s5, v2
	v_add_u32_e32 v3, v2, v3
	v_lshrrev_b32_e32 v3, s6, v3
	v_mul_lo_u32 v3, v3, s4
	v_sub_u32_e32 v2, v2, v3
	v_mad_u64_u32 v[1:2], s[2:3], v2, s2, v[1:2]
.LBB125_44:
	s_and_b64 vcc, exec, s[0:1]
	v_add_u32_e32 v4, 0x100, v7
	s_cbranch_vccnz .LBB125_50
; %bb.45:
	s_cmp_lg_u32 s33, 0
	s_mov_b32 s24, 0
	s_cbranch_scc0 .LBB125_51
; %bb.46:
	s_min_u32 s25, s46, 15
	s_add_i32 s25, s25, 1
	s_cmp_eq_u32 s46, 2
	s_cbranch_scc1 .LBB125_52
; %bb.47:
	s_and_b32 s24, s25, 28
	s_add_u32 s2, s20, 0xc4
	s_addc_u32 s3, s21, 0
	s_waitcnt lgkmcnt(0)
	s_mov_b32 s26, 0
	v_mov_b32_e32 v2, 0
	s_mov_b64 s[22:23], s[20:21]
	v_mov_b32_e32 v3, v4
.LBB125_48:                             ; =>This Inner Loop Header: Depth=1
	s_load_dwordx8 s[4:11], s[22:23], 0x4
	s_load_dwordx4 s[12:15], s[22:23], 0x24
	s_load_dwordx4 s[16:19], s[2:3], 0x0
	s_add_u32 s22, s22, 48
	s_addc_u32 s23, s23, 0
	s_waitcnt lgkmcnt(0)
	v_mul_hi_u32 v5, s5, v3
	s_add_i32 s26, s26, 4
	s_add_u32 s2, s2, 16
	s_addc_u32 s3, s3, 0
	v_add_u32_e32 v5, v3, v5
	v_lshrrev_b32_e32 v5, s6, v5
	v_mul_lo_u32 v6, v5, s4
	v_mul_hi_u32 v8, s8, v5
	s_cmp_lg_u32 s24, s26
	v_sub_u32_e32 v3, v3, v6
	v_add_u32_e32 v6, v5, v8
	v_lshrrev_b32_e32 v6, s9, v6
	v_mul_lo_u32 v8, v3, s16
	v_mul_hi_u32 v3, s11, v6
	v_mul_lo_u32 v11, v6, s7
	v_add_u32_e32 v3, v6, v3
	v_lshrrev_b32_e32 v10, s12, v3
	v_mul_hi_u32 v3, s14, v10
	v_sub_u32_e32 v5, v5, v11
	v_mul_lo_u32 v11, v10, s10
	v_mul_lo_u32 v5, v5, s17
	v_add_u32_e32 v3, v10, v3
	v_lshrrev_b32_e32 v3, s15, v3
	v_mul_lo_u32 v12, v3, s13
	v_sub_u32_e32 v6, v6, v11
	v_mul_lo_u32 v6, v6, s18
	v_add3_u32 v2, v8, v2, v5
	v_sub_u32_e32 v10, v10, v12
	v_mul_lo_u32 v10, v10, s19
	v_add3_u32 v2, v6, v2, v10
	s_cbranch_scc1 .LBB125_48
; %bb.49:
	s_and_b32 s6, s25, 3
	s_cmp_eq_u32 s6, 0
	s_cbranch_scc0 .LBB125_53
	s_branch .LBB125_55
.LBB125_50:
                                        ; implicit-def: $vgpr2
	s_branch .LBB125_56
.LBB125_51:
	v_mov_b32_e32 v2, 0
	s_branch .LBB125_55
.LBB125_52:
	v_mov_b32_e32 v2, 0
	v_mov_b32_e32 v3, v4
	s_and_b32 s6, s25, 3
	s_cmp_eq_u32 s6, 0
	s_cbranch_scc1 .LBB125_55
.LBB125_53:
	s_lshl_b32 s2, s24, 2
	s_add_u32 s2, s20, s2
	s_addc_u32 s3, s21, 0
	s_add_u32 s2, s2, 0xc4
	s_addc_u32 s3, s3, 0
	s_mul_i32 s4, s24, 12
	s_add_u32 s4, s20, s4
	s_addc_u32 s5, s21, 0
.LBB125_54:                             ; =>This Inner Loop Header: Depth=1
	s_waitcnt lgkmcnt(0)
	s_load_dwordx2 s[8:9], s[4:5], 0x4
	s_load_dword s7, s[4:5], 0xc
	s_add_u32 s4, s4, 12
	s_addc_u32 s5, s5, 0
	s_waitcnt lgkmcnt(0)
	v_mul_hi_u32 v5, s9, v3
	s_load_dword s9, s[2:3], 0x0
	s_add_u32 s2, s2, 4
	s_addc_u32 s3, s3, 0
	v_add_u32_e32 v5, v3, v5
	v_lshrrev_b32_e32 v5, s7, v5
	v_mul_lo_u32 v6, v5, s8
	s_add_i32 s6, s6, -1
	s_cmp_lg_u32 s6, 0
	v_sub_u32_e32 v3, v3, v6
	s_waitcnt lgkmcnt(0)
	v_mad_u64_u32 v[2:3], s[8:9], v3, s9, v[2:3]
	v_mov_b32_e32 v3, v5
	s_cbranch_scc1 .LBB125_54
.LBB125_55:
	s_cbranch_execnz .LBB125_58
.LBB125_56:
	s_load_dwordx4 s[4:7], s[20:21], 0x4
	s_load_dword s2, s[20:21], 0xc4
	s_cmp_lt_u32 s33, 2
	s_waitcnt lgkmcnt(0)
	v_mul_hi_u32 v2, s5, v4
	v_add_u32_e32 v2, v4, v2
	v_lshrrev_b32_e32 v3, s6, v2
	v_mul_lo_u32 v2, v3, s4
	v_sub_u32_e32 v2, v4, v2
	v_mul_lo_u32 v2, v2, s2
	s_cbranch_scc1 .LBB125_58
; %bb.57:
	s_load_dwordx4 s[4:7], s[20:21], 0x10
	s_load_dword s2, s[20:21], 0xc8
	s_waitcnt lgkmcnt(0)
	v_mul_hi_u32 v4, s5, v3
	v_add_u32_e32 v4, v3, v4
	v_lshrrev_b32_e32 v4, s6, v4
	v_mul_lo_u32 v4, v4, s4
	v_sub_u32_e32 v3, v3, v4
	v_mad_u64_u32 v[2:3], s[2:3], v3, s2, v[2:3]
.LBB125_58:
	s_and_b64 vcc, exec, s[0:1]
	v_add_u32_e32 v5, 0x180, v7
	s_cbranch_vccnz .LBB125_64
; %bb.59:
	s_cmp_lg_u32 s33, 0
	s_mov_b32 s24, 0
	s_cbranch_scc0 .LBB125_65
; %bb.60:
	s_min_u32 s25, s46, 15
	s_add_i32 s25, s25, 1
	s_cmp_eq_u32 s46, 2
	s_cbranch_scc1 .LBB125_66
; %bb.61:
	s_and_b32 s24, s25, 28
	s_add_u32 s2, s20, 0xc4
	s_addc_u32 s3, s21, 0
	s_waitcnt lgkmcnt(0)
	s_mov_b32 s26, 0
	v_mov_b32_e32 v3, 0
	s_mov_b64 s[22:23], s[20:21]
	v_mov_b32_e32 v4, v5
.LBB125_62:                             ; =>This Inner Loop Header: Depth=1
	s_load_dwordx8 s[4:11], s[22:23], 0x4
	s_load_dwordx4 s[12:15], s[22:23], 0x24
	s_load_dwordx4 s[16:19], s[2:3], 0x0
	s_add_u32 s22, s22, 48
	s_addc_u32 s23, s23, 0
	s_waitcnt lgkmcnt(0)
	v_mul_hi_u32 v6, s5, v4
	s_add_i32 s26, s26, 4
	s_add_u32 s2, s2, 16
	s_addc_u32 s3, s3, 0
	v_add_u32_e32 v6, v4, v6
	v_lshrrev_b32_e32 v6, s6, v6
	v_mul_lo_u32 v8, v6, s4
	v_mul_hi_u32 v10, s8, v6
	s_cmp_lg_u32 s24, s26
	v_sub_u32_e32 v4, v4, v8
	v_add_u32_e32 v8, v6, v10
	v_lshrrev_b32_e32 v8, s9, v8
	v_mul_lo_u32 v10, v4, s16
	v_mul_hi_u32 v4, s11, v8
	v_mul_lo_u32 v12, v8, s7
	v_add_u32_e32 v4, v8, v4
	v_lshrrev_b32_e32 v11, s12, v4
	v_mul_hi_u32 v4, s14, v11
	v_sub_u32_e32 v6, v6, v12
	v_mul_lo_u32 v12, v11, s10
	v_mul_lo_u32 v6, v6, s17
	v_add_u32_e32 v4, v11, v4
	v_lshrrev_b32_e32 v4, s15, v4
	v_mul_lo_u32 v13, v4, s13
	v_sub_u32_e32 v8, v8, v12
	v_mul_lo_u32 v8, v8, s18
	v_add3_u32 v3, v10, v3, v6
	v_sub_u32_e32 v11, v11, v13
	v_mul_lo_u32 v11, v11, s19
	v_add3_u32 v3, v8, v3, v11
	s_cbranch_scc1 .LBB125_62
; %bb.63:
	s_and_b32 s6, s25, 3
	s_cmp_eq_u32 s6, 0
	s_cbranch_scc0 .LBB125_67
	s_branch .LBB125_69
.LBB125_64:
                                        ; implicit-def: $vgpr3
	s_branch .LBB125_70
.LBB125_65:
	v_mov_b32_e32 v3, 0
	s_branch .LBB125_69
.LBB125_66:
	v_mov_b32_e32 v3, 0
	v_mov_b32_e32 v4, v5
	s_and_b32 s6, s25, 3
	s_cmp_eq_u32 s6, 0
	s_cbranch_scc1 .LBB125_69
.LBB125_67:
	s_lshl_b32 s2, s24, 2
	s_add_u32 s2, s20, s2
	s_addc_u32 s3, s21, 0
	s_add_u32 s2, s2, 0xc4
	s_addc_u32 s3, s3, 0
	s_mul_i32 s4, s24, 12
	s_add_u32 s4, s20, s4
	s_addc_u32 s5, s21, 0
.LBB125_68:                             ; =>This Inner Loop Header: Depth=1
	s_waitcnt lgkmcnt(0)
	s_load_dwordx2 s[8:9], s[4:5], 0x4
	s_load_dword s7, s[4:5], 0xc
	s_add_u32 s4, s4, 12
	s_addc_u32 s5, s5, 0
	s_waitcnt lgkmcnt(0)
	v_mul_hi_u32 v6, s9, v4
	s_load_dword s9, s[2:3], 0x0
	s_add_u32 s2, s2, 4
	s_addc_u32 s3, s3, 0
	v_add_u32_e32 v6, v4, v6
	v_lshrrev_b32_e32 v6, s7, v6
	v_mul_lo_u32 v8, v6, s8
	s_add_i32 s6, s6, -1
	s_cmp_lg_u32 s6, 0
	v_sub_u32_e32 v4, v4, v8
	s_waitcnt lgkmcnt(0)
	v_mad_u64_u32 v[3:4], s[8:9], v4, s9, v[3:4]
	v_mov_b32_e32 v4, v6
	s_cbranch_scc1 .LBB125_68
.LBB125_69:
	s_cbranch_execnz .LBB125_72
.LBB125_70:
	s_load_dwordx4 s[4:7], s[20:21], 0x4
	s_load_dword s2, s[20:21], 0xc4
	s_cmp_lt_u32 s33, 2
	s_waitcnt lgkmcnt(0)
	v_mul_hi_u32 v3, s5, v5
	v_add_u32_e32 v3, v5, v3
	v_lshrrev_b32_e32 v4, s6, v3
	v_mul_lo_u32 v3, v4, s4
	v_sub_u32_e32 v3, v5, v3
	v_mul_lo_u32 v3, v3, s2
	s_cbranch_scc1 .LBB125_72
; %bb.71:
	s_load_dwordx4 s[4:7], s[20:21], 0x10
	s_load_dword s2, s[20:21], 0xc8
	s_waitcnt lgkmcnt(0)
	v_mul_hi_u32 v5, s5, v4
	v_add_u32_e32 v5, v4, v5
	v_lshrrev_b32_e32 v5, s6, v5
	v_mul_lo_u32 v5, v5, s4
	v_sub_u32_e32 v4, v4, v5
	v_mad_u64_u32 v[3:4], s[2:3], v4, s2, v[3:4]
.LBB125_72:
	s_and_b64 vcc, exec, s[0:1]
	v_add_u32_e32 v6, 0x200, v7
	s_cbranch_vccnz .LBB125_78
; %bb.73:
	s_cmp_lg_u32 s33, 0
	s_mov_b32 s24, 0
	s_cbranch_scc0 .LBB125_79
; %bb.74:
	s_min_u32 s25, s46, 15
	s_add_i32 s25, s25, 1
	s_cmp_eq_u32 s46, 2
	s_cbranch_scc1 .LBB125_80
; %bb.75:
	s_and_b32 s24, s25, 28
	s_add_u32 s2, s20, 0xc4
	s_addc_u32 s3, s21, 0
	s_waitcnt lgkmcnt(0)
	s_mov_b32 s26, 0
	v_mov_b32_e32 v4, 0
	s_mov_b64 s[22:23], s[20:21]
	v_mov_b32_e32 v5, v6
.LBB125_76:                             ; =>This Inner Loop Header: Depth=1
	s_load_dwordx8 s[4:11], s[22:23], 0x4
	s_load_dwordx4 s[12:15], s[22:23], 0x24
	s_load_dwordx4 s[16:19], s[2:3], 0x0
	s_add_u32 s22, s22, 48
	s_addc_u32 s23, s23, 0
	s_waitcnt lgkmcnt(0)
	v_mul_hi_u32 v8, s5, v5
	s_add_i32 s26, s26, 4
	s_add_u32 s2, s2, 16
	s_addc_u32 s3, s3, 0
	v_add_u32_e32 v8, v5, v8
	v_lshrrev_b32_e32 v8, s6, v8
	v_mul_lo_u32 v10, v8, s4
	v_mul_hi_u32 v11, s8, v8
	s_cmp_lg_u32 s24, s26
	v_sub_u32_e32 v5, v5, v10
	v_add_u32_e32 v10, v8, v11
	v_lshrrev_b32_e32 v10, s9, v10
	v_mul_lo_u32 v11, v5, s16
	v_mul_hi_u32 v5, s11, v10
	v_mul_lo_u32 v13, v10, s7
	v_add_u32_e32 v5, v10, v5
	v_lshrrev_b32_e32 v12, s12, v5
	v_mul_hi_u32 v5, s14, v12
	v_sub_u32_e32 v8, v8, v13
	v_mul_lo_u32 v13, v12, s10
	v_mul_lo_u32 v8, v8, s17
	v_add_u32_e32 v5, v12, v5
	v_lshrrev_b32_e32 v5, s15, v5
	v_mul_lo_u32 v14, v5, s13
	v_sub_u32_e32 v10, v10, v13
	v_mul_lo_u32 v10, v10, s18
	v_add3_u32 v4, v11, v4, v8
	v_sub_u32_e32 v12, v12, v14
	v_mul_lo_u32 v12, v12, s19
	v_add3_u32 v4, v10, v4, v12
	s_cbranch_scc1 .LBB125_76
; %bb.77:
	s_and_b32 s6, s25, 3
	s_cmp_eq_u32 s6, 0
	s_cbranch_scc0 .LBB125_81
	s_branch .LBB125_83
.LBB125_78:
                                        ; implicit-def: $vgpr4
	s_branch .LBB125_84
.LBB125_79:
	v_mov_b32_e32 v4, 0
	s_branch .LBB125_83
.LBB125_80:
	v_mov_b32_e32 v4, 0
	v_mov_b32_e32 v5, v6
	s_and_b32 s6, s25, 3
	s_cmp_eq_u32 s6, 0
	s_cbranch_scc1 .LBB125_83
.LBB125_81:
	s_lshl_b32 s2, s24, 2
	s_add_u32 s2, s20, s2
	s_addc_u32 s3, s21, 0
	s_add_u32 s2, s2, 0xc4
	s_addc_u32 s3, s3, 0
	s_mul_i32 s4, s24, 12
	s_add_u32 s4, s20, s4
	s_addc_u32 s5, s21, 0
.LBB125_82:                             ; =>This Inner Loop Header: Depth=1
	s_waitcnt lgkmcnt(0)
	s_load_dwordx2 s[8:9], s[4:5], 0x4
	s_load_dword s7, s[4:5], 0xc
	s_add_u32 s4, s4, 12
	s_addc_u32 s5, s5, 0
	s_waitcnt lgkmcnt(0)
	v_mul_hi_u32 v8, s9, v5
	s_load_dword s9, s[2:3], 0x0
	s_add_u32 s2, s2, 4
	s_addc_u32 s3, s3, 0
	v_add_u32_e32 v8, v5, v8
	v_lshrrev_b32_e32 v8, s7, v8
	v_mul_lo_u32 v10, v8, s8
	s_add_i32 s6, s6, -1
	s_cmp_lg_u32 s6, 0
	v_sub_u32_e32 v5, v5, v10
	s_waitcnt lgkmcnt(0)
	v_mad_u64_u32 v[4:5], s[8:9], v5, s9, v[4:5]
	v_mov_b32_e32 v5, v8
	s_cbranch_scc1 .LBB125_82
.LBB125_83:
	s_cbranch_execnz .LBB125_86
.LBB125_84:
	s_load_dwordx4 s[4:7], s[20:21], 0x4
	s_load_dword s2, s[20:21], 0xc4
	s_cmp_lt_u32 s33, 2
	s_waitcnt lgkmcnt(0)
	v_mul_hi_u32 v4, s5, v6
	v_add_u32_e32 v4, v6, v4
	v_lshrrev_b32_e32 v5, s6, v4
	v_mul_lo_u32 v4, v5, s4
	v_sub_u32_e32 v4, v6, v4
	v_mul_lo_u32 v4, v4, s2
	s_cbranch_scc1 .LBB125_86
; %bb.85:
	s_load_dwordx4 s[4:7], s[20:21], 0x10
	s_load_dword s2, s[20:21], 0xc8
	s_waitcnt lgkmcnt(0)
	v_mul_hi_u32 v6, s5, v5
	v_add_u32_e32 v6, v5, v6
	v_lshrrev_b32_e32 v6, s6, v6
	v_mul_lo_u32 v6, v6, s4
	v_sub_u32_e32 v5, v5, v6
	v_mad_u64_u32 v[4:5], s[2:3], v5, s2, v[4:5]
.LBB125_86:
	s_and_b64 vcc, exec, s[0:1]
	v_add_u32_e32 v8, 0x280, v7
	s_cbranch_vccnz .LBB125_92
; %bb.87:
	s_cmp_lg_u32 s33, 0
	s_mov_b32 s24, 0
	s_cbranch_scc0 .LBB125_93
; %bb.88:
	s_min_u32 s25, s46, 15
	s_add_i32 s25, s25, 1
	s_cmp_eq_u32 s46, 2
	s_cbranch_scc1 .LBB125_94
; %bb.89:
	s_and_b32 s24, s25, 28
	s_add_u32 s2, s20, 0xc4
	s_addc_u32 s3, s21, 0
	s_waitcnt lgkmcnt(0)
	s_mov_b32 s26, 0
	v_mov_b32_e32 v5, 0
	s_mov_b64 s[22:23], s[20:21]
	v_mov_b32_e32 v6, v8
.LBB125_90:                             ; =>This Inner Loop Header: Depth=1
	s_load_dwordx8 s[4:11], s[22:23], 0x4
	s_load_dwordx4 s[12:15], s[22:23], 0x24
	s_load_dwordx4 s[16:19], s[2:3], 0x0
	s_add_u32 s22, s22, 48
	s_addc_u32 s23, s23, 0
	s_waitcnt lgkmcnt(0)
	v_mul_hi_u32 v10, s5, v6
	s_add_i32 s26, s26, 4
	s_add_u32 s2, s2, 16
	s_addc_u32 s3, s3, 0
	v_add_u32_e32 v10, v6, v10
	v_lshrrev_b32_e32 v10, s6, v10
	v_mul_lo_u32 v11, v10, s4
	v_mul_hi_u32 v12, s8, v10
	s_cmp_lg_u32 s24, s26
	v_sub_u32_e32 v6, v6, v11
	v_add_u32_e32 v11, v10, v12
	v_lshrrev_b32_e32 v11, s9, v11
	v_mul_lo_u32 v12, v6, s16
	v_mul_hi_u32 v6, s11, v11
	v_mul_lo_u32 v14, v11, s7
	v_add_u32_e32 v6, v11, v6
	v_lshrrev_b32_e32 v13, s12, v6
	v_mul_hi_u32 v6, s14, v13
	v_sub_u32_e32 v10, v10, v14
	v_mul_lo_u32 v14, v13, s10
	v_mul_lo_u32 v10, v10, s17
	v_add_u32_e32 v6, v13, v6
	v_lshrrev_b32_e32 v6, s15, v6
	v_mul_lo_u32 v15, v6, s13
	v_sub_u32_e32 v11, v11, v14
	v_mul_lo_u32 v11, v11, s18
	v_add3_u32 v5, v12, v5, v10
	v_sub_u32_e32 v13, v13, v15
	v_mul_lo_u32 v13, v13, s19
	v_add3_u32 v5, v11, v5, v13
	s_cbranch_scc1 .LBB125_90
; %bb.91:
	s_and_b32 s6, s25, 3
	s_cmp_eq_u32 s6, 0
	s_cbranch_scc0 .LBB125_95
	s_branch .LBB125_97
.LBB125_92:
                                        ; implicit-def: $vgpr5
	s_branch .LBB125_98
.LBB125_93:
	v_mov_b32_e32 v5, 0
	s_branch .LBB125_97
.LBB125_94:
	v_mov_b32_e32 v5, 0
	v_mov_b32_e32 v6, v8
	s_and_b32 s6, s25, 3
	s_cmp_eq_u32 s6, 0
	s_cbranch_scc1 .LBB125_97
.LBB125_95:
	s_lshl_b32 s2, s24, 2
	s_add_u32 s2, s20, s2
	s_addc_u32 s3, s21, 0
	s_add_u32 s2, s2, 0xc4
	s_addc_u32 s3, s3, 0
	s_mul_i32 s4, s24, 12
	s_add_u32 s4, s20, s4
	s_addc_u32 s5, s21, 0
.LBB125_96:                             ; =>This Inner Loop Header: Depth=1
	s_waitcnt lgkmcnt(0)
	s_load_dwordx2 s[8:9], s[4:5], 0x4
	s_load_dword s7, s[4:5], 0xc
	s_add_u32 s4, s4, 12
	s_addc_u32 s5, s5, 0
	s_waitcnt lgkmcnt(0)
	v_mul_hi_u32 v10, s9, v6
	s_load_dword s9, s[2:3], 0x0
	s_add_u32 s2, s2, 4
	s_addc_u32 s3, s3, 0
	v_add_u32_e32 v10, v6, v10
	v_lshrrev_b32_e32 v10, s7, v10
	v_mul_lo_u32 v11, v10, s8
	s_add_i32 s6, s6, -1
	s_cmp_lg_u32 s6, 0
	v_sub_u32_e32 v6, v6, v11
	s_waitcnt lgkmcnt(0)
	v_mad_u64_u32 v[5:6], s[8:9], v6, s9, v[5:6]
	v_mov_b32_e32 v6, v10
	s_cbranch_scc1 .LBB125_96
.LBB125_97:
	s_cbranch_execnz .LBB125_100
.LBB125_98:
	s_load_dwordx4 s[4:7], s[20:21], 0x4
	s_load_dword s2, s[20:21], 0xc4
	s_cmp_lt_u32 s33, 2
	s_waitcnt lgkmcnt(0)
	v_mul_hi_u32 v5, s5, v8
	v_add_u32_e32 v5, v8, v5
	v_lshrrev_b32_e32 v6, s6, v5
	v_mul_lo_u32 v5, v6, s4
	v_sub_u32_e32 v5, v8, v5
	v_mul_lo_u32 v5, v5, s2
	s_cbranch_scc1 .LBB125_100
; %bb.99:
	s_load_dwordx4 s[4:7], s[20:21], 0x10
	s_load_dword s2, s[20:21], 0xc8
	s_waitcnt lgkmcnt(0)
	v_mul_hi_u32 v8, s5, v6
	v_add_u32_e32 v8, v6, v8
	v_lshrrev_b32_e32 v8, s6, v8
	v_mul_lo_u32 v8, v8, s4
	v_sub_u32_e32 v6, v6, v8
	v_mad_u64_u32 v[5:6], s[2:3], v6, s2, v[5:6]
.LBB125_100:
	s_and_b64 vcc, exec, s[0:1]
	v_add_u32_e32 v8, 0x300, v7
	s_cbranch_vccnz .LBB125_106
; %bb.101:
	s_cmp_lg_u32 s33, 0
	s_mov_b32 s24, 0
	s_cbranch_scc0 .LBB125_107
; %bb.102:
	s_min_u32 s25, s46, 15
	s_add_i32 s25, s25, 1
	s_cmp_eq_u32 s46, 2
	s_cbranch_scc1 .LBB125_108
; %bb.103:
	s_and_b32 s24, s25, 28
	s_add_u32 s2, s20, 0xc4
	s_addc_u32 s3, s21, 0
	s_waitcnt lgkmcnt(0)
	s_mov_b32 s26, 0
	v_mov_b32_e32 v6, 0
	s_mov_b64 s[22:23], s[20:21]
	v_mov_b32_e32 v7, v8
.LBB125_104:                            ; =>This Inner Loop Header: Depth=1
	s_load_dwordx8 s[4:11], s[22:23], 0x4
	s_load_dwordx4 s[12:15], s[22:23], 0x24
	s_load_dwordx4 s[16:19], s[2:3], 0x0
	s_add_u32 s22, s22, 48
	s_addc_u32 s23, s23, 0
	s_waitcnt lgkmcnt(0)
	v_mul_hi_u32 v10, s5, v7
	s_add_i32 s26, s26, 4
	s_add_u32 s2, s2, 16
	s_addc_u32 s3, s3, 0
	v_add_u32_e32 v10, v7, v10
	v_lshrrev_b32_e32 v10, s6, v10
	v_mul_lo_u32 v11, v10, s4
	v_mul_hi_u32 v12, s8, v10
	s_cmp_lg_u32 s24, s26
	v_sub_u32_e32 v7, v7, v11
	v_add_u32_e32 v11, v10, v12
	v_lshrrev_b32_e32 v11, s9, v11
	v_mul_lo_u32 v12, v7, s16
	v_mul_hi_u32 v7, s11, v11
	v_mul_lo_u32 v14, v11, s7
	v_add_u32_e32 v7, v11, v7
	v_lshrrev_b32_e32 v13, s12, v7
	v_mul_hi_u32 v7, s14, v13
	v_sub_u32_e32 v10, v10, v14
	v_mul_lo_u32 v14, v13, s10
	v_mul_lo_u32 v10, v10, s17
	v_add_u32_e32 v7, v13, v7
	v_lshrrev_b32_e32 v7, s15, v7
	v_mul_lo_u32 v15, v7, s13
	v_sub_u32_e32 v11, v11, v14
	v_mul_lo_u32 v11, v11, s18
	v_add3_u32 v6, v12, v6, v10
	v_sub_u32_e32 v13, v13, v15
	v_mul_lo_u32 v13, v13, s19
	v_add3_u32 v6, v11, v6, v13
	s_cbranch_scc1 .LBB125_104
; %bb.105:
	s_and_b32 s6, s25, 3
	s_cmp_eq_u32 s6, 0
	s_cbranch_scc0 .LBB125_109
	s_branch .LBB125_111
.LBB125_106:
                                        ; implicit-def: $vgpr6
	s_branch .LBB125_112
.LBB125_107:
	v_mov_b32_e32 v6, 0
	s_branch .LBB125_111
.LBB125_108:
	v_mov_b32_e32 v6, 0
	v_mov_b32_e32 v7, v8
	s_and_b32 s6, s25, 3
	s_cmp_eq_u32 s6, 0
	s_cbranch_scc1 .LBB125_111
.LBB125_109:
	s_lshl_b32 s2, s24, 2
	s_add_u32 s2, s20, s2
	s_addc_u32 s3, s21, 0
	s_add_u32 s2, s2, 0xc4
	s_addc_u32 s3, s3, 0
	s_mul_i32 s4, s24, 12
	s_add_u32 s4, s20, s4
	s_addc_u32 s5, s21, 0
.LBB125_110:                            ; =>This Inner Loop Header: Depth=1
	s_waitcnt lgkmcnt(0)
	s_load_dwordx2 s[8:9], s[4:5], 0x4
	s_load_dword s7, s[4:5], 0xc
	s_add_u32 s4, s4, 12
	s_addc_u32 s5, s5, 0
	s_waitcnt lgkmcnt(0)
	v_mul_hi_u32 v10, s9, v7
	s_load_dword s9, s[2:3], 0x0
	s_add_u32 s2, s2, 4
	s_addc_u32 s3, s3, 0
	v_add_u32_e32 v10, v7, v10
	v_lshrrev_b32_e32 v10, s7, v10
	v_mul_lo_u32 v11, v10, s8
	s_add_i32 s6, s6, -1
	s_cmp_lg_u32 s6, 0
	v_sub_u32_e32 v7, v7, v11
	s_waitcnt lgkmcnt(0)
	v_mad_u64_u32 v[6:7], s[8:9], v7, s9, v[6:7]
	v_mov_b32_e32 v7, v10
	s_cbranch_scc1 .LBB125_110
.LBB125_111:
	s_cbranch_execnz .LBB125_114
.LBB125_112:
	s_load_dwordx4 s[4:7], s[20:21], 0x4
	s_load_dword s2, s[20:21], 0xc4
	s_cmp_lt_u32 s33, 2
	s_waitcnt lgkmcnt(0)
	v_mul_hi_u32 v6, s5, v8
	v_add_u32_e32 v6, v8, v6
	v_lshrrev_b32_e32 v7, s6, v6
	v_mul_lo_u32 v6, v7, s4
	v_sub_u32_e32 v6, v8, v6
	v_mul_lo_u32 v6, v6, s2
	s_cbranch_scc1 .LBB125_114
; %bb.113:
	s_load_dwordx4 s[4:7], s[20:21], 0x10
	s_load_dword s2, s[20:21], 0xc8
	s_waitcnt lgkmcnt(0)
	v_mul_hi_u32 v8, s5, v7
	v_add_u32_e32 v8, v7, v8
	v_lshrrev_b32_e32 v8, s6, v8
	v_mul_lo_u32 v8, v8, s4
	v_sub_u32_e32 v7, v7, v8
	v_mad_u64_u32 v[6:7], s[2:3], v7, s2, v[6:7]
.LBB125_114:
	s_and_b64 vcc, exec, s[0:1]
	s_cbranch_vccnz .LBB125_120
; %bb.115:
	s_cmp_lg_u32 s33, 0
	s_mov_b32 s22, 0
	s_cbranch_scc0 .LBB125_121
; %bb.116:
	s_min_u32 s23, s46, 15
	s_add_i32 s23, s23, 1
	s_cmp_eq_u32 s46, 2
	s_cbranch_scc1 .LBB125_122
; %bb.117:
	s_and_b32 s22, s23, 28
	s_add_u32 s16, s20, 0xc4
	s_addc_u32 s17, s21, 0
	s_mov_b32 s24, 0
	v_mov_b32_e32 v7, 0
	s_mov_b64 s[18:19], s[20:21]
	v_mov_b32_e32 v8, v9
.LBB125_118:                            ; =>This Inner Loop Header: Depth=1
	s_load_dwordx8 s[0:7], s[18:19], 0x4
	s_waitcnt lgkmcnt(0)
	s_load_dwordx4 s[8:11], s[18:19], 0x24
	s_load_dwordx4 s[12:15], s[16:17], 0x0
	s_add_u32 s18, s18, 48
	s_addc_u32 s19, s19, 0
	v_mul_hi_u32 v10, s1, v8
	s_add_i32 s24, s24, 4
	s_add_u32 s16, s16, 16
	s_addc_u32 s17, s17, 0
	v_add_u32_e32 v10, v8, v10
	v_lshrrev_b32_e32 v10, s2, v10
	v_mul_lo_u32 v11, v10, s0
	v_mul_hi_u32 v12, s4, v10
	s_cmp_lg_u32 s22, s24
	v_sub_u32_e32 v8, v8, v11
	v_add_u32_e32 v11, v10, v12
	v_lshrrev_b32_e32 v11, s5, v11
	s_waitcnt lgkmcnt(0)
	v_mul_lo_u32 v12, v8, s12
	v_mul_hi_u32 v8, s7, v11
	v_mul_lo_u32 v14, v11, s3
	v_add_u32_e32 v8, v11, v8
	v_lshrrev_b32_e32 v13, s8, v8
	v_mul_hi_u32 v8, s10, v13
	v_sub_u32_e32 v10, v10, v14
	v_mul_lo_u32 v14, v13, s6
	v_mul_lo_u32 v10, v10, s13
	v_add_u32_e32 v8, v13, v8
	v_lshrrev_b32_e32 v8, s11, v8
	v_mul_lo_u32 v15, v8, s9
	v_sub_u32_e32 v11, v11, v14
	v_mul_lo_u32 v11, v11, s14
	v_add3_u32 v7, v12, v7, v10
	v_sub_u32_e32 v13, v13, v15
	v_mul_lo_u32 v13, v13, s15
	v_add3_u32 v7, v11, v7, v13
	s_cbranch_scc1 .LBB125_118
; %bb.119:
	s_and_b32 s4, s23, 3
	s_cmp_eq_u32 s4, 0
	s_cbranch_scc0 .LBB125_123
	s_branch .LBB125_125
.LBB125_120:
                                        ; implicit-def: $vgpr7
	s_branch .LBB125_126
.LBB125_121:
	v_mov_b32_e32 v7, 0
	s_branch .LBB125_125
.LBB125_122:
	v_mov_b32_e32 v7, 0
	v_mov_b32_e32 v8, v9
	s_and_b32 s4, s23, 3
	s_cmp_eq_u32 s4, 0
	s_cbranch_scc1 .LBB125_125
.LBB125_123:
	s_lshl_b32 s0, s22, 2
	s_add_u32 s0, s20, s0
	s_addc_u32 s1, s21, 0
	s_add_u32 s0, s0, 0xc4
	s_addc_u32 s1, s1, 0
	s_mul_i32 s2, s22, 12
	s_add_u32 s2, s20, s2
	s_addc_u32 s3, s21, 0
.LBB125_124:                            ; =>This Inner Loop Header: Depth=1
	s_load_dwordx2 s[6:7], s[2:3], 0x4
	s_load_dword s5, s[2:3], 0xc
	s_add_u32 s2, s2, 12
	s_addc_u32 s3, s3, 0
	s_waitcnt lgkmcnt(0)
	v_mul_hi_u32 v10, s7, v8
	s_load_dword s7, s[0:1], 0x0
	s_add_u32 s0, s0, 4
	s_addc_u32 s1, s1, 0
	v_add_u32_e32 v10, v8, v10
	v_lshrrev_b32_e32 v10, s5, v10
	v_mul_lo_u32 v11, v10, s6
	s_add_i32 s4, s4, -1
	s_cmp_lg_u32 s4, 0
	v_sub_u32_e32 v8, v8, v11
	s_waitcnt lgkmcnt(0)
	v_mad_u64_u32 v[7:8], s[6:7], v8, s7, v[7:8]
	v_mov_b32_e32 v8, v10
	s_cbranch_scc1 .LBB125_124
.LBB125_125:
	s_cbranch_execnz .LBB125_128
.LBB125_126:
	s_load_dwordx4 s[0:3], s[20:21], 0x4
	s_waitcnt lgkmcnt(0)
	s_load_dword s3, s[20:21], 0xc4
	s_cmp_lt_u32 s33, 2
	v_mul_hi_u32 v7, s1, v9
	v_add_u32_e32 v7, v9, v7
	v_lshrrev_b32_e32 v8, s2, v7
	v_mul_lo_u32 v7, v8, s0
	v_sub_u32_e32 v7, v9, v7
	s_waitcnt lgkmcnt(0)
	v_mul_lo_u32 v7, v7, s3
	s_cbranch_scc1 .LBB125_128
; %bb.127:
	s_load_dwordx4 s[0:3], s[20:21], 0x10
	s_waitcnt lgkmcnt(0)
	s_load_dword s3, s[20:21], 0xc8
	v_mul_hi_u32 v9, s1, v8
	v_add_u32_e32 v9, v8, v9
	v_lshrrev_b32_e32 v9, s2, v9
	v_mul_lo_u32 v9, v9, s0
	v_sub_u32_e32 v8, v8, v9
	s_waitcnt lgkmcnt(0)
	v_mad_u64_u32 v[7:8], s[0:1], v8, s3, v[7:8]
.LBB125_128:
	s_load_dword s2, s[20:21], 0x110
	s_load_dwordx2 s[0:1], s[20:21], 0x108
	s_waitcnt lgkmcnt(0)
	v_mov_b32_e32 v8, s2
	s_nop 0
	global_store_byte v0, v8, s[0:1]
	global_store_byte v1, v8, s[0:1]
	;; [unrolled: 1-line block ×8, first 2 shown]
	s_endpgm
.LBB125_129:
	v_mov_b32_e32 v0, 0
	s_branch .LBB125_135
.LBB125_130:
	v_mov_b32_e32 v0, 0
	s_branch .LBB125_151
.LBB125_131:
	v_mov_b32_e32 v0, 0
	s_mov_b32 s50, 0
	v_mov_b32_e32 v1, v7
.LBB125_132:
	s_and_b32 s4, s51, 3
	s_cmp_eq_u32 s4, 0
	s_cbranch_scc1 .LBB125_135
; %bb.133:
	s_lshl_b32 s0, s50, 2
	s_add_u32 s0, s20, s0
	s_addc_u32 s1, s21, 0
	s_add_u32 s0, s0, 0xc4
	s_addc_u32 s1, s1, 0
	s_mul_i32 s2, s50, 12
	s_add_u32 s2, s20, s2
	s_addc_u32 s3, s21, 0
.LBB125_134:                            ; =>This Inner Loop Header: Depth=1
	s_load_dwordx2 s[6:7], s[2:3], 0x4
	s_load_dword s5, s[2:3], 0xc
	s_add_u32 s2, s2, 12
	s_addc_u32 s3, s3, 0
	s_waitcnt lgkmcnt(0)
	v_mul_hi_u32 v2, s7, v1
	s_load_dword s7, s[0:1], 0x0
	s_add_u32 s0, s0, 4
	s_addc_u32 s1, s1, 0
	v_add_u32_e32 v2, v1, v2
	v_lshrrev_b32_e32 v2, s5, v2
	v_mul_lo_u32 v3, v2, s6
	s_add_i32 s4, s4, -1
	s_cmp_lg_u32 s4, 0
	v_sub_u32_e32 v1, v1, v3
	s_waitcnt lgkmcnt(0)
	v_mad_u64_u32 v[0:1], s[6:7], v1, s7, v[0:1]
	v_mov_b32_e32 v1, v2
	s_cbranch_scc1 .LBB125_134
.LBB125_135:
	s_cbranch_execnz .LBB125_138
.LBB125_136:
	s_waitcnt lgkmcnt(0)
	v_mul_hi_u32 v0, s9, v7
	s_andn2_b64 vcc, exec, s[34:35]
	v_add_u32_e32 v0, v7, v0
	v_lshrrev_b32_e32 v1, s10, v0
	v_mul_lo_u32 v0, v1, s8
	v_sub_u32_e32 v0, v7, v0
	v_mul_lo_u32 v0, v0, s28
	s_cbranch_vccnz .LBB125_138
; %bb.137:
	v_mul_hi_u32 v2, s30, v1
	v_add_u32_e32 v2, v1, v2
	v_lshrrev_b32_e32 v2, s31, v2
	v_mul_lo_u32 v2, v2, s11
	v_sub_u32_e32 v1, v1, v2
	v_mad_u64_u32 v[0:1], s[0:1], v1, s29, v[0:1]
.LBB125_138:
	s_waitcnt lgkmcnt(0)
	v_mov_b32_e32 v1, s47
	v_add_u32_e32 v7, 0x80, v7
	global_store_byte v0, v1, s[26:27]
	s_or_b64 exec, exec, s[40:41]
	v_cmp_gt_i32_e32 vcc, s48, v7
	s_and_saveexec_b64 s[40:41], vcc
	s_cbranch_execnz .LBB125_15
.LBB125_139:
	s_or_b64 exec, exec, s[40:41]
	v_cmp_gt_i32_e32 vcc, s48, v7
	s_and_saveexec_b64 s[40:41], vcc
	s_cbranch_execz .LBB125_155
.LBB125_140:
	s_andn2_b64 vcc, exec, s[22:23]
	s_cbranch_vccnz .LBB125_145
; %bb.141:
	s_andn2_b64 vcc, exec, s[38:39]
	s_cbranch_vccnz .LBB125_146
; %bb.142:
	s_add_i32 s51, s49, 1
	s_cmp_eq_u32 s46, 2
	s_cbranch_scc1 .LBB125_163
; %bb.143:
	s_and_b32 s50, s51, 28
	s_mov_b32 s52, 0
	v_mov_b32_e32 v0, 0
	s_mov_b64 s[42:43], s[20:21]
	s_mov_b64 s[44:45], s[36:37]
	v_mov_b32_e32 v1, v7
.LBB125_144:                            ; =>This Inner Loop Header: Depth=1
	s_load_dwordx8 s[0:7], s[42:43], 0x4
	s_load_dwordx4 s[12:15], s[42:43], 0x24
	s_load_dwordx4 s[16:19], s[44:45], 0x0
	s_add_u32 s42, s42, 48
	s_addc_u32 s43, s43, 0
	s_waitcnt lgkmcnt(0)
	v_mul_hi_u32 v2, s1, v1
	s_add_i32 s52, s52, 4
	s_add_u32 s44, s44, 16
	s_addc_u32 s45, s45, 0
	v_add_u32_e32 v2, v1, v2
	v_lshrrev_b32_e32 v2, s2, v2
	v_mul_lo_u32 v3, v2, s0
	v_mul_hi_u32 v4, s4, v2
	s_cmp_eq_u32 s50, s52
	v_sub_u32_e32 v1, v1, v3
	v_add_u32_e32 v3, v2, v4
	v_lshrrev_b32_e32 v3, s5, v3
	v_mul_lo_u32 v4, v1, s16
	v_mul_hi_u32 v1, s7, v3
	v_mul_lo_u32 v6, v3, s3
	v_add_u32_e32 v1, v3, v1
	v_lshrrev_b32_e32 v5, s12, v1
	v_mul_hi_u32 v1, s14, v5
	v_sub_u32_e32 v2, v2, v6
	v_mul_lo_u32 v6, v5, s6
	v_mul_lo_u32 v2, v2, s17
	v_add_u32_e32 v1, v5, v1
	v_lshrrev_b32_e32 v1, s15, v1
	v_mul_lo_u32 v8, v1, s13
	v_sub_u32_e32 v3, v3, v6
	v_mul_lo_u32 v3, v3, s18
	v_add3_u32 v0, v4, v0, v2
	v_sub_u32_e32 v5, v5, v8
	v_mul_lo_u32 v5, v5, s19
	v_add3_u32 v0, v3, v0, v5
	s_cbranch_scc0 .LBB125_144
	s_branch .LBB125_164
.LBB125_145:
                                        ; implicit-def: $vgpr0
	s_branch .LBB125_168
.LBB125_146:
	v_mov_b32_e32 v0, 0
	s_branch .LBB125_167
.LBB125_147:
	v_mov_b32_e32 v0, 0
	s_mov_b32 s50, 0
	v_mov_b32_e32 v1, v7
.LBB125_148:
	s_and_b32 s4, s51, 3
	s_cmp_eq_u32 s4, 0
	s_cbranch_scc1 .LBB125_151
; %bb.149:
	s_lshl_b32 s0, s50, 2
	s_add_u32 s0, s20, s0
	s_addc_u32 s1, s21, 0
	s_add_u32 s0, s0, 0xc4
	s_addc_u32 s1, s1, 0
	s_mul_i32 s2, s50, 12
	s_add_u32 s2, s20, s2
	s_addc_u32 s3, s21, 0
.LBB125_150:                            ; =>This Inner Loop Header: Depth=1
	s_load_dwordx2 s[6:7], s[2:3], 0x4
	s_load_dword s5, s[2:3], 0xc
	s_add_u32 s2, s2, 12
	s_addc_u32 s3, s3, 0
	s_waitcnt lgkmcnt(0)
	v_mul_hi_u32 v2, s7, v1
	s_load_dword s7, s[0:1], 0x0
	s_add_u32 s0, s0, 4
	s_addc_u32 s1, s1, 0
	v_add_u32_e32 v2, v1, v2
	v_lshrrev_b32_e32 v2, s5, v2
	v_mul_lo_u32 v3, v2, s6
	s_add_i32 s4, s4, -1
	s_cmp_lg_u32 s4, 0
	v_sub_u32_e32 v1, v1, v3
	s_waitcnt lgkmcnt(0)
	v_mad_u64_u32 v[0:1], s[6:7], v1, s7, v[0:1]
	v_mov_b32_e32 v1, v2
	s_cbranch_scc1 .LBB125_150
.LBB125_151:
	s_cbranch_execnz .LBB125_154
.LBB125_152:
	s_waitcnt lgkmcnt(0)
	v_mul_hi_u32 v0, s9, v7
	s_andn2_b64 vcc, exec, s[34:35]
	v_add_u32_e32 v0, v7, v0
	v_lshrrev_b32_e32 v1, s10, v0
	v_mul_lo_u32 v0, v1, s8
	v_sub_u32_e32 v0, v7, v0
	v_mul_lo_u32 v0, v0, s28
	s_cbranch_vccnz .LBB125_154
; %bb.153:
	v_mul_hi_u32 v2, s30, v1
	v_add_u32_e32 v2, v1, v2
	v_lshrrev_b32_e32 v2, s31, v2
	v_mul_lo_u32 v2, v2, s11
	v_sub_u32_e32 v1, v1, v2
	v_mad_u64_u32 v[0:1], s[0:1], v1, s29, v[0:1]
.LBB125_154:
	s_waitcnt lgkmcnt(0)
	v_mov_b32_e32 v1, s47
	v_add_u32_e32 v7, 0x80, v7
	global_store_byte v0, v1, s[26:27]
	s_or_b64 exec, exec, s[40:41]
	v_cmp_gt_i32_e32 vcc, s48, v7
	s_and_saveexec_b64 s[40:41], vcc
	s_cbranch_execnz .LBB125_140
.LBB125_155:
	s_or_b64 exec, exec, s[40:41]
	v_cmp_gt_i32_e32 vcc, s48, v7
	s_and_saveexec_b64 s[40:41], vcc
	s_cbranch_execz .LBB125_171
.LBB125_156:
	s_andn2_b64 vcc, exec, s[22:23]
	s_cbranch_vccnz .LBB125_161
; %bb.157:
	s_andn2_b64 vcc, exec, s[38:39]
	s_cbranch_vccnz .LBB125_162
; %bb.158:
	s_add_i32 s51, s49, 1
	s_cmp_eq_u32 s46, 2
	s_cbranch_scc1 .LBB125_179
; %bb.159:
	s_and_b32 s50, s51, 28
	s_mov_b32 s52, 0
	v_mov_b32_e32 v0, 0
	s_mov_b64 s[42:43], s[20:21]
	s_mov_b64 s[44:45], s[36:37]
	v_mov_b32_e32 v1, v7
.LBB125_160:                            ; =>This Inner Loop Header: Depth=1
	s_load_dwordx8 s[0:7], s[42:43], 0x4
	s_load_dwordx4 s[12:15], s[42:43], 0x24
	s_load_dwordx4 s[16:19], s[44:45], 0x0
	s_add_u32 s42, s42, 48
	s_addc_u32 s43, s43, 0
	s_waitcnt lgkmcnt(0)
	v_mul_hi_u32 v2, s1, v1
	s_add_i32 s52, s52, 4
	s_add_u32 s44, s44, 16
	s_addc_u32 s45, s45, 0
	v_add_u32_e32 v2, v1, v2
	v_lshrrev_b32_e32 v2, s2, v2
	v_mul_lo_u32 v3, v2, s0
	v_mul_hi_u32 v4, s4, v2
	s_cmp_eq_u32 s50, s52
	v_sub_u32_e32 v1, v1, v3
	v_add_u32_e32 v3, v2, v4
	v_lshrrev_b32_e32 v3, s5, v3
	v_mul_lo_u32 v4, v1, s16
	v_mul_hi_u32 v1, s7, v3
	v_mul_lo_u32 v6, v3, s3
	v_add_u32_e32 v1, v3, v1
	v_lshrrev_b32_e32 v5, s12, v1
	v_mul_hi_u32 v1, s14, v5
	v_sub_u32_e32 v2, v2, v6
	v_mul_lo_u32 v6, v5, s6
	v_mul_lo_u32 v2, v2, s17
	v_add_u32_e32 v1, v5, v1
	v_lshrrev_b32_e32 v1, s15, v1
	v_mul_lo_u32 v8, v1, s13
	v_sub_u32_e32 v3, v3, v6
	v_mul_lo_u32 v3, v3, s18
	v_add3_u32 v0, v4, v0, v2
	v_sub_u32_e32 v5, v5, v8
	v_mul_lo_u32 v5, v5, s19
	v_add3_u32 v0, v3, v0, v5
	s_cbranch_scc0 .LBB125_160
	s_branch .LBB125_180
.LBB125_161:
                                        ; implicit-def: $vgpr0
	s_branch .LBB125_184
.LBB125_162:
	v_mov_b32_e32 v0, 0
	s_branch .LBB125_183
.LBB125_163:
	v_mov_b32_e32 v0, 0
	s_mov_b32 s50, 0
	v_mov_b32_e32 v1, v7
.LBB125_164:
	s_and_b32 s4, s51, 3
	s_cmp_eq_u32 s4, 0
	s_cbranch_scc1 .LBB125_167
; %bb.165:
	s_lshl_b32 s0, s50, 2
	s_add_u32 s0, s20, s0
	s_addc_u32 s1, s21, 0
	s_add_u32 s0, s0, 0xc4
	s_addc_u32 s1, s1, 0
	s_mul_i32 s2, s50, 12
	s_add_u32 s2, s20, s2
	s_addc_u32 s3, s21, 0
.LBB125_166:                            ; =>This Inner Loop Header: Depth=1
	s_load_dwordx2 s[6:7], s[2:3], 0x4
	s_load_dword s5, s[2:3], 0xc
	s_add_u32 s2, s2, 12
	s_addc_u32 s3, s3, 0
	s_waitcnt lgkmcnt(0)
	v_mul_hi_u32 v2, s7, v1
	s_load_dword s7, s[0:1], 0x0
	s_add_u32 s0, s0, 4
	s_addc_u32 s1, s1, 0
	v_add_u32_e32 v2, v1, v2
	v_lshrrev_b32_e32 v2, s5, v2
	v_mul_lo_u32 v3, v2, s6
	s_add_i32 s4, s4, -1
	s_cmp_lg_u32 s4, 0
	v_sub_u32_e32 v1, v1, v3
	s_waitcnt lgkmcnt(0)
	v_mad_u64_u32 v[0:1], s[6:7], v1, s7, v[0:1]
	v_mov_b32_e32 v1, v2
	s_cbranch_scc1 .LBB125_166
.LBB125_167:
	s_cbranch_execnz .LBB125_170
.LBB125_168:
	s_waitcnt lgkmcnt(0)
	v_mul_hi_u32 v0, s9, v7
	s_andn2_b64 vcc, exec, s[34:35]
	v_add_u32_e32 v0, v7, v0
	v_lshrrev_b32_e32 v1, s10, v0
	v_mul_lo_u32 v0, v1, s8
	v_sub_u32_e32 v0, v7, v0
	v_mul_lo_u32 v0, v0, s28
	s_cbranch_vccnz .LBB125_170
; %bb.169:
	v_mul_hi_u32 v2, s30, v1
	v_add_u32_e32 v2, v1, v2
	v_lshrrev_b32_e32 v2, s31, v2
	v_mul_lo_u32 v2, v2, s11
	v_sub_u32_e32 v1, v1, v2
	v_mad_u64_u32 v[0:1], s[0:1], v1, s29, v[0:1]
.LBB125_170:
	s_waitcnt lgkmcnt(0)
	v_mov_b32_e32 v1, s47
	v_add_u32_e32 v7, 0x80, v7
	global_store_byte v0, v1, s[26:27]
	s_or_b64 exec, exec, s[40:41]
	v_cmp_gt_i32_e32 vcc, s48, v7
	s_and_saveexec_b64 s[40:41], vcc
	s_cbranch_execnz .LBB125_156
.LBB125_171:
	s_or_b64 exec, exec, s[40:41]
	v_cmp_gt_i32_e32 vcc, s48, v7
	s_and_saveexec_b64 s[40:41], vcc
	s_cbranch_execz .LBB125_187
.LBB125_172:
	s_andn2_b64 vcc, exec, s[22:23]
	s_cbranch_vccnz .LBB125_177
; %bb.173:
	s_andn2_b64 vcc, exec, s[38:39]
	s_cbranch_vccnz .LBB125_178
; %bb.174:
	s_add_i32 s51, s49, 1
	s_cmp_eq_u32 s46, 2
	s_cbranch_scc1 .LBB125_195
; %bb.175:
	s_and_b32 s50, s51, 28
	s_mov_b32 s52, 0
	v_mov_b32_e32 v0, 0
	s_mov_b64 s[42:43], s[20:21]
	s_mov_b64 s[44:45], s[36:37]
	v_mov_b32_e32 v1, v7
.LBB125_176:                            ; =>This Inner Loop Header: Depth=1
	s_load_dwordx8 s[0:7], s[42:43], 0x4
	s_load_dwordx4 s[12:15], s[42:43], 0x24
	s_load_dwordx4 s[16:19], s[44:45], 0x0
	s_add_u32 s42, s42, 48
	s_addc_u32 s43, s43, 0
	s_waitcnt lgkmcnt(0)
	v_mul_hi_u32 v2, s1, v1
	s_add_i32 s52, s52, 4
	s_add_u32 s44, s44, 16
	s_addc_u32 s45, s45, 0
	v_add_u32_e32 v2, v1, v2
	v_lshrrev_b32_e32 v2, s2, v2
	v_mul_lo_u32 v3, v2, s0
	v_mul_hi_u32 v4, s4, v2
	s_cmp_eq_u32 s50, s52
	v_sub_u32_e32 v1, v1, v3
	v_add_u32_e32 v3, v2, v4
	v_lshrrev_b32_e32 v3, s5, v3
	v_mul_lo_u32 v4, v1, s16
	v_mul_hi_u32 v1, s7, v3
	v_mul_lo_u32 v6, v3, s3
	v_add_u32_e32 v1, v3, v1
	v_lshrrev_b32_e32 v5, s12, v1
	v_mul_hi_u32 v1, s14, v5
	v_sub_u32_e32 v2, v2, v6
	v_mul_lo_u32 v6, v5, s6
	v_mul_lo_u32 v2, v2, s17
	v_add_u32_e32 v1, v5, v1
	v_lshrrev_b32_e32 v1, s15, v1
	v_mul_lo_u32 v8, v1, s13
	v_sub_u32_e32 v3, v3, v6
	v_mul_lo_u32 v3, v3, s18
	v_add3_u32 v0, v4, v0, v2
	v_sub_u32_e32 v5, v5, v8
	v_mul_lo_u32 v5, v5, s19
	v_add3_u32 v0, v3, v0, v5
	s_cbranch_scc0 .LBB125_176
	s_branch .LBB125_196
.LBB125_177:
                                        ; implicit-def: $vgpr0
	s_branch .LBB125_200
.LBB125_178:
	v_mov_b32_e32 v0, 0
	s_branch .LBB125_199
.LBB125_179:
	v_mov_b32_e32 v0, 0
	s_mov_b32 s50, 0
	v_mov_b32_e32 v1, v7
.LBB125_180:
	s_and_b32 s4, s51, 3
	s_cmp_eq_u32 s4, 0
	s_cbranch_scc1 .LBB125_183
; %bb.181:
	s_lshl_b32 s0, s50, 2
	s_add_u32 s0, s20, s0
	s_addc_u32 s1, s21, 0
	s_add_u32 s0, s0, 0xc4
	s_addc_u32 s1, s1, 0
	s_mul_i32 s2, s50, 12
	s_add_u32 s2, s20, s2
	s_addc_u32 s3, s21, 0
.LBB125_182:                            ; =>This Inner Loop Header: Depth=1
	s_load_dwordx2 s[6:7], s[2:3], 0x4
	s_load_dword s5, s[2:3], 0xc
	s_add_u32 s2, s2, 12
	s_addc_u32 s3, s3, 0
	s_waitcnt lgkmcnt(0)
	v_mul_hi_u32 v2, s7, v1
	s_load_dword s7, s[0:1], 0x0
	s_add_u32 s0, s0, 4
	s_addc_u32 s1, s1, 0
	v_add_u32_e32 v2, v1, v2
	v_lshrrev_b32_e32 v2, s5, v2
	v_mul_lo_u32 v3, v2, s6
	s_add_i32 s4, s4, -1
	s_cmp_lg_u32 s4, 0
	v_sub_u32_e32 v1, v1, v3
	s_waitcnt lgkmcnt(0)
	v_mad_u64_u32 v[0:1], s[6:7], v1, s7, v[0:1]
	v_mov_b32_e32 v1, v2
	s_cbranch_scc1 .LBB125_182
.LBB125_183:
	s_cbranch_execnz .LBB125_186
.LBB125_184:
	s_waitcnt lgkmcnt(0)
	v_mul_hi_u32 v0, s9, v7
	s_andn2_b64 vcc, exec, s[34:35]
	v_add_u32_e32 v0, v7, v0
	v_lshrrev_b32_e32 v1, s10, v0
	v_mul_lo_u32 v0, v1, s8
	v_sub_u32_e32 v0, v7, v0
	v_mul_lo_u32 v0, v0, s28
	s_cbranch_vccnz .LBB125_186
; %bb.185:
	v_mul_hi_u32 v2, s30, v1
	v_add_u32_e32 v2, v1, v2
	v_lshrrev_b32_e32 v2, s31, v2
	v_mul_lo_u32 v2, v2, s11
	v_sub_u32_e32 v1, v1, v2
	v_mad_u64_u32 v[0:1], s[0:1], v1, s29, v[0:1]
.LBB125_186:
	s_waitcnt lgkmcnt(0)
	v_mov_b32_e32 v1, s47
	v_add_u32_e32 v7, 0x80, v7
	global_store_byte v0, v1, s[26:27]
	s_or_b64 exec, exec, s[40:41]
	v_cmp_gt_i32_e32 vcc, s48, v7
	s_and_saveexec_b64 s[40:41], vcc
	s_cbranch_execnz .LBB125_172
.LBB125_187:
	s_or_b64 exec, exec, s[40:41]
	v_cmp_gt_i32_e32 vcc, s48, v7
	s_and_saveexec_b64 s[40:41], vcc
	s_cbranch_execz .LBB125_203
.LBB125_188:
	s_andn2_b64 vcc, exec, s[22:23]
	s_cbranch_vccnz .LBB125_193
; %bb.189:
	s_andn2_b64 vcc, exec, s[38:39]
	s_cbranch_vccnz .LBB125_194
; %bb.190:
	s_add_i32 s51, s49, 1
	s_cmp_eq_u32 s46, 2
	s_cbranch_scc1 .LBB125_211
; %bb.191:
	s_and_b32 s50, s51, 28
	s_mov_b32 s52, 0
	v_mov_b32_e32 v0, 0
	s_mov_b64 s[42:43], s[20:21]
	s_mov_b64 s[44:45], s[36:37]
	v_mov_b32_e32 v1, v7
.LBB125_192:                            ; =>This Inner Loop Header: Depth=1
	s_load_dwordx8 s[0:7], s[42:43], 0x4
	s_load_dwordx4 s[12:15], s[42:43], 0x24
	s_load_dwordx4 s[16:19], s[44:45], 0x0
	s_add_u32 s42, s42, 48
	s_addc_u32 s43, s43, 0
	s_waitcnt lgkmcnt(0)
	v_mul_hi_u32 v2, s1, v1
	s_add_i32 s52, s52, 4
	s_add_u32 s44, s44, 16
	s_addc_u32 s45, s45, 0
	v_add_u32_e32 v2, v1, v2
	v_lshrrev_b32_e32 v2, s2, v2
	v_mul_lo_u32 v3, v2, s0
	v_mul_hi_u32 v4, s4, v2
	s_cmp_eq_u32 s50, s52
	v_sub_u32_e32 v1, v1, v3
	v_add_u32_e32 v3, v2, v4
	v_lshrrev_b32_e32 v3, s5, v3
	v_mul_lo_u32 v4, v1, s16
	v_mul_hi_u32 v1, s7, v3
	v_mul_lo_u32 v6, v3, s3
	v_add_u32_e32 v1, v3, v1
	v_lshrrev_b32_e32 v5, s12, v1
	v_mul_hi_u32 v1, s14, v5
	v_sub_u32_e32 v2, v2, v6
	v_mul_lo_u32 v6, v5, s6
	v_mul_lo_u32 v2, v2, s17
	v_add_u32_e32 v1, v5, v1
	v_lshrrev_b32_e32 v1, s15, v1
	v_mul_lo_u32 v8, v1, s13
	v_sub_u32_e32 v3, v3, v6
	v_mul_lo_u32 v3, v3, s18
	v_add3_u32 v0, v4, v0, v2
	v_sub_u32_e32 v5, v5, v8
	v_mul_lo_u32 v5, v5, s19
	v_add3_u32 v0, v3, v0, v5
	s_cbranch_scc0 .LBB125_192
	s_branch .LBB125_212
.LBB125_193:
                                        ; implicit-def: $vgpr0
	s_branch .LBB125_216
.LBB125_194:
	v_mov_b32_e32 v0, 0
	s_branch .LBB125_215
.LBB125_195:
	v_mov_b32_e32 v0, 0
	s_mov_b32 s50, 0
	v_mov_b32_e32 v1, v7
.LBB125_196:
	s_and_b32 s4, s51, 3
	s_cmp_eq_u32 s4, 0
	s_cbranch_scc1 .LBB125_199
; %bb.197:
	s_lshl_b32 s0, s50, 2
	s_add_u32 s0, s20, s0
	s_addc_u32 s1, s21, 0
	s_add_u32 s0, s0, 0xc4
	s_addc_u32 s1, s1, 0
	s_mul_i32 s2, s50, 12
	s_add_u32 s2, s20, s2
	s_addc_u32 s3, s21, 0
.LBB125_198:                            ; =>This Inner Loop Header: Depth=1
	s_load_dwordx2 s[6:7], s[2:3], 0x4
	s_load_dword s5, s[2:3], 0xc
	s_add_u32 s2, s2, 12
	s_addc_u32 s3, s3, 0
	s_waitcnt lgkmcnt(0)
	v_mul_hi_u32 v2, s7, v1
	s_load_dword s7, s[0:1], 0x0
	s_add_u32 s0, s0, 4
	s_addc_u32 s1, s1, 0
	v_add_u32_e32 v2, v1, v2
	v_lshrrev_b32_e32 v2, s5, v2
	v_mul_lo_u32 v3, v2, s6
	s_add_i32 s4, s4, -1
	s_cmp_lg_u32 s4, 0
	v_sub_u32_e32 v1, v1, v3
	s_waitcnt lgkmcnt(0)
	v_mad_u64_u32 v[0:1], s[6:7], v1, s7, v[0:1]
	v_mov_b32_e32 v1, v2
	s_cbranch_scc1 .LBB125_198
.LBB125_199:
	s_cbranch_execnz .LBB125_202
.LBB125_200:
	s_waitcnt lgkmcnt(0)
	v_mul_hi_u32 v0, s9, v7
	s_andn2_b64 vcc, exec, s[34:35]
	v_add_u32_e32 v0, v7, v0
	v_lshrrev_b32_e32 v1, s10, v0
	v_mul_lo_u32 v0, v1, s8
	v_sub_u32_e32 v0, v7, v0
	v_mul_lo_u32 v0, v0, s28
	s_cbranch_vccnz .LBB125_202
; %bb.201:
	v_mul_hi_u32 v2, s30, v1
	v_add_u32_e32 v2, v1, v2
	v_lshrrev_b32_e32 v2, s31, v2
	v_mul_lo_u32 v2, v2, s11
	v_sub_u32_e32 v1, v1, v2
	v_mad_u64_u32 v[0:1], s[0:1], v1, s29, v[0:1]
.LBB125_202:
	s_waitcnt lgkmcnt(0)
	v_mov_b32_e32 v1, s47
	v_add_u32_e32 v7, 0x80, v7
	global_store_byte v0, v1, s[26:27]
	s_or_b64 exec, exec, s[40:41]
	v_cmp_gt_i32_e32 vcc, s48, v7
	s_and_saveexec_b64 s[40:41], vcc
	s_cbranch_execnz .LBB125_188
.LBB125_203:
	s_or_b64 exec, exec, s[40:41]
	v_cmp_gt_i32_e32 vcc, s48, v7
	s_and_saveexec_b64 s[40:41], vcc
	s_cbranch_execz .LBB125_219
.LBB125_204:
	s_andn2_b64 vcc, exec, s[22:23]
	s_cbranch_vccnz .LBB125_209
; %bb.205:
	s_andn2_b64 vcc, exec, s[38:39]
	s_cbranch_vccnz .LBB125_210
; %bb.206:
	s_add_i32 s51, s49, 1
	s_cmp_eq_u32 s46, 2
	s_cbranch_scc1 .LBB125_222
; %bb.207:
	s_and_b32 s50, s51, 28
	s_mov_b32 s52, 0
	v_mov_b32_e32 v0, 0
	s_mov_b64 s[42:43], s[20:21]
	s_mov_b64 s[44:45], s[36:37]
	v_mov_b32_e32 v1, v7
.LBB125_208:                            ; =>This Inner Loop Header: Depth=1
	s_load_dwordx8 s[0:7], s[42:43], 0x4
	s_load_dwordx4 s[12:15], s[42:43], 0x24
	s_load_dwordx4 s[16:19], s[44:45], 0x0
	s_add_u32 s42, s42, 48
	s_addc_u32 s43, s43, 0
	s_waitcnt lgkmcnt(0)
	v_mul_hi_u32 v2, s1, v1
	s_add_i32 s52, s52, 4
	s_add_u32 s44, s44, 16
	s_addc_u32 s45, s45, 0
	v_add_u32_e32 v2, v1, v2
	v_lshrrev_b32_e32 v2, s2, v2
	v_mul_lo_u32 v3, v2, s0
	v_mul_hi_u32 v4, s4, v2
	s_cmp_eq_u32 s50, s52
	v_sub_u32_e32 v1, v1, v3
	v_add_u32_e32 v3, v2, v4
	v_lshrrev_b32_e32 v3, s5, v3
	v_mul_lo_u32 v4, v1, s16
	v_mul_hi_u32 v1, s7, v3
	v_mul_lo_u32 v6, v3, s3
	v_add_u32_e32 v1, v3, v1
	v_lshrrev_b32_e32 v5, s12, v1
	v_mul_hi_u32 v1, s14, v5
	v_sub_u32_e32 v2, v2, v6
	v_mul_lo_u32 v6, v5, s6
	v_mul_lo_u32 v2, v2, s17
	v_add_u32_e32 v1, v5, v1
	v_lshrrev_b32_e32 v1, s15, v1
	v_mul_lo_u32 v8, v1, s13
	v_sub_u32_e32 v3, v3, v6
	v_mul_lo_u32 v3, v3, s18
	v_add3_u32 v0, v4, v0, v2
	v_sub_u32_e32 v5, v5, v8
	v_mul_lo_u32 v5, v5, s19
	v_add3_u32 v0, v3, v0, v5
	s_cbranch_scc0 .LBB125_208
	s_branch .LBB125_223
.LBB125_209:
                                        ; implicit-def: $vgpr0
	s_branch .LBB125_227
.LBB125_210:
	v_mov_b32_e32 v0, 0
	s_branch .LBB125_226
.LBB125_211:
	v_mov_b32_e32 v0, 0
	s_mov_b32 s50, 0
	v_mov_b32_e32 v1, v7
.LBB125_212:
	s_and_b32 s4, s51, 3
	s_cmp_eq_u32 s4, 0
	s_cbranch_scc1 .LBB125_215
; %bb.213:
	s_lshl_b32 s0, s50, 2
	s_add_u32 s0, s20, s0
	s_addc_u32 s1, s21, 0
	s_add_u32 s0, s0, 0xc4
	s_addc_u32 s1, s1, 0
	s_mul_i32 s2, s50, 12
	s_add_u32 s2, s20, s2
	s_addc_u32 s3, s21, 0
.LBB125_214:                            ; =>This Inner Loop Header: Depth=1
	s_load_dwordx2 s[6:7], s[2:3], 0x4
	s_load_dword s5, s[2:3], 0xc
	s_add_u32 s2, s2, 12
	s_addc_u32 s3, s3, 0
	s_waitcnt lgkmcnt(0)
	v_mul_hi_u32 v2, s7, v1
	s_load_dword s7, s[0:1], 0x0
	s_add_u32 s0, s0, 4
	s_addc_u32 s1, s1, 0
	v_add_u32_e32 v2, v1, v2
	v_lshrrev_b32_e32 v2, s5, v2
	v_mul_lo_u32 v3, v2, s6
	s_add_i32 s4, s4, -1
	s_cmp_lg_u32 s4, 0
	v_sub_u32_e32 v1, v1, v3
	s_waitcnt lgkmcnt(0)
	v_mad_u64_u32 v[0:1], s[6:7], v1, s7, v[0:1]
	v_mov_b32_e32 v1, v2
	s_cbranch_scc1 .LBB125_214
.LBB125_215:
	s_cbranch_execnz .LBB125_218
.LBB125_216:
	s_waitcnt lgkmcnt(0)
	v_mul_hi_u32 v0, s9, v7
	s_andn2_b64 vcc, exec, s[34:35]
	v_add_u32_e32 v0, v7, v0
	v_lshrrev_b32_e32 v1, s10, v0
	v_mul_lo_u32 v0, v1, s8
	v_sub_u32_e32 v0, v7, v0
	v_mul_lo_u32 v0, v0, s28
	s_cbranch_vccnz .LBB125_218
; %bb.217:
	v_mul_hi_u32 v2, s30, v1
	v_add_u32_e32 v2, v1, v2
	v_lshrrev_b32_e32 v2, s31, v2
	v_mul_lo_u32 v2, v2, s11
	v_sub_u32_e32 v1, v1, v2
	v_mad_u64_u32 v[0:1], s[0:1], v1, s29, v[0:1]
.LBB125_218:
	s_waitcnt lgkmcnt(0)
	v_mov_b32_e32 v1, s47
	v_add_u32_e32 v7, 0x80, v7
	global_store_byte v0, v1, s[26:27]
	s_or_b64 exec, exec, s[40:41]
	v_cmp_gt_i32_e32 vcc, s48, v7
	s_and_saveexec_b64 s[40:41], vcc
	s_cbranch_execnz .LBB125_204
.LBB125_219:
	s_or_b64 exec, exec, s[40:41]
	v_cmp_gt_i32_e32 vcc, s48, v7
	s_and_saveexec_b64 s[40:41], vcc
	s_cbranch_execnz .LBB125_230
.LBB125_220:
	s_or_b64 exec, exec, s[40:41]
                                        ; implicit-def: $vgpr9
                                        ; implicit-def: $vgpr7
	s_andn2_saveexec_b64 s[0:1], s[24:25]
	s_cbranch_execnz .LBB125_8
.LBB125_221:
	s_endpgm
.LBB125_222:
	v_mov_b32_e32 v0, 0
	s_mov_b32 s50, 0
	v_mov_b32_e32 v1, v7
.LBB125_223:
	s_and_b32 s4, s51, 3
	s_cmp_eq_u32 s4, 0
	s_cbranch_scc1 .LBB125_226
; %bb.224:
	s_lshl_b32 s0, s50, 2
	s_add_u32 s0, s20, s0
	s_addc_u32 s1, s21, 0
	s_add_u32 s0, s0, 0xc4
	s_addc_u32 s1, s1, 0
	s_mul_i32 s2, s50, 12
	s_add_u32 s2, s20, s2
	s_addc_u32 s3, s21, 0
.LBB125_225:                            ; =>This Inner Loop Header: Depth=1
	s_load_dwordx2 s[6:7], s[2:3], 0x4
	s_load_dword s5, s[2:3], 0xc
	s_add_u32 s2, s2, 12
	s_addc_u32 s3, s3, 0
	s_waitcnt lgkmcnt(0)
	v_mul_hi_u32 v2, s7, v1
	s_load_dword s7, s[0:1], 0x0
	s_add_u32 s0, s0, 4
	s_addc_u32 s1, s1, 0
	v_add_u32_e32 v2, v1, v2
	v_lshrrev_b32_e32 v2, s5, v2
	v_mul_lo_u32 v3, v2, s6
	s_add_i32 s4, s4, -1
	s_cmp_lg_u32 s4, 0
	v_sub_u32_e32 v1, v1, v3
	s_waitcnt lgkmcnt(0)
	v_mad_u64_u32 v[0:1], s[6:7], v1, s7, v[0:1]
	v_mov_b32_e32 v1, v2
	s_cbranch_scc1 .LBB125_225
.LBB125_226:
	s_cbranch_execnz .LBB125_229
.LBB125_227:
	s_waitcnt lgkmcnt(0)
	v_mul_hi_u32 v0, s9, v7
	s_andn2_b64 vcc, exec, s[34:35]
	v_add_u32_e32 v0, v7, v0
	v_lshrrev_b32_e32 v1, s10, v0
	v_mul_lo_u32 v0, v1, s8
	v_sub_u32_e32 v0, v7, v0
	v_mul_lo_u32 v0, v0, s28
	s_cbranch_vccnz .LBB125_229
; %bb.228:
	v_mul_hi_u32 v2, s30, v1
	v_add_u32_e32 v2, v1, v2
	v_lshrrev_b32_e32 v2, s31, v2
	v_mul_lo_u32 v2, v2, s11
	v_sub_u32_e32 v1, v1, v2
	v_mad_u64_u32 v[0:1], s[0:1], v1, s29, v[0:1]
.LBB125_229:
	s_waitcnt lgkmcnt(0)
	v_mov_b32_e32 v1, s47
	v_add_u32_e32 v7, 0x80, v7
	global_store_byte v0, v1, s[26:27]
	s_or_b64 exec, exec, s[40:41]
	v_cmp_gt_i32_e32 vcc, s48, v7
	s_and_saveexec_b64 s[40:41], vcc
	s_cbranch_execz .LBB125_220
.LBB125_230:
	s_andn2_b64 vcc, exec, s[22:23]
	s_cbranch_vccnz .LBB125_235
; %bb.231:
	s_andn2_b64 vcc, exec, s[38:39]
	s_cbranch_vccnz .LBB125_236
; %bb.232:
	s_add_i32 s49, s49, 1
	s_cmp_eq_u32 s46, 2
	s_cbranch_scc1 .LBB125_237
; %bb.233:
	s_and_b32 s42, s49, 28
	s_mov_b32 s43, 0
	v_mov_b32_e32 v0, 0
	s_mov_b64 s[38:39], s[20:21]
	v_mov_b32_e32 v1, v7
.LBB125_234:                            ; =>This Inner Loop Header: Depth=1
	s_load_dwordx8 s[0:7], s[38:39], 0x4
	s_load_dwordx4 s[12:15], s[38:39], 0x24
	s_load_dwordx4 s[16:19], s[36:37], 0x0
	s_add_u32 s38, s38, 48
	s_addc_u32 s39, s39, 0
	s_waitcnt lgkmcnt(0)
	v_mul_hi_u32 v2, s1, v1
	s_add_i32 s43, s43, 4
	s_add_u32 s36, s36, 16
	s_addc_u32 s37, s37, 0
	v_add_u32_e32 v2, v1, v2
	v_lshrrev_b32_e32 v2, s2, v2
	v_mul_lo_u32 v3, v2, s0
	v_mul_hi_u32 v4, s4, v2
	s_cmp_eq_u32 s42, s43
	v_sub_u32_e32 v1, v1, v3
	v_add_u32_e32 v3, v2, v4
	v_lshrrev_b32_e32 v3, s5, v3
	v_mul_lo_u32 v4, v1, s16
	v_mul_hi_u32 v1, s7, v3
	v_mul_lo_u32 v6, v3, s3
	v_add_u32_e32 v1, v3, v1
	v_lshrrev_b32_e32 v5, s12, v1
	v_mul_hi_u32 v1, s14, v5
	v_sub_u32_e32 v2, v2, v6
	v_mul_lo_u32 v6, v5, s6
	v_mul_lo_u32 v2, v2, s17
	v_add_u32_e32 v1, v5, v1
	v_lshrrev_b32_e32 v1, s15, v1
	v_mul_lo_u32 v8, v1, s13
	v_sub_u32_e32 v3, v3, v6
	v_mul_lo_u32 v3, v3, s18
	v_add3_u32 v0, v4, v0, v2
	v_sub_u32_e32 v5, v5, v8
	v_mul_lo_u32 v5, v5, s19
	v_add3_u32 v0, v3, v0, v5
	s_cbranch_scc0 .LBB125_234
	s_branch .LBB125_238
.LBB125_235:
                                        ; implicit-def: $vgpr0
	s_branch .LBB125_242
.LBB125_236:
	v_mov_b32_e32 v0, 0
	s_branch .LBB125_241
.LBB125_237:
	v_mov_b32_e32 v0, 0
	s_mov_b32 s42, 0
	v_mov_b32_e32 v1, v7
.LBB125_238:
	s_and_b32 s4, s49, 3
	s_cmp_eq_u32 s4, 0
	s_cbranch_scc1 .LBB125_241
; %bb.239:
	s_lshl_b32 s0, s42, 2
	s_add_u32 s0, s20, s0
	s_addc_u32 s1, s21, 0
	s_add_u32 s0, s0, 0xc4
	s_addc_u32 s1, s1, 0
	s_mul_i32 s2, s42, 12
	s_add_u32 s2, s20, s2
	s_addc_u32 s3, s21, 0
.LBB125_240:                            ; =>This Inner Loop Header: Depth=1
	s_load_dwordx2 s[6:7], s[2:3], 0x4
	s_load_dword s5, s[2:3], 0xc
	s_add_u32 s2, s2, 12
	s_addc_u32 s3, s3, 0
	s_waitcnt lgkmcnt(0)
	v_mul_hi_u32 v2, s7, v1
	s_load_dword s7, s[0:1], 0x0
	s_add_u32 s0, s0, 4
	s_addc_u32 s1, s1, 0
	v_add_u32_e32 v2, v1, v2
	v_lshrrev_b32_e32 v2, s5, v2
	v_mul_lo_u32 v3, v2, s6
	s_add_i32 s4, s4, -1
	s_cmp_lg_u32 s4, 0
	v_sub_u32_e32 v1, v1, v3
	s_waitcnt lgkmcnt(0)
	v_mad_u64_u32 v[0:1], s[6:7], v1, s7, v[0:1]
	v_mov_b32_e32 v1, v2
	s_cbranch_scc1 .LBB125_240
.LBB125_241:
	s_cbranch_execnz .LBB125_244
.LBB125_242:
	s_waitcnt lgkmcnt(0)
	v_mul_hi_u32 v0, s9, v7
	s_andn2_b64 vcc, exec, s[34:35]
	v_add_u32_e32 v0, v7, v0
	v_lshrrev_b32_e32 v1, s10, v0
	v_mul_lo_u32 v0, v1, s8
	v_sub_u32_e32 v0, v7, v0
	v_mul_lo_u32 v0, v0, s28
	s_cbranch_vccnz .LBB125_244
; %bb.243:
	v_mul_hi_u32 v2, s30, v1
	v_add_u32_e32 v2, v1, v2
	v_lshrrev_b32_e32 v2, s31, v2
	v_mul_lo_u32 v2, v2, s11
	v_sub_u32_e32 v1, v1, v2
	v_mad_u64_u32 v[0:1], s[0:1], v1, s29, v[0:1]
.LBB125_244:
	s_waitcnt lgkmcnt(0)
	v_mov_b32_e32 v1, s47
	global_store_byte v0, v1, s[26:27]
	s_or_b64 exec, exec, s[40:41]
                                        ; implicit-def: $vgpr9
                                        ; implicit-def: $vgpr7
	s_andn2_saveexec_b64 s[0:1], s[24:25]
	s_cbranch_execz .LBB125_221
	s_branch .LBB125_8
	.section	.rodata,"a",@progbits
	.p2align	6, 0x0
	.amdhsa_kernel _ZN2at6native32elementwise_kernel_manual_unrollILi128ELi8EZNS0_22gpu_kernel_impl_nocastINS0_11FillFunctorIN3c1015Float8_e5m2fnuzEEEEEvRNS_18TensorIteratorBaseERKT_EUlibE_EEviT1_
		.amdhsa_group_segment_fixed_size 0
		.amdhsa_private_segment_fixed_size 0
		.amdhsa_kernarg_size 288
		.amdhsa_user_sgpr_count 6
		.amdhsa_user_sgpr_private_segment_buffer 1
		.amdhsa_user_sgpr_dispatch_ptr 0
		.amdhsa_user_sgpr_queue_ptr 0
		.amdhsa_user_sgpr_kernarg_segment_ptr 1
		.amdhsa_user_sgpr_dispatch_id 0
		.amdhsa_user_sgpr_flat_scratch_init 0
		.amdhsa_user_sgpr_private_segment_size 0
		.amdhsa_uses_dynamic_stack 0
		.amdhsa_system_sgpr_private_segment_wavefront_offset 0
		.amdhsa_system_sgpr_workgroup_id_x 1
		.amdhsa_system_sgpr_workgroup_id_y 0
		.amdhsa_system_sgpr_workgroup_id_z 0
		.amdhsa_system_sgpr_workgroup_info 0
		.amdhsa_system_vgpr_workitem_id 0
		.amdhsa_next_free_vgpr 16
		.amdhsa_next_free_sgpr 53
		.amdhsa_reserve_vcc 1
		.amdhsa_reserve_flat_scratch 0
		.amdhsa_float_round_mode_32 0
		.amdhsa_float_round_mode_16_64 0
		.amdhsa_float_denorm_mode_32 3
		.amdhsa_float_denorm_mode_16_64 3
		.amdhsa_dx10_clamp 1
		.amdhsa_ieee_mode 1
		.amdhsa_fp16_overflow 0
		.amdhsa_exception_fp_ieee_invalid_op 0
		.amdhsa_exception_fp_denorm_src 0
		.amdhsa_exception_fp_ieee_div_zero 0
		.amdhsa_exception_fp_ieee_overflow 0
		.amdhsa_exception_fp_ieee_underflow 0
		.amdhsa_exception_fp_ieee_inexact 0
		.amdhsa_exception_int_div_zero 0
	.end_amdhsa_kernel
	.section	.text._ZN2at6native32elementwise_kernel_manual_unrollILi128ELi8EZNS0_22gpu_kernel_impl_nocastINS0_11FillFunctorIN3c1015Float8_e5m2fnuzEEEEEvRNS_18TensorIteratorBaseERKT_EUlibE_EEviT1_,"axG",@progbits,_ZN2at6native32elementwise_kernel_manual_unrollILi128ELi8EZNS0_22gpu_kernel_impl_nocastINS0_11FillFunctorIN3c1015Float8_e5m2fnuzEEEEEvRNS_18TensorIteratorBaseERKT_EUlibE_EEviT1_,comdat
.Lfunc_end125:
	.size	_ZN2at6native32elementwise_kernel_manual_unrollILi128ELi8EZNS0_22gpu_kernel_impl_nocastINS0_11FillFunctorIN3c1015Float8_e5m2fnuzEEEEEvRNS_18TensorIteratorBaseERKT_EUlibE_EEviT1_, .Lfunc_end125-_ZN2at6native32elementwise_kernel_manual_unrollILi128ELi8EZNS0_22gpu_kernel_impl_nocastINS0_11FillFunctorIN3c1015Float8_e5m2fnuzEEEEEvRNS_18TensorIteratorBaseERKT_EUlibE_EEviT1_
                                        ; -- End function
	.set _ZN2at6native32elementwise_kernel_manual_unrollILi128ELi8EZNS0_22gpu_kernel_impl_nocastINS0_11FillFunctorIN3c1015Float8_e5m2fnuzEEEEEvRNS_18TensorIteratorBaseERKT_EUlibE_EEviT1_.num_vgpr, 16
	.set _ZN2at6native32elementwise_kernel_manual_unrollILi128ELi8EZNS0_22gpu_kernel_impl_nocastINS0_11FillFunctorIN3c1015Float8_e5m2fnuzEEEEEvRNS_18TensorIteratorBaseERKT_EUlibE_EEviT1_.num_agpr, 0
	.set _ZN2at6native32elementwise_kernel_manual_unrollILi128ELi8EZNS0_22gpu_kernel_impl_nocastINS0_11FillFunctorIN3c1015Float8_e5m2fnuzEEEEEvRNS_18TensorIteratorBaseERKT_EUlibE_EEviT1_.numbered_sgpr, 53
	.set _ZN2at6native32elementwise_kernel_manual_unrollILi128ELi8EZNS0_22gpu_kernel_impl_nocastINS0_11FillFunctorIN3c1015Float8_e5m2fnuzEEEEEvRNS_18TensorIteratorBaseERKT_EUlibE_EEviT1_.num_named_barrier, 0
	.set _ZN2at6native32elementwise_kernel_manual_unrollILi128ELi8EZNS0_22gpu_kernel_impl_nocastINS0_11FillFunctorIN3c1015Float8_e5m2fnuzEEEEEvRNS_18TensorIteratorBaseERKT_EUlibE_EEviT1_.private_seg_size, 0
	.set _ZN2at6native32elementwise_kernel_manual_unrollILi128ELi8EZNS0_22gpu_kernel_impl_nocastINS0_11FillFunctorIN3c1015Float8_e5m2fnuzEEEEEvRNS_18TensorIteratorBaseERKT_EUlibE_EEviT1_.uses_vcc, 1
	.set _ZN2at6native32elementwise_kernel_manual_unrollILi128ELi8EZNS0_22gpu_kernel_impl_nocastINS0_11FillFunctorIN3c1015Float8_e5m2fnuzEEEEEvRNS_18TensorIteratorBaseERKT_EUlibE_EEviT1_.uses_flat_scratch, 0
	.set _ZN2at6native32elementwise_kernel_manual_unrollILi128ELi8EZNS0_22gpu_kernel_impl_nocastINS0_11FillFunctorIN3c1015Float8_e5m2fnuzEEEEEvRNS_18TensorIteratorBaseERKT_EUlibE_EEviT1_.has_dyn_sized_stack, 0
	.set _ZN2at6native32elementwise_kernel_manual_unrollILi128ELi8EZNS0_22gpu_kernel_impl_nocastINS0_11FillFunctorIN3c1015Float8_e5m2fnuzEEEEEvRNS_18TensorIteratorBaseERKT_EUlibE_EEviT1_.has_recursion, 0
	.set _ZN2at6native32elementwise_kernel_manual_unrollILi128ELi8EZNS0_22gpu_kernel_impl_nocastINS0_11FillFunctorIN3c1015Float8_e5m2fnuzEEEEEvRNS_18TensorIteratorBaseERKT_EUlibE_EEviT1_.has_indirect_call, 0
	.section	.AMDGPU.csdata,"",@progbits
; Kernel info:
; codeLenInByte = 9820
; TotalNumSgprs: 57
; NumVgprs: 16
; ScratchSize: 0
; MemoryBound: 0
; FloatMode: 240
; IeeeMode: 1
; LDSByteSize: 0 bytes/workgroup (compile time only)
; SGPRBlocks: 7
; VGPRBlocks: 3
; NumSGPRsForWavesPerEU: 57
; NumVGPRsForWavesPerEU: 16
; Occupancy: 10
; WaveLimiterHint : 1
; COMPUTE_PGM_RSRC2:SCRATCH_EN: 0
; COMPUTE_PGM_RSRC2:USER_SGPR: 6
; COMPUTE_PGM_RSRC2:TRAP_HANDLER: 0
; COMPUTE_PGM_RSRC2:TGID_X_EN: 1
; COMPUTE_PGM_RSRC2:TGID_Y_EN: 0
; COMPUTE_PGM_RSRC2:TGID_Z_EN: 0
; COMPUTE_PGM_RSRC2:TIDIG_COMP_CNT: 0
	.section	.text._ZN2at6native32elementwise_kernel_manual_unrollILi128ELi4EZNS0_15gpu_kernel_implINS0_11FillFunctorIN3c1015Float8_e5m2fnuzEEEEEvRNS_18TensorIteratorBaseERKT_EUlibE_EEviT1_,"axG",@progbits,_ZN2at6native32elementwise_kernel_manual_unrollILi128ELi4EZNS0_15gpu_kernel_implINS0_11FillFunctorIN3c1015Float8_e5m2fnuzEEEEEvRNS_18TensorIteratorBaseERKT_EUlibE_EEviT1_,comdat
	.protected	_ZN2at6native32elementwise_kernel_manual_unrollILi128ELi4EZNS0_15gpu_kernel_implINS0_11FillFunctorIN3c1015Float8_e5m2fnuzEEEEEvRNS_18TensorIteratorBaseERKT_EUlibE_EEviT1_ ; -- Begin function _ZN2at6native32elementwise_kernel_manual_unrollILi128ELi4EZNS0_15gpu_kernel_implINS0_11FillFunctorIN3c1015Float8_e5m2fnuzEEEEEvRNS_18TensorIteratorBaseERKT_EUlibE_EEviT1_
	.globl	_ZN2at6native32elementwise_kernel_manual_unrollILi128ELi4EZNS0_15gpu_kernel_implINS0_11FillFunctorIN3c1015Float8_e5m2fnuzEEEEEvRNS_18TensorIteratorBaseERKT_EUlibE_EEviT1_
	.p2align	8
	.type	_ZN2at6native32elementwise_kernel_manual_unrollILi128ELi4EZNS0_15gpu_kernel_implINS0_11FillFunctorIN3c1015Float8_e5m2fnuzEEEEEvRNS_18TensorIteratorBaseERKT_EUlibE_EEviT1_,@function
_ZN2at6native32elementwise_kernel_manual_unrollILi128ELi4EZNS0_15gpu_kernel_implINS0_11FillFunctorIN3c1015Float8_e5m2fnuzEEEEEvRNS_18TensorIteratorBaseERKT_EUlibE_EEviT1_: ; @_ZN2at6native32elementwise_kernel_manual_unrollILi128ELi4EZNS0_15gpu_kernel_implINS0_11FillFunctorIN3c1015Float8_e5m2fnuzEEEEEvRNS_18TensorIteratorBaseERKT_EUlibE_EEviT1_
; %bb.0:
	s_load_dwordx4 s[0:3], s[4:5], 0x8
	s_load_dword s24, s[4:5], 0x0
	v_lshl_or_b32 v16, s6, 9, v0
	v_or_b32_e32 v0, 0x180, v16
	s_mov_b64 s[8:9], 0
	s_waitcnt lgkmcnt(0)
	s_bfe_u32 s30, s3, 0x80008
	v_cmp_le_i32_e32 vcc, s24, v0
	s_mov_b64 s[4:5], 0
	s_and_saveexec_b64 s[6:7], vcc
	s_xor_b64 s[6:7], exec, s[6:7]
	s_cbranch_execz .LBB126_1160
; %bb.1:
	s_and_b32 s5, s3, 3
	s_flbit_i32_b32 s11, s5
	s_min_u32 s11, s11, 32
	s_sub_i32 s12, s11, 29
	s_lshl_b32 s12, s3, s12
	s_and_b32 s31, s3, 0xff
	s_lshl_b32 s4, s3, 24
	s_bfe_u32 s10, s3, 0x50002
	s_sub_i32 s11, 30, s11
	s_and_b32 s12, s12, 3
	s_cmp_eq_u32 s10, 0
	s_cselect_b32 s10, s11, s10
	s_cselect_b32 s5, s12, s5
	s_lshl_b32 s10, s10, 23
	s_and_b32 s4, s4, 0x80000000
	s_add_i32 s10, s10, 0x37800000
	s_lshl_b32 s5, s5, 21
	s_or_b32 s4, s4, s10
	s_or_b32 s33, s4, s5
	v_trunc_f32_e32 v0, s33
	v_mul_f32_e32 v1, 0x2f800000, v0
	s_mov_b32 s11, 0x2f800000
	v_floor_f32_e32 v1, v1
	v_mov_b32_e32 v2, v0
	v_fmac_f32_e32 v2, 0xcf800000, v1
	v_cvt_u32_f32_e32 v9, v1
	v_mul_f32_e64 v1, |v0|, s11
	s_mov_b32 s12, 0xcf800000
	v_floor_f32_e32 v1, v1
	v_cvt_u32_f32_e32 v8, v2
	v_fma_f32 v2, v1, s12, |v0|
	v_cvt_u32_f32_e32 v2, v2
	v_cvt_u32_f32_e32 v1, v1
	v_ashrrev_i32_e32 v0, 31, v0
	v_cvt_u32_f32_e32 v15, s33
	s_or_b32 s34, s5, s10
	v_cvt_f64_f32_e32 v[6:7], s33
	v_cvt_f16_f32_e32 v13, s33
	v_xor_b32_e32 v2, v2, v0
	v_cvt_i32_f32_e32 v12, s33
	s_cmp_lg_u32 s31, 0
	v_xor_b32_e32 v1, v1, v0
	v_sub_co_u32_e32 v4, vcc, v2, v0
	s_cselect_b64 s[4:5], -1, 0
	v_subb_co_u32_e32 v5, vcc, v1, v0, vcc
	v_cndmask_b32_e64 v14, 0, 1, s[4:5]
	v_cmp_gt_i32_e32 vcc, s24, v16
	s_mov_b64 s[12:13], -1
	s_mov_b64 s[14:15], 0
	s_mov_b64 s[4:5], 0
	s_and_saveexec_b64 s[10:11], vcc
	s_cbranch_execz .LBB126_289
; %bb.2:
	v_mul_lo_u32 v0, v16, s2
	v_mov_b32_e32 v1, s1
	s_and_b32 s18, 0xffff, s30
	s_cmp_lt_i32 s18, 11
	v_ashrrev_i32_e32 v2, 31, v0
	v_add_co_u32_e32 v10, vcc, s0, v0
	v_addc_co_u32_e32 v11, vcc, v1, v2, vcc
	s_cbranch_scc1 .LBB126_11
; %bb.3:
	s_cmp_gt_i32 s18, 25
	s_cbranch_scc0 .LBB126_14
; %bb.4:
	s_cmp_gt_i32 s18, 28
	s_cbranch_scc0 .LBB126_15
	;; [unrolled: 3-line block ×4, first 2 shown]
; %bb.7:
	s_mov_b64 s[16:17], 0
	s_mov_b64 s[4:5], -1
	s_cmp_eq_u32 s18, 46
	s_mov_b64 s[12:13], 0
	s_cbranch_scc0 .LBB126_24
; %bb.8:
	s_cmpk_lt_i32 s31, 0x80
	s_cbranch_scc1 .LBB126_20
; %bb.9:
	s_and_b32 s4, 0xffff, s31
	s_cmpk_eq_i32 s4, 0x80
	s_mov_b64 s[4:5], -1
	s_cbranch_scc0 .LBB126_18
; %bb.10:
	s_mov_b64 s[4:5], 0
	s_mov_b32 s19, 0x7f800001
	s_and_b64 vcc, exec, s[12:13]
	s_cbranch_vccz .LBB126_21
	s_branch .LBB126_19
.LBB126_11:
	s_mov_b64 s[12:13], 0
	s_cbranch_execnz .LBB126_158
.LBB126_12:
	s_andn2_b64 vcc, exec, s[12:13]
	s_cbranch_vccnz .LBB126_287
.LBB126_13:
	v_add_u32_e32 v16, 0x80, v16
	s_mov_b64 s[12:13], -1
	s_branch .LBB126_288
.LBB126_14:
	s_mov_b64 s[12:13], 0
	s_cbranch_execnz .LBB126_92
	s_branch .LBB126_157
.LBB126_15:
	s_mov_b64 s[16:17], -1
	s_mov_b64 s[12:13], 0
	s_branch .LBB126_50
.LBB126_16:
	s_mov_b64 s[16:17], -1
	s_mov_b64 s[12:13], 0
	s_branch .LBB126_37
.LBB126_17:
	s_mov_b64 s[16:17], -1
	s_mov_b64 s[12:13], 0
	s_branch .LBB126_24
.LBB126_18:
	s_mov_b32 s19, 0x7f800001
	s_and_b64 vcc, exec, s[12:13]
	s_cbranch_vccz .LBB126_21
.LBB126_19:
	s_and_b32 s4, 0xffff, s31
	s_cmp_lg_u32 s4, 0
	s_mov_b32 s19, 0
	s_cselect_b64 s[4:5], -1, 0
	s_andn2_b64 vcc, exec, s[4:5]
	s_cbranch_vccz .LBB126_22
	s_branch .LBB126_23
.LBB126_20:
	s_mov_b64 s[4:5], 0
	s_mov_b32 s19, 0x7f800001
	s_cbranch_execnz .LBB126_19
.LBB126_21:
	s_andn2_b64 vcc, exec, s[4:5]
	s_cbranch_vccnz .LBB126_23
.LBB126_22:
	s_mov_b32 s19, s33
.LBB126_23:
	s_bfe_u32 s4, s19, 0x10010
	s_add_i32 s4, s19, s4
	s_addk_i32 s4, 0x7fff
	s_lshr_b32 s12, s4, 16
	v_cmp_o_f32_e64 s[4:5], s19, s19
	s_and_b64 s[4:5], s[4:5], exec
	s_cselect_b32 s4, s12, 0x7fc0
	v_mov_b32_e32 v0, s4
	global_store_dword v[10:11], v0, off
	s_mov_b64 s[12:13], -1
	s_mov_b64 s[4:5], 0
.LBB126_24:
	s_and_b64 vcc, exec, s[16:17]
	s_cbranch_vccz .LBB126_36
; %bb.25:
	s_cmp_eq_u32 s18, 44
	s_mov_b64 s[4:5], -1
	s_cbranch_scc0 .LBB126_36
; %bb.26:
	s_cmpk_lt_i32 s31, 0x80
	s_cbranch_scc1 .LBB126_30
; %bb.27:
	s_and_b32 s4, 0xffff, s31
	s_cmpk_eq_i32 s4, 0x80
	s_mov_b64 s[4:5], -1
	s_cbranch_scc0 .LBB126_29
; %bb.28:
	s_mov_b64 s[4:5], 0
.LBB126_29:
	s_mov_b64 s[12:13], 0
	s_branch .LBB126_31
.LBB126_30:
	s_mov_b64 s[12:13], -1
	s_mov_b64 s[4:5], 0
.LBB126_31:
	s_mov_b32 s16, 0x7f800001
	s_and_b64 vcc, exec, s[12:13]
	s_cbranch_vccz .LBB126_41
; %bb.32:
	s_and_b32 s16, 0xffff, s31
	s_cmp_lg_u32 s16, 0
	s_cselect_b64 s[4:5], -1, 0
	s_andn2_b64 vcc, exec, s[4:5]
	s_cbranch_vccz .LBB126_42
.LBB126_33:
	s_lshr_b32 s4, s16, 23
	s_cmpk_eq_i32 s4, 0xff
	v_mov_b32_e32 v0, 0xff
	s_cbranch_scc1 .LBB126_35
.LBB126_34:
	s_bitcmp1_b32 s16, 22
	s_cselect_b64 s[12:13], -1, 0
	s_and_b32 s5, s16, 0x3fffff
	s_or_b32 s5, s4, s5
	s_cmp_lg_u32 s5, 0
	s_cselect_b64 s[16:17], -1, 0
	s_and_b64 s[12:13], s[12:13], s[16:17]
	v_cndmask_b32_e64 v0, 0, 1, s[12:13]
	v_add_u32_e32 v0, s4, v0
.LBB126_35:
	s_mov_b64 s[12:13], -1
	s_mov_b64 s[4:5], 0
	global_store_byte v[10:11], v0, off
.LBB126_36:
	s_mov_b64 s[16:17], 0
.LBB126_37:
	s_and_b64 vcc, exec, s[16:17]
	s_cbranch_vccz .LBB126_49
; %bb.38:
	s_cmp_eq_u32 s18, 29
	s_mov_b64 s[4:5], -1
	s_cbranch_scc0 .LBB126_49
; %bb.39:
	s_cmpk_lt_i32 s31, 0x80
	s_cbranch_scc1 .LBB126_43
; %bb.40:
	s_and_b32 s4, 0xffff, s31
	s_cmpk_lg_i32 s4, 0x80
	s_mov_b64 s[12:13], 0
	s_cselect_b64 s[4:5], -1, 0
	s_branch .LBB126_44
.LBB126_41:
	s_andn2_b64 vcc, exec, s[4:5]
	s_cbranch_vccnz .LBB126_33
.LBB126_42:
	s_mov_b32 s16, s34
	s_lshr_b32 s4, s16, 23
	s_cmpk_eq_i32 s4, 0xff
	v_mov_b32_e32 v0, 0xff
	s_cbranch_scc0 .LBB126_34
	s_branch .LBB126_35
.LBB126_43:
	s_mov_b64 s[12:13], -1
	s_mov_b64 s[4:5], 0
.LBB126_44:
	s_andn2_b64 vcc, exec, s[12:13]
	s_cbranch_vccnz .LBB126_46
; %bb.45:
	s_and_b32 s4, 0xffff, s31
	s_cmp_lg_u32 s4, 0
	s_cselect_b64 s[4:5], -1, 0
.LBB126_46:
	v_mov_b32_e32 v0, 0
	s_andn2_b64 vcc, exec, s[4:5]
	v_mov_b32_e32 v1, 0
	s_cbranch_vccnz .LBB126_48
; %bb.47:
	v_mov_b32_e32 v0, v8
	v_mov_b32_e32 v1, v9
.LBB126_48:
	global_store_dwordx2 v[10:11], v[0:1], off
	s_mov_b64 s[12:13], -1
	s_mov_b64 s[4:5], 0
.LBB126_49:
	s_mov_b64 s[16:17], 0
.LBB126_50:
	s_and_b64 vcc, exec, s[16:17]
	s_cbranch_vccz .LBB126_91
; %bb.51:
	s_cmp_lt_i32 s18, 27
	s_mov_b64 s[12:13], -1
	s_cbranch_scc1 .LBB126_71
; %bb.52:
	s_cmp_gt_i32 s18, 27
	s_cbranch_scc0 .LBB126_61
; %bb.53:
	s_cmpk_lt_i32 s31, 0x80
	s_cbranch_scc1 .LBB126_55
; %bb.54:
	s_and_b32 s12, 0xffff, s31
	s_cmpk_lg_i32 s12, 0x80
	s_mov_b64 s[16:17], 0
	s_cselect_b64 s[12:13], -1, 0
	s_branch .LBB126_56
.LBB126_55:
	s_mov_b64 s[16:17], -1
	s_mov_b64 s[12:13], 0
.LBB126_56:
	s_andn2_b64 vcc, exec, s[16:17]
	s_cbranch_vccnz .LBB126_58
; %bb.57:
	s_and_b32 s12, 0xffff, s31
	s_cmp_lg_u32 s12, 0
	s_cselect_b64 s[12:13], -1, 0
.LBB126_58:
	s_andn2_b64 vcc, exec, s[12:13]
	v_mov_b32_e32 v0, 0
	s_cbranch_vccnz .LBB126_60
; %bb.59:
	v_mov_b32_e32 v0, v15
.LBB126_60:
	global_store_dword v[10:11], v0, off
	s_mov_b64 s[12:13], 0
.LBB126_61:
	s_and_b64 vcc, exec, s[12:13]
	s_cbranch_vccz .LBB126_70
; %bb.62:
	s_cmpk_lt_i32 s31, 0x80
	s_cbranch_scc1 .LBB126_64
; %bb.63:
	s_and_b32 s12, 0xffff, s31
	s_cmpk_lg_i32 s12, 0x80
	s_mov_b64 s[16:17], 0
	s_cselect_b64 s[12:13], -1, 0
	s_branch .LBB126_65
.LBB126_64:
	s_mov_b64 s[16:17], -1
	s_mov_b64 s[12:13], 0
.LBB126_65:
	s_andn2_b64 vcc, exec, s[16:17]
	s_cbranch_vccnz .LBB126_67
; %bb.66:
	s_and_b32 s12, 0xffff, s31
	s_cmp_lg_u32 s12, 0
	s_cselect_b64 s[12:13], -1, 0
.LBB126_67:
	s_andn2_b64 vcc, exec, s[12:13]
	v_mov_b32_e32 v0, 0
	s_cbranch_vccnz .LBB126_69
; %bb.68:
	v_mov_b32_e32 v0, v15
.LBB126_69:
	global_store_short v[10:11], v0, off
.LBB126_70:
	s_mov_b64 s[12:13], 0
.LBB126_71:
	s_andn2_b64 vcc, exec, s[12:13]
	s_cbranch_vccnz .LBB126_90
; %bb.72:
	s_cmpk_lt_i32 s31, 0x80
	s_cbranch_scc1 .LBB126_76
; %bb.73:
	s_and_b32 s12, 0xffff, s31
	s_cmpk_eq_i32 s12, 0x80
	s_mov_b64 s[12:13], -1
	s_cbranch_scc0 .LBB126_75
; %bb.74:
	s_mov_b64 s[12:13], 0
.LBB126_75:
	s_mov_b64 s[16:17], 0
	s_branch .LBB126_77
.LBB126_76:
	s_mov_b64 s[16:17], -1
	s_mov_b64 s[12:13], 0
.LBB126_77:
	s_mov_b32 s19, 0x7f800001
	s_and_b64 vcc, exec, s[16:17]
	s_cbranch_vccz .LBB126_80
; %bb.78:
	s_and_b32 s12, 0xffff, s31
	s_cmp_lg_u32 s12, 0
	s_mov_b32 s19, 0
	s_cselect_b64 s[12:13], -1, 0
	s_andn2_b64 vcc, exec, s[12:13]
	s_cbranch_vccz .LBB126_81
.LBB126_79:
	s_and_b32 s12, s19, 0x7fffffff
	s_cmp_gt_u32 s12, 0x437fffff
	v_mov_b32_e32 v1, 0x80
	s_cbranch_scc0 .LBB126_82
	s_branch .LBB126_89
.LBB126_80:
	s_andn2_b64 vcc, exec, s[12:13]
	s_cbranch_vccnz .LBB126_79
.LBB126_81:
	s_mov_b32 s19, s33
	s_and_b32 s12, s19, 0x7fffffff
	s_cmp_gt_u32 s12, 0x437fffff
	v_mov_b32_e32 v1, 0x80
	s_cbranch_scc1 .LBB126_89
.LBB126_82:
	s_cmp_gt_u32 s12, 0x3bffffff
	s_cbranch_scc0 .LBB126_84
; %bb.83:
	s_bfe_u32 s12, s19, 0x10014
	s_add_i32 s12, s19, s12
	s_add_i32 s12, s12, 0x487ffff
	s_lshr_b32 s20, s12, 20
	s_mov_b64 s[16:17], 0
	s_mov_b64 s[12:13], -1
	s_branch .LBB126_85
.LBB126_84:
	s_mov_b64 s[16:17], -1
	s_mov_b64 s[12:13], 0
                                        ; implicit-def: $sgpr20
.LBB126_85:
	s_andn2_b64 vcc, exec, s[16:17]
	v_mov_b32_e32 v0, s20
	s_cbranch_vccnz .LBB126_87
; %bb.86:
	v_mov_b32_e32 v0, 0x46000000
	v_add_f32_e64 v0, |s19|, v0
	v_and_b32_e32 v0, 0xff, v0
	v_cmp_ne_u32_e64 s[12:13], 0, v0
.LBB126_87:
	s_andn2_b64 vcc, exec, s[12:13]
	v_mov_b32_e32 v1, 0
	s_cbranch_vccnz .LBB126_89
; %bb.88:
	s_lshr_b32 s12, s19, 24
	s_and_b32 s12, s12, 0x80
	v_or_b32_e32 v1, s12, v0
.LBB126_89:
	global_store_byte v[10:11], v1, off
.LBB126_90:
	s_mov_b64 s[12:13], -1
.LBB126_91:
	s_branch .LBB126_157
.LBB126_92:
	s_cmp_gt_i32 s18, 22
	s_mov_b64 s[16:17], -1
	s_cbranch_scc0 .LBB126_140
; %bb.93:
	s_cmp_lt_i32 s18, 24
	s_mov_b64 s[12:13], -1
	s_cbranch_scc1 .LBB126_118
; %bb.94:
	s_cmp_gt_i32 s18, 24
	s_cbranch_scc0 .LBB126_96
; %bb.95:
	v_mov_b32_e32 v0, s3
	global_store_byte v[10:11], v0, off
	s_mov_b64 s[12:13], 0
.LBB126_96:
	s_andn2_b64 vcc, exec, s[12:13]
	s_cbranch_vccnz .LBB126_117
; %bb.97:
	s_cmpk_lt_i32 s31, 0x80
	s_cbranch_scc1 .LBB126_101
; %bb.98:
	s_and_b32 s12, 0xffff, s31
	s_cmpk_eq_i32 s12, 0x80
	s_mov_b64 s[12:13], -1
	s_cbranch_scc0 .LBB126_100
; %bb.99:
	s_mov_b64 s[12:13], 0
.LBB126_100:
	s_mov_b64 s[16:17], 0
	s_branch .LBB126_102
.LBB126_101:
	s_mov_b64 s[12:13], 0
.LBB126_102:
	s_mov_b32 s19, 0x7f800001
	s_and_b64 vcc, exec, s[16:17]
	s_cbranch_vccz .LBB126_107
; %bb.103:
	s_and_b32 s12, 0xffff, s31
	s_cmp_lg_u32 s12, 0
	s_mov_b32 s19, 0
	s_cselect_b64 s[12:13], -1, 0
	s_andn2_b64 vcc, exec, s[12:13]
	s_cbranch_vccz .LBB126_108
.LBB126_104:
	s_and_b32 s16, s19, 0x7fffffff
	s_cmp_lt_u32 s16, 0x43f00000
	s_cbranch_scc0 .LBB126_109
.LBB126_105:
	s_cmp_gt_u32 s16, 0x3c7fffff
	s_cbranch_scc0 .LBB126_110
; %bb.106:
	s_bfe_u32 s12, s19, 0x10014
	s_add_i32 s12, s19, s12
	s_add_i32 s12, s12, 0x407ffff
	s_lshr_b32 s13, s12, 20
	s_and_b32 s12, s12, 0xff00000
	s_cmp_lg_u32 s12, 0x7f00000
	s_cselect_b32 s17, s13, 0x7e
	s_mov_b64 s[12:13], 0
	s_branch .LBB126_111
.LBB126_107:
	s_andn2_b64 vcc, exec, s[12:13]
	s_cbranch_vccnz .LBB126_104
.LBB126_108:
	s_mov_b32 s19, s33
	s_and_b32 s16, s19, 0x7fffffff
	s_cmp_lt_u32 s16, 0x43f00000
	s_cbranch_scc1 .LBB126_105
.LBB126_109:
	s_mov_b64 s[12:13], -1
                                        ; implicit-def: $vgpr0
	s_branch .LBB126_114
.LBB126_110:
	s_mov_b64 s[12:13], -1
                                        ; implicit-def: $sgpr17
.LBB126_111:
	s_andn2_b64 vcc, exec, s[12:13]
	v_mov_b32_e32 v0, s17
	s_cbranch_vccnz .LBB126_113
; %bb.112:
	v_mov_b32_e32 v0, 0x46800000
	v_add_f32_e64 v0, |s19|, v0
.LBB126_113:
	s_mov_b64 s[12:13], 0
.LBB126_114:
	s_andn2_b64 vcc, exec, s[12:13]
	s_cbranch_vccnz .LBB126_116
; %bb.115:
	s_cmp_gt_u32 s16, 0x7f800000
	s_movk_i32 s12, 0x7f
	s_cselect_b32 s12, s12, 0x7e
	v_mov_b32_e32 v0, s12
.LBB126_116:
	s_lshr_b32 s12, s19, 24
	s_and_b32 s12, s12, 0x80
	v_or_b32_e32 v0, s12, v0
	global_store_byte v[10:11], v0, off
.LBB126_117:
	s_mov_b64 s[12:13], 0
.LBB126_118:
	s_andn2_b64 vcc, exec, s[12:13]
	s_cbranch_vccnz .LBB126_139
; %bb.119:
	s_cmpk_lt_i32 s31, 0x80
	s_cbranch_scc1 .LBB126_123
; %bb.120:
	s_and_b32 s12, 0xffff, s31
	s_cmpk_eq_i32 s12, 0x80
	s_mov_b64 s[12:13], -1
	s_cbranch_scc0 .LBB126_122
; %bb.121:
	s_mov_b64 s[12:13], 0
.LBB126_122:
	s_mov_b64 s[16:17], 0
	s_branch .LBB126_124
.LBB126_123:
	s_mov_b64 s[16:17], -1
	s_mov_b64 s[12:13], 0
.LBB126_124:
	s_mov_b32 s19, 0x7f800001
	s_and_b64 vcc, exec, s[16:17]
	s_cbranch_vccz .LBB126_129
; %bb.125:
	s_and_b32 s12, 0xffff, s31
	s_cmp_lg_u32 s12, 0
	s_mov_b32 s19, 0
	s_cselect_b64 s[12:13], -1, 0
	s_andn2_b64 vcc, exec, s[12:13]
	s_cbranch_vccz .LBB126_130
.LBB126_126:
	s_and_b32 s16, s19, 0x7fffffff
	s_cmp_lt_u32 s16, 0x47800000
	s_cbranch_scc0 .LBB126_131
.LBB126_127:
	s_cmp_gt_u32 s16, 0x387fffff
	s_cbranch_scc0 .LBB126_132
; %bb.128:
	s_bfe_u32 s12, s19, 0x10015
	s_add_i32 s12, s19, s12
	s_add_i32 s12, s12, 0x80fffff
	s_lshr_b32 s17, s12, 21
	s_mov_b64 s[12:13], 0
	s_branch .LBB126_133
.LBB126_129:
	s_andn2_b64 vcc, exec, s[12:13]
	s_cbranch_vccnz .LBB126_126
.LBB126_130:
	s_mov_b32 s19, s33
	s_and_b32 s16, s19, 0x7fffffff
	s_cmp_lt_u32 s16, 0x47800000
	s_cbranch_scc1 .LBB126_127
.LBB126_131:
	s_mov_b64 s[12:13], -1
                                        ; implicit-def: $vgpr0
	s_branch .LBB126_136
.LBB126_132:
	s_mov_b64 s[12:13], -1
                                        ; implicit-def: $sgpr17
.LBB126_133:
	s_andn2_b64 vcc, exec, s[12:13]
	v_mov_b32_e32 v0, s17
	s_cbranch_vccnz .LBB126_135
; %bb.134:
	v_mov_b32_e32 v0, 0x43000000
	v_add_f32_e64 v0, |s19|, v0
.LBB126_135:
	s_mov_b64 s[12:13], 0
.LBB126_136:
	s_andn2_b64 vcc, exec, s[12:13]
	s_cbranch_vccnz .LBB126_138
; %bb.137:
	s_cmp_gt_u32 s16, 0x7f800000
	s_movk_i32 s12, 0x7f
	s_cselect_b32 s12, s12, 0x7c
	v_mov_b32_e32 v0, s12
.LBB126_138:
	s_lshr_b32 s12, s19, 24
	s_and_b32 s12, s12, 0x80
	v_or_b32_e32 v0, s12, v0
	global_store_byte v[10:11], v0, off
.LBB126_139:
	s_mov_b64 s[16:17], 0
	s_mov_b64 s[12:13], -1
.LBB126_140:
	s_andn2_b64 vcc, exec, s[16:17]
	s_cbranch_vccnz .LBB126_157
; %bb.141:
	s_cmp_gt_i32 s18, 14
	s_mov_b64 s[16:17], -1
	s_cbranch_scc0 .LBB126_154
; %bb.142:
	s_cmp_eq_u32 s18, 15
	s_mov_b64 s[4:5], -1
	s_cbranch_scc0 .LBB126_153
; %bb.143:
	s_cmpk_lt_i32 s31, 0x80
	s_cbranch_scc1 .LBB126_147
; %bb.144:
	s_and_b32 s4, 0xffff, s31
	s_cmpk_eq_i32 s4, 0x80
	s_mov_b64 s[4:5], -1
	s_cbranch_scc0 .LBB126_146
; %bb.145:
	s_mov_b64 s[4:5], 0
.LBB126_146:
	s_mov_b64 s[12:13], 0
	s_branch .LBB126_148
.LBB126_147:
	s_mov_b64 s[12:13], -1
	s_mov_b64 s[4:5], 0
.LBB126_148:
	s_mov_b32 s16, 0x7f800001
	s_and_b64 vcc, exec, s[12:13]
	s_cbranch_vccz .LBB126_150
; %bb.149:
	s_and_b32 s4, 0xffff, s31
	s_cmp_lg_u32 s4, 0
	s_mov_b32 s16, 0
	s_cselect_b64 s[4:5], -1, 0
.LBB126_150:
	s_andn2_b64 vcc, exec, s[4:5]
	s_cbranch_vccnz .LBB126_152
; %bb.151:
	s_mov_b32 s16, s33
.LBB126_152:
	s_bfe_u32 s4, s16, 0x10010
	s_add_i32 s4, s16, s4
	s_addk_i32 s4, 0x7fff
	s_lshr_b32 s12, s4, 16
	v_cmp_o_f32_e64 s[4:5], s16, s16
	s_and_b64 s[4:5], s[4:5], exec
	s_cselect_b32 s4, s12, 0x7fc0
	v_mov_b32_e32 v0, s4
	global_store_short v[10:11], v0, off
	s_mov_b64 s[12:13], -1
	s_mov_b64 s[4:5], 0
.LBB126_153:
	s_mov_b64 s[16:17], 0
.LBB126_154:
	s_and_b64 vcc, exec, s[16:17]
	s_cbranch_vccz .LBB126_157
; %bb.155:
	s_cmp_eq_u32 s18, 11
	s_mov_b64 s[4:5], -1
	s_cbranch_scc0 .LBB126_157
; %bb.156:
	s_mov_b64 s[12:13], -1
	s_mov_b64 s[4:5], 0
	global_store_byte v[10:11], v14, off
.LBB126_157:
	s_branch .LBB126_12
.LBB126_158:
	s_cmp_lt_i32 s18, 5
	s_mov_b64 s[12:13], -1
	s_cbranch_scc1 .LBB126_235
; %bb.159:
	s_cmp_lt_i32 s18, 8
	s_cbranch_scc1 .LBB126_197
; %bb.160:
	s_cmp_lt_i32 s18, 9
	s_cbranch_scc1 .LBB126_185
; %bb.161:
	s_cmp_gt_i32 s18, 9
	s_cbranch_scc0 .LBB126_173
; %bb.162:
	s_cmpk_lt_i32 s31, 0x80
	s_cbranch_scc1 .LBB126_166
; %bb.163:
	s_and_b32 s12, 0xffff, s31
	s_cmpk_eq_i32 s12, 0x80
	s_mov_b64 s[12:13], -1
	s_cbranch_scc0 .LBB126_165
; %bb.164:
	s_mov_b64 s[12:13], 0
.LBB126_165:
	s_mov_b64 s[16:17], 0
	s_branch .LBB126_167
.LBB126_166:
	s_mov_b64 s[16:17], -1
	s_mov_b64 s[12:13], 0
.LBB126_167:
	s_and_b64 vcc, exec, s[16:17]
	s_cbranch_vccz .LBB126_169
; %bb.168:
	s_and_b32 s12, 0xffff, s31
	s_cmp_lg_u32 s12, 0
	s_mov_b64 s[16:17], 0
	s_cselect_b64 s[12:13], -1, 0
	s_branch .LBB126_170
.LBB126_169:
	s_mov_b32 s17, 0x7ff80000
	s_brev_b32 s16, 4
.LBB126_170:
	v_mov_b32_e32 v0, s16
	s_andn2_b64 vcc, exec, s[12:13]
	v_mov_b32_e32 v1, s17
	s_cbranch_vccnz .LBB126_172
; %bb.171:
	v_mov_b32_e32 v0, v6
	v_mov_b32_e32 v1, v7
.LBB126_172:
	v_mov_b32_e32 v2, 0
	v_mov_b32_e32 v3, v2
	global_store_dwordx4 v[10:11], v[0:3], off
	s_mov_b64 s[12:13], 0
.LBB126_173:
	s_and_b64 vcc, exec, s[12:13]
	s_cbranch_vccz .LBB126_184
; %bb.174:
	s_cmpk_lt_i32 s31, 0x80
	s_cbranch_scc1 .LBB126_178
; %bb.175:
	s_and_b32 s12, 0xffff, s31
	s_cmpk_eq_i32 s12, 0x80
	s_mov_b64 s[12:13], -1
	s_cbranch_scc0 .LBB126_177
; %bb.176:
	s_mov_b64 s[12:13], 0
.LBB126_177:
	s_mov_b64 s[16:17], 0
	s_branch .LBB126_179
.LBB126_178:
	s_mov_b64 s[16:17], -1
	s_mov_b64 s[12:13], 0
.LBB126_179:
	s_mov_b32 s19, 0x7f800001
	s_and_b64 vcc, exec, s[16:17]
	s_cbranch_vccz .LBB126_181
; %bb.180:
	s_and_b32 s19, 0xffff, s31
	s_cmp_lg_u32 s19, 0
	s_cselect_b64 s[12:13], -1, 0
.LBB126_181:
	s_andn2_b64 vcc, exec, s[12:13]
	s_cbranch_vccnz .LBB126_183
; %bb.182:
	s_mov_b32 s19, s33
.LBB126_183:
	v_mov_b32_e32 v0, s19
	v_mov_b32_e32 v1, 0
	global_store_dwordx2 v[10:11], v[0:1], off
.LBB126_184:
	s_mov_b64 s[12:13], 0
.LBB126_185:
	s_andn2_b64 vcc, exec, s[12:13]
	s_cbranch_vccnz .LBB126_196
; %bb.186:
	s_cmpk_lt_i32 s31, 0x80
	s_cbranch_scc1 .LBB126_190
; %bb.187:
	s_and_b32 s12, 0xffff, s31
	s_cmpk_eq_i32 s12, 0x80
	s_mov_b64 s[12:13], -1
	s_cbranch_scc0 .LBB126_189
; %bb.188:
	s_mov_b64 s[12:13], 0
.LBB126_189:
	s_mov_b64 s[16:17], 0
	s_branch .LBB126_191
.LBB126_190:
	s_mov_b64 s[16:17], -1
	s_mov_b64 s[12:13], 0
.LBB126_191:
	s_movk_i32 s19, 0x7e00
	s_and_b64 vcc, exec, s[16:17]
	s_cbranch_vccz .LBB126_193
; %bb.192:
	s_and_b32 s19, 0xffff, s31
	s_cmp_lg_u32 s19, 0
	s_cselect_b64 s[12:13], -1, 0
.LBB126_193:
	s_andn2_b64 vcc, exec, s[12:13]
	v_mov_b32_e32 v0, s19
	s_cbranch_vccnz .LBB126_195
; %bb.194:
	v_mov_b32_e32 v0, v13
.LBB126_195:
	global_store_dword v[10:11], v0, off
.LBB126_196:
	s_mov_b64 s[12:13], 0
.LBB126_197:
	s_andn2_b64 vcc, exec, s[12:13]
	s_cbranch_vccnz .LBB126_234
; %bb.198:
	s_cmp_lt_i32 s18, 6
	s_mov_b64 s[12:13], -1
	s_cbranch_scc1 .LBB126_223
; %bb.199:
	s_cmp_gt_i32 s18, 6
	s_cbranch_scc0 .LBB126_211
; %bb.200:
	s_cmpk_lt_i32 s31, 0x80
	s_cbranch_scc1 .LBB126_204
; %bb.201:
	s_and_b32 s12, 0xffff, s31
	s_cmpk_eq_i32 s12, 0x80
	s_mov_b64 s[12:13], -1
	s_cbranch_scc0 .LBB126_203
; %bb.202:
	s_mov_b64 s[12:13], 0
.LBB126_203:
	s_mov_b64 s[16:17], 0
	s_branch .LBB126_205
.LBB126_204:
	s_mov_b64 s[16:17], -1
	s_mov_b64 s[12:13], 0
.LBB126_205:
	s_and_b64 vcc, exec, s[16:17]
	s_cbranch_vccz .LBB126_207
; %bb.206:
	s_and_b32 s12, 0xffff, s31
	s_cmp_lg_u32 s12, 0
	s_mov_b64 s[16:17], 0
	s_cselect_b64 s[12:13], -1, 0
	s_branch .LBB126_208
.LBB126_207:
	s_mov_b32 s17, 0x7ff80000
	s_brev_b32 s16, 4
.LBB126_208:
	v_mov_b32_e32 v0, s16
	s_andn2_b64 vcc, exec, s[12:13]
	v_mov_b32_e32 v1, s17
	s_cbranch_vccnz .LBB126_210
; %bb.209:
	v_mov_b32_e32 v0, v6
	v_mov_b32_e32 v1, v7
.LBB126_210:
	global_store_dwordx2 v[10:11], v[0:1], off
	s_mov_b64 s[12:13], 0
.LBB126_211:
	s_and_b64 vcc, exec, s[12:13]
	s_cbranch_vccz .LBB126_222
; %bb.212:
	s_cmpk_lt_i32 s31, 0x80
	s_cbranch_scc1 .LBB126_216
; %bb.213:
	s_and_b32 s12, 0xffff, s31
	s_cmpk_eq_i32 s12, 0x80
	s_mov_b64 s[12:13], -1
	s_cbranch_scc0 .LBB126_215
; %bb.214:
	s_mov_b64 s[12:13], 0
.LBB126_215:
	s_mov_b64 s[16:17], 0
	s_branch .LBB126_217
.LBB126_216:
	s_mov_b64 s[16:17], -1
	s_mov_b64 s[12:13], 0
.LBB126_217:
	s_mov_b32 s19, 0x7f800001
	s_and_b64 vcc, exec, s[16:17]
	s_cbranch_vccz .LBB126_219
; %bb.218:
	s_and_b32 s12, 0xffff, s31
	s_cmp_lg_u32 s12, 0
	s_mov_b32 s19, 0
	s_cselect_b64 s[12:13], -1, 0
.LBB126_219:
	s_andn2_b64 vcc, exec, s[12:13]
	s_cbranch_vccnz .LBB126_221
; %bb.220:
	s_mov_b32 s19, s33
.LBB126_221:
	v_mov_b32_e32 v0, s19
	global_store_dword v[10:11], v0, off
.LBB126_222:
	s_mov_b64 s[12:13], 0
.LBB126_223:
	s_andn2_b64 vcc, exec, s[12:13]
	s_cbranch_vccnz .LBB126_234
; %bb.224:
	s_cmpk_lt_i32 s31, 0x80
	s_cbranch_scc1 .LBB126_228
; %bb.225:
	s_and_b32 s12, 0xffff, s31
	s_cmpk_eq_i32 s12, 0x80
	s_mov_b64 s[12:13], -1
	s_cbranch_scc0 .LBB126_227
; %bb.226:
	s_mov_b64 s[12:13], 0
.LBB126_227:
	s_mov_b64 s[16:17], 0
	s_branch .LBB126_229
.LBB126_228:
	s_mov_b64 s[16:17], -1
	s_mov_b64 s[12:13], 0
.LBB126_229:
	s_movk_i32 s19, 0x7e00
	s_and_b64 vcc, exec, s[16:17]
	s_cbranch_vccz .LBB126_231
; %bb.230:
	s_and_b32 s12, 0xffff, s31
	s_cmp_lg_u32 s12, 0
	s_cselect_b64 s[12:13], -1, 0
	s_mov_b32 s19, s31
.LBB126_231:
	s_andn2_b64 vcc, exec, s[12:13]
	v_mov_b32_e32 v0, s19
	s_cbranch_vccnz .LBB126_233
; %bb.232:
	v_mov_b32_e32 v0, v13
.LBB126_233:
	global_store_short v[10:11], v0, off
.LBB126_234:
	s_mov_b64 s[12:13], 0
.LBB126_235:
	s_andn2_b64 vcc, exec, s[12:13]
	s_cbranch_vccnz .LBB126_286
; %bb.236:
	s_cmp_lt_i32 s18, 2
	s_mov_b64 s[12:13], -1
	s_cbranch_scc1 .LBB126_267
; %bb.237:
	s_cmp_lt_i32 s18, 3
	s_cbranch_scc1 .LBB126_257
; %bb.238:
	s_cmp_gt_i32 s18, 3
	s_cbranch_scc0 .LBB126_247
; %bb.239:
	s_cmpk_lt_i32 s31, 0x80
	s_cbranch_scc1 .LBB126_241
; %bb.240:
	s_and_b32 s12, 0xffff, s31
	s_cmpk_lg_i32 s12, 0x80
	s_mov_b64 s[16:17], 0
	s_cselect_b64 s[12:13], -1, 0
	s_branch .LBB126_242
.LBB126_241:
	s_mov_b64 s[16:17], -1
	s_mov_b64 s[12:13], 0
.LBB126_242:
	s_andn2_b64 vcc, exec, s[16:17]
	s_cbranch_vccnz .LBB126_244
; %bb.243:
	s_and_b32 s12, 0xffff, s31
	s_cmp_lg_u32 s12, 0
	s_cselect_b64 s[12:13], -1, 0
.LBB126_244:
	v_mov_b32_e32 v0, 0
	s_andn2_b64 vcc, exec, s[12:13]
	v_mov_b32_e32 v1, 0
	s_cbranch_vccnz .LBB126_246
; %bb.245:
	v_mov_b32_e32 v0, v4
	v_mov_b32_e32 v1, v5
.LBB126_246:
	global_store_dwordx2 v[10:11], v[0:1], off
	s_mov_b64 s[12:13], 0
.LBB126_247:
	s_and_b64 vcc, exec, s[12:13]
	s_cbranch_vccz .LBB126_256
; %bb.248:
	s_cmpk_lt_i32 s31, 0x80
	s_cbranch_scc1 .LBB126_250
; %bb.249:
	s_and_b32 s12, 0xffff, s31
	s_cmpk_lg_i32 s12, 0x80
	s_mov_b64 s[16:17], 0
	s_cselect_b64 s[12:13], -1, 0
	s_branch .LBB126_251
.LBB126_250:
	s_mov_b64 s[16:17], -1
	s_mov_b64 s[12:13], 0
.LBB126_251:
	s_andn2_b64 vcc, exec, s[16:17]
	s_cbranch_vccnz .LBB126_253
; %bb.252:
	s_and_b32 s12, 0xffff, s31
	s_cmp_lg_u32 s12, 0
	s_cselect_b64 s[12:13], -1, 0
.LBB126_253:
	s_andn2_b64 vcc, exec, s[12:13]
	v_mov_b32_e32 v0, 0
	s_cbranch_vccnz .LBB126_255
; %bb.254:
	v_mov_b32_e32 v0, v12
.LBB126_255:
	global_store_dword v[10:11], v0, off
.LBB126_256:
	s_mov_b64 s[12:13], 0
.LBB126_257:
	s_andn2_b64 vcc, exec, s[12:13]
	s_cbranch_vccnz .LBB126_266
; %bb.258:
	s_cmpk_lt_i32 s31, 0x80
	s_cbranch_scc1 .LBB126_260
; %bb.259:
	s_and_b32 s12, 0xffff, s31
	s_cmpk_lg_i32 s12, 0x80
	s_mov_b64 s[16:17], 0
	s_cselect_b64 s[12:13], -1, 0
	s_branch .LBB126_261
.LBB126_260:
	s_mov_b64 s[16:17], -1
	s_mov_b64 s[12:13], 0
.LBB126_261:
	s_andn2_b64 vcc, exec, s[16:17]
	s_cbranch_vccnz .LBB126_263
; %bb.262:
	s_and_b32 s12, 0xffff, s31
	s_cmp_lg_u32 s12, 0
	s_cselect_b64 s[12:13], -1, 0
.LBB126_263:
	s_andn2_b64 vcc, exec, s[12:13]
	v_mov_b32_e32 v0, 0
	s_cbranch_vccnz .LBB126_265
; %bb.264:
	v_mov_b32_e32 v0, v12
.LBB126_265:
	global_store_short v[10:11], v0, off
.LBB126_266:
	s_mov_b64 s[12:13], 0
.LBB126_267:
	s_andn2_b64 vcc, exec, s[12:13]
	s_cbranch_vccnz .LBB126_286
; %bb.268:
	s_cmp_gt_i32 s18, 0
	s_mov_b64 s[12:13], -1
	s_cbranch_scc0 .LBB126_277
; %bb.269:
	s_cmpk_lt_i32 s31, 0x80
	s_cbranch_scc1 .LBB126_271
; %bb.270:
	s_and_b32 s12, 0xffff, s31
	s_cmpk_lg_i32 s12, 0x80
	s_mov_b64 s[16:17], 0
	s_cselect_b64 s[12:13], -1, 0
	s_branch .LBB126_272
.LBB126_271:
	s_mov_b64 s[16:17], -1
	s_mov_b64 s[12:13], 0
.LBB126_272:
	s_andn2_b64 vcc, exec, s[16:17]
	s_cbranch_vccnz .LBB126_274
; %bb.273:
	s_and_b32 s12, 0xffff, s31
	s_cmp_lg_u32 s12, 0
	s_cselect_b64 s[12:13], -1, 0
.LBB126_274:
	s_andn2_b64 vcc, exec, s[12:13]
	v_mov_b32_e32 v0, 0
	s_cbranch_vccnz .LBB126_276
; %bb.275:
	v_mov_b32_e32 v0, v12
.LBB126_276:
	global_store_byte v[10:11], v0, off
	s_mov_b64 s[12:13], 0
.LBB126_277:
	s_and_b64 vcc, exec, s[12:13]
	s_cbranch_vccz .LBB126_286
; %bb.278:
	s_cmpk_lt_i32 s31, 0x80
	s_cbranch_scc1 .LBB126_280
; %bb.279:
	s_and_b32 s12, 0xffff, s31
	s_cmpk_lg_i32 s12, 0x80
	s_mov_b64 s[16:17], 0
	s_cselect_b64 s[12:13], -1, 0
	s_branch .LBB126_281
.LBB126_280:
	s_mov_b64 s[16:17], -1
	s_mov_b64 s[12:13], 0
.LBB126_281:
	s_andn2_b64 vcc, exec, s[16:17]
	s_cbranch_vccnz .LBB126_283
; %bb.282:
	s_and_b32 s12, 0xffff, s31
	s_cmp_lg_u32 s12, 0
	s_cselect_b64 s[12:13], -1, 0
.LBB126_283:
	s_andn2_b64 vcc, exec, s[12:13]
	v_mov_b32_e32 v0, 0
	s_cbranch_vccnz .LBB126_285
; %bb.284:
	v_mov_b32_e32 v0, v4
.LBB126_285:
	global_store_byte v[10:11], v0, off
.LBB126_286:
	s_branch .LBB126_13
.LBB126_287:
	s_mov_b64 s[12:13], 0
                                        ; implicit-def: $vgpr16
.LBB126_288:
	s_and_b64 s[4:5], s[4:5], exec
	s_orn2_b64 s[12:13], s[12:13], exec
.LBB126_289:
	s_or_b64 exec, exec, s[10:11]
	s_mov_b64 s[16:17], 0
                                        ; implicit-def: $vgpr10_vgpr11
	s_and_saveexec_b64 s[10:11], s[12:13]
	s_cbranch_execz .LBB126_300
; %bb.290:
	v_cmp_gt_i32_e32 vcc, s24, v16
	s_mov_b64 s[18:19], -1
	s_mov_b64 s[12:13], s[4:5]
	s_and_saveexec_b64 s[14:15], vcc
	s_cbranch_execz .LBB126_582
; %bb.291:
	v_mul_lo_u32 v0, v16, s2
	v_mov_b32_e32 v1, s1
	s_and_b32 s20, 0xffff, s30
	s_cmp_lt_i32 s20, 11
	v_ashrrev_i32_e32 v2, 31, v0
	v_add_co_u32_e32 v10, vcc, s0, v0
	v_addc_co_u32_e32 v11, vcc, v1, v2, vcc
	s_cbranch_scc1 .LBB126_303
; %bb.292:
	s_cmp_gt_i32 s20, 25
	s_cbranch_scc0 .LBB126_306
; %bb.293:
	s_cmp_gt_i32 s20, 28
	s_cbranch_scc0 .LBB126_307
	;; [unrolled: 3-line block ×4, first 2 shown]
; %bb.296:
	s_mov_b64 s[18:19], 0
	s_mov_b64 s[12:13], -1
	s_cmp_eq_u32 s20, 46
	s_cbranch_scc0 .LBB126_316
; %bb.297:
	s_cmpk_lt_i32 s31, 0x80
	s_cbranch_scc1 .LBB126_312
; %bb.298:
	s_and_b32 s12, 0xffff, s31
	s_cmpk_eq_i32 s12, 0x80
	s_mov_b64 s[12:13], -1
	s_cbranch_scc0 .LBB126_310
; %bb.299:
	s_mov_b64 s[12:13], 0
	s_mov_b32 s21, 0x7f800001
	s_and_b64 vcc, exec, s[16:17]
	s_cbranch_vccz .LBB126_313
	s_branch .LBB126_311
.LBB126_300:
	s_or_b64 exec, exec, s[10:11]
	s_mov_b64 s[10:11], 0
	s_and_saveexec_b64 s[12:13], s[4:5]
	s_cbranch_execnz .LBB126_1029
.LBB126_301:
	s_or_b64 exec, exec, s[12:13]
	s_and_saveexec_b64 s[4:5], s[14:15]
	s_xor_b64 s[4:5], exec, s[4:5]
	s_cbranch_execz .LBB126_1030
.LBB126_302:
	global_store_byte v[10:11], v14, off
	s_or_b64 exec, exec, s[4:5]
	s_and_saveexec_b64 s[4:5], s[16:17]
	s_xor_b64 s[4:5], exec, s[4:5]
	s_cbranch_execz .LBB126_1159
	s_branch .LBB126_1031
.LBB126_303:
	s_mov_b64 s[12:13], s[4:5]
	s_and_b64 vcc, exec, s[18:19]
	s_cbranch_vccnz .LBB126_451
.LBB126_304:
	s_andn2_b64 vcc, exec, s[16:17]
	s_cbranch_vccnz .LBB126_580
.LBB126_305:
	v_add_u32_e32 v16, 0x80, v16
	s_mov_b64 s[16:17], -1
	s_branch .LBB126_581
.LBB126_306:
	s_mov_b64 s[12:13], s[4:5]
	s_branch .LBB126_384
.LBB126_307:
	s_mov_b64 s[12:13], s[4:5]
	s_branch .LBB126_342
.LBB126_308:
	s_mov_b64 s[12:13], s[4:5]
	s_branch .LBB126_329
.LBB126_309:
	s_mov_b64 s[12:13], s[4:5]
	s_branch .LBB126_316
.LBB126_310:
	s_mov_b32 s21, 0x7f800001
	s_and_b64 vcc, exec, s[16:17]
	s_cbranch_vccz .LBB126_313
.LBB126_311:
	s_and_b32 s12, 0xffff, s31
	s_cmp_lg_u32 s12, 0
	s_mov_b32 s21, 0
	s_cselect_b64 s[12:13], -1, 0
	s_andn2_b64 vcc, exec, s[12:13]
	s_cbranch_vccz .LBB126_314
	s_branch .LBB126_315
.LBB126_312:
	s_mov_b64 s[12:13], 0
	s_mov_b32 s21, 0x7f800001
	s_cbranch_execnz .LBB126_311
.LBB126_313:
	s_andn2_b64 vcc, exec, s[12:13]
	s_cbranch_vccnz .LBB126_315
.LBB126_314:
	s_mov_b32 s21, s33
.LBB126_315:
	s_bfe_u32 s12, s21, 0x10010
	s_add_i32 s12, s21, s12
	s_addk_i32 s12, 0x7fff
	s_lshr_b32 s16, s12, 16
	v_cmp_o_f32_e64 s[12:13], s21, s21
	s_and_b64 s[12:13], s[12:13], exec
	s_cselect_b32 s12, s16, 0x7fc0
	v_mov_b32_e32 v0, s12
	global_store_dword v[10:11], v0, off
	s_mov_b64 s[16:17], -1
	s_mov_b64 s[12:13], 0
.LBB126_316:
	s_and_b64 vcc, exec, s[18:19]
	s_cbranch_vccz .LBB126_328
; %bb.317:
	s_cmp_eq_u32 s20, 44
	s_mov_b64 s[12:13], -1
	s_cbranch_scc0 .LBB126_328
; %bb.318:
	s_cmpk_lt_i32 s31, 0x80
	s_cbranch_scc1 .LBB126_322
; %bb.319:
	s_and_b32 s12, 0xffff, s31
	s_cmpk_eq_i32 s12, 0x80
	s_mov_b64 s[12:13], -1
	s_cbranch_scc0 .LBB126_321
; %bb.320:
	s_mov_b64 s[12:13], 0
.LBB126_321:
	s_mov_b64 s[16:17], 0
	s_branch .LBB126_323
.LBB126_322:
	s_mov_b64 s[16:17], -1
	s_mov_b64 s[12:13], 0
.LBB126_323:
	s_mov_b32 s18, 0x7f800001
	s_and_b64 vcc, exec, s[16:17]
	s_cbranch_vccz .LBB126_333
; %bb.324:
	s_and_b32 s18, 0xffff, s31
	s_cmp_lg_u32 s18, 0
	s_cselect_b64 s[12:13], -1, 0
	s_andn2_b64 vcc, exec, s[12:13]
	s_cbranch_vccz .LBB126_334
.LBB126_325:
	s_lshr_b32 s12, s18, 23
	s_cmpk_eq_i32 s12, 0xff
	v_mov_b32_e32 v0, 0xff
	s_cbranch_scc1 .LBB126_327
.LBB126_326:
	s_bitcmp1_b32 s18, 22
	s_cselect_b64 s[16:17], -1, 0
	s_and_b32 s13, s18, 0x3fffff
	s_or_b32 s13, s12, s13
	s_cmp_lg_u32 s13, 0
	s_cselect_b64 s[18:19], -1, 0
	s_and_b64 s[16:17], s[16:17], s[18:19]
	v_cndmask_b32_e64 v0, 0, 1, s[16:17]
	v_add_u32_e32 v0, s12, v0
.LBB126_327:
	s_mov_b64 s[16:17], -1
	s_mov_b64 s[12:13], 0
	global_store_byte v[10:11], v0, off
.LBB126_328:
	s_mov_b64 s[18:19], 0
.LBB126_329:
	s_and_b64 vcc, exec, s[18:19]
	s_cbranch_vccz .LBB126_341
; %bb.330:
	s_cmp_eq_u32 s20, 29
	s_mov_b64 s[12:13], -1
	s_cbranch_scc0 .LBB126_341
; %bb.331:
	s_cmpk_lt_i32 s31, 0x80
	s_cbranch_scc1 .LBB126_335
; %bb.332:
	s_and_b32 s12, 0xffff, s31
	s_cmpk_lg_i32 s12, 0x80
	s_mov_b64 s[16:17], 0
	s_cselect_b64 s[12:13], -1, 0
	s_branch .LBB126_336
.LBB126_333:
	s_andn2_b64 vcc, exec, s[12:13]
	s_cbranch_vccnz .LBB126_325
.LBB126_334:
	s_mov_b32 s18, s34
	s_lshr_b32 s12, s18, 23
	s_cmpk_eq_i32 s12, 0xff
	v_mov_b32_e32 v0, 0xff
	s_cbranch_scc0 .LBB126_326
	s_branch .LBB126_327
.LBB126_335:
	s_mov_b64 s[16:17], -1
	s_mov_b64 s[12:13], 0
.LBB126_336:
	s_andn2_b64 vcc, exec, s[16:17]
	s_cbranch_vccnz .LBB126_338
; %bb.337:
	s_and_b32 s12, 0xffff, s31
	s_cmp_lg_u32 s12, 0
	s_cselect_b64 s[12:13], -1, 0
.LBB126_338:
	v_mov_b32_e32 v0, 0
	s_andn2_b64 vcc, exec, s[12:13]
	v_mov_b32_e32 v1, 0
	s_cbranch_vccnz .LBB126_340
; %bb.339:
	v_mov_b32_e32 v0, v8
	v_mov_b32_e32 v1, v9
.LBB126_340:
	global_store_dwordx2 v[10:11], v[0:1], off
	s_mov_b64 s[16:17], -1
	s_mov_b64 s[12:13], 0
.LBB126_341:
	s_mov_b64 s[18:19], 0
.LBB126_342:
	s_and_b64 vcc, exec, s[18:19]
	s_cbranch_vccz .LBB126_383
; %bb.343:
	s_cmp_lt_i32 s20, 27
	s_mov_b64 s[16:17], -1
	s_cbranch_scc1 .LBB126_363
; %bb.344:
	s_cmp_gt_i32 s20, 27
	s_cbranch_scc0 .LBB126_353
; %bb.345:
	s_cmpk_lt_i32 s31, 0x80
	s_cbranch_scc1 .LBB126_347
; %bb.346:
	s_and_b32 s16, 0xffff, s31
	s_cmpk_lg_i32 s16, 0x80
	s_mov_b64 s[18:19], 0
	s_cselect_b64 s[16:17], -1, 0
	s_branch .LBB126_348
.LBB126_347:
	s_mov_b64 s[18:19], -1
	s_mov_b64 s[16:17], 0
.LBB126_348:
	s_andn2_b64 vcc, exec, s[18:19]
	s_cbranch_vccnz .LBB126_350
; %bb.349:
	s_and_b32 s16, 0xffff, s31
	s_cmp_lg_u32 s16, 0
	s_cselect_b64 s[16:17], -1, 0
.LBB126_350:
	s_andn2_b64 vcc, exec, s[16:17]
	v_mov_b32_e32 v0, 0
	s_cbranch_vccnz .LBB126_352
; %bb.351:
	v_mov_b32_e32 v0, v15
.LBB126_352:
	global_store_dword v[10:11], v0, off
	s_mov_b64 s[16:17], 0
.LBB126_353:
	s_and_b64 vcc, exec, s[16:17]
	s_cbranch_vccz .LBB126_362
; %bb.354:
	s_cmpk_lt_i32 s31, 0x80
	s_cbranch_scc1 .LBB126_356
; %bb.355:
	s_and_b32 s16, 0xffff, s31
	s_cmpk_lg_i32 s16, 0x80
	s_mov_b64 s[18:19], 0
	s_cselect_b64 s[16:17], -1, 0
	s_branch .LBB126_357
.LBB126_356:
	s_mov_b64 s[18:19], -1
	s_mov_b64 s[16:17], 0
.LBB126_357:
	s_andn2_b64 vcc, exec, s[18:19]
	s_cbranch_vccnz .LBB126_359
; %bb.358:
	s_and_b32 s16, 0xffff, s31
	s_cmp_lg_u32 s16, 0
	s_cselect_b64 s[16:17], -1, 0
.LBB126_359:
	s_andn2_b64 vcc, exec, s[16:17]
	v_mov_b32_e32 v0, 0
	s_cbranch_vccnz .LBB126_361
; %bb.360:
	v_mov_b32_e32 v0, v15
.LBB126_361:
	global_store_short v[10:11], v0, off
.LBB126_362:
	s_mov_b64 s[16:17], 0
.LBB126_363:
	s_andn2_b64 vcc, exec, s[16:17]
	s_cbranch_vccnz .LBB126_382
; %bb.364:
	s_cmpk_lt_i32 s31, 0x80
	s_cbranch_scc1 .LBB126_368
; %bb.365:
	s_and_b32 s16, 0xffff, s31
	s_cmpk_eq_i32 s16, 0x80
	s_mov_b64 s[16:17], -1
	s_cbranch_scc0 .LBB126_367
; %bb.366:
	s_mov_b64 s[16:17], 0
.LBB126_367:
	s_mov_b64 s[18:19], 0
	s_branch .LBB126_369
.LBB126_368:
	s_mov_b64 s[18:19], -1
	s_mov_b64 s[16:17], 0
.LBB126_369:
	s_mov_b32 s21, 0x7f800001
	s_and_b64 vcc, exec, s[18:19]
	s_cbranch_vccz .LBB126_372
; %bb.370:
	s_and_b32 s16, 0xffff, s31
	s_cmp_lg_u32 s16, 0
	s_mov_b32 s21, 0
	s_cselect_b64 s[16:17], -1, 0
	s_andn2_b64 vcc, exec, s[16:17]
	s_cbranch_vccz .LBB126_373
.LBB126_371:
	s_and_b32 s16, s21, 0x7fffffff
	s_cmp_gt_u32 s16, 0x437fffff
	v_mov_b32_e32 v1, 0x80
	s_cbranch_scc0 .LBB126_374
	s_branch .LBB126_381
.LBB126_372:
	s_andn2_b64 vcc, exec, s[16:17]
	s_cbranch_vccnz .LBB126_371
.LBB126_373:
	s_mov_b32 s21, s33
	s_and_b32 s16, s21, 0x7fffffff
	s_cmp_gt_u32 s16, 0x437fffff
	v_mov_b32_e32 v1, 0x80
	s_cbranch_scc1 .LBB126_381
.LBB126_374:
	s_cmp_lt_u32 s16, 0x3c000000
	s_cbranch_scc1 .LBB126_376
; %bb.375:
	s_bfe_u32 s16, s21, 0x10014
	s_add_i32 s16, s21, s16
	s_add_i32 s16, s16, 0x487ffff
	s_lshr_b32 s22, s16, 20
	s_mov_b64 s[18:19], 0
	s_mov_b64 s[16:17], -1
	s_branch .LBB126_377
.LBB126_376:
	s_mov_b64 s[18:19], -1
	s_mov_b64 s[16:17], 0
                                        ; implicit-def: $sgpr22
.LBB126_377:
	s_andn2_b64 vcc, exec, s[18:19]
	v_mov_b32_e32 v0, s22
	s_cbranch_vccnz .LBB126_379
; %bb.378:
	v_mov_b32_e32 v0, 0x46000000
	v_add_f32_e64 v0, |s21|, v0
	v_and_b32_e32 v0, 0xff, v0
	v_cmp_ne_u32_e64 s[16:17], 0, v0
.LBB126_379:
	s_andn2_b64 vcc, exec, s[16:17]
	v_mov_b32_e32 v1, 0
	s_cbranch_vccnz .LBB126_381
; %bb.380:
	s_lshr_b32 s16, s21, 24
	s_and_b32 s16, s16, 0x80
	v_or_b32_e32 v1, s16, v0
.LBB126_381:
	global_store_byte v[10:11], v1, off
.LBB126_382:
	s_mov_b64 s[16:17], -1
.LBB126_383:
	s_mov_b64 s[18:19], 0
.LBB126_384:
	s_and_b64 vcc, exec, s[18:19]
	s_cbranch_vccz .LBB126_450
; %bb.385:
	s_cmp_gt_i32 s20, 22
	s_mov_b64 s[18:19], -1
	s_cbranch_scc0 .LBB126_433
; %bb.386:
	s_cmp_lt_i32 s20, 24
	s_mov_b64 s[16:17], -1
	s_cbranch_scc1 .LBB126_411
; %bb.387:
	s_cmp_gt_i32 s20, 24
	s_cbranch_scc0 .LBB126_389
; %bb.388:
	v_mov_b32_e32 v0, s3
	s_mov_b64 s[16:17], 0
	global_store_byte v[10:11], v0, off
.LBB126_389:
	s_andn2_b64 vcc, exec, s[16:17]
	s_cbranch_vccnz .LBB126_410
; %bb.390:
	s_cmpk_lt_i32 s31, 0x80
	s_cbranch_scc1 .LBB126_394
; %bb.391:
	s_and_b32 s16, 0xffff, s31
	s_cmpk_eq_i32 s16, 0x80
	s_mov_b64 s[16:17], -1
	s_cbranch_scc0 .LBB126_393
; %bb.392:
	s_mov_b64 s[16:17], 0
.LBB126_393:
	s_mov_b64 s[18:19], 0
	s_branch .LBB126_395
.LBB126_394:
	s_mov_b64 s[16:17], 0
.LBB126_395:
	s_mov_b32 s21, 0x7f800001
	s_and_b64 vcc, exec, s[18:19]
	s_cbranch_vccz .LBB126_400
; %bb.396:
	s_and_b32 s16, 0xffff, s31
	s_cmp_lg_u32 s16, 0
	s_mov_b32 s21, 0
	s_cselect_b64 s[16:17], -1, 0
	s_andn2_b64 vcc, exec, s[16:17]
	s_cbranch_vccz .LBB126_401
.LBB126_397:
	s_and_b32 s18, s21, 0x7fffffff
	s_cmp_gt_u32 s18, 0x43efffff
	s_cbranch_scc1 .LBB126_402
.LBB126_398:
	s_cmp_lt_u32 s18, 0x3c800000
	s_cbranch_scc1 .LBB126_403
; %bb.399:
	s_bfe_u32 s16, s21, 0x10014
	s_add_i32 s16, s21, s16
	s_add_i32 s16, s16, 0x407ffff
	s_lshr_b32 s17, s16, 20
	s_and_b32 s16, s16, 0xff00000
	s_cmp_lg_u32 s16, 0x7f00000
	s_cselect_b32 s19, s17, 0x7e
	s_mov_b64 s[16:17], 0
	s_branch .LBB126_404
.LBB126_400:
	s_andn2_b64 vcc, exec, s[16:17]
	s_cbranch_vccnz .LBB126_397
.LBB126_401:
	s_mov_b32 s21, s33
	s_and_b32 s18, s21, 0x7fffffff
	s_cmp_gt_u32 s18, 0x43efffff
	s_cbranch_scc0 .LBB126_398
.LBB126_402:
	s_mov_b64 s[16:17], -1
                                        ; implicit-def: $vgpr0
	s_branch .LBB126_407
.LBB126_403:
	s_mov_b64 s[16:17], -1
                                        ; implicit-def: $sgpr19
.LBB126_404:
	s_andn2_b64 vcc, exec, s[16:17]
	v_mov_b32_e32 v0, s19
	s_cbranch_vccnz .LBB126_406
; %bb.405:
	v_mov_b32_e32 v0, 0x46800000
	v_add_f32_e64 v0, |s21|, v0
.LBB126_406:
	s_mov_b64 s[16:17], 0
.LBB126_407:
	s_andn2_b64 vcc, exec, s[16:17]
	s_cbranch_vccnz .LBB126_409
; %bb.408:
	s_cmp_gt_u32 s18, 0x7f800000
	s_movk_i32 s16, 0x7f
	s_cselect_b32 s16, s16, 0x7e
	v_mov_b32_e32 v0, s16
.LBB126_409:
	s_lshr_b32 s16, s21, 24
	s_and_b32 s16, s16, 0x80
	v_or_b32_e32 v0, s16, v0
	global_store_byte v[10:11], v0, off
.LBB126_410:
	s_mov_b64 s[16:17], 0
.LBB126_411:
	s_andn2_b64 vcc, exec, s[16:17]
	s_cbranch_vccnz .LBB126_432
; %bb.412:
	s_cmpk_lt_i32 s31, 0x80
	s_cbranch_scc1 .LBB126_416
; %bb.413:
	s_and_b32 s16, 0xffff, s31
	s_cmpk_eq_i32 s16, 0x80
	s_mov_b64 s[16:17], -1
	s_cbranch_scc0 .LBB126_415
; %bb.414:
	s_mov_b64 s[16:17], 0
.LBB126_415:
	s_mov_b64 s[18:19], 0
	s_branch .LBB126_417
.LBB126_416:
	s_mov_b64 s[18:19], -1
	s_mov_b64 s[16:17], 0
.LBB126_417:
	s_mov_b32 s21, 0x7f800001
	s_and_b64 vcc, exec, s[18:19]
	s_cbranch_vccz .LBB126_422
; %bb.418:
	s_and_b32 s16, 0xffff, s31
	s_cmp_lg_u32 s16, 0
	s_mov_b32 s21, 0
	s_cselect_b64 s[16:17], -1, 0
	s_andn2_b64 vcc, exec, s[16:17]
	s_cbranch_vccz .LBB126_423
.LBB126_419:
	s_and_b32 s18, s21, 0x7fffffff
	s_cmp_gt_u32 s18, 0x477fffff
	s_cbranch_scc1 .LBB126_424
.LBB126_420:
	s_cmp_lt_u32 s18, 0x38800000
	s_cbranch_scc1 .LBB126_425
; %bb.421:
	s_bfe_u32 s16, s21, 0x10015
	s_add_i32 s16, s21, s16
	s_add_i32 s16, s16, 0x80fffff
	s_lshr_b32 s19, s16, 21
	s_mov_b64 s[16:17], 0
	s_branch .LBB126_426
.LBB126_422:
	s_andn2_b64 vcc, exec, s[16:17]
	s_cbranch_vccnz .LBB126_419
.LBB126_423:
	s_mov_b32 s21, s33
	s_and_b32 s18, s21, 0x7fffffff
	s_cmp_gt_u32 s18, 0x477fffff
	s_cbranch_scc0 .LBB126_420
.LBB126_424:
	s_mov_b64 s[16:17], -1
                                        ; implicit-def: $vgpr0
	s_branch .LBB126_429
.LBB126_425:
	s_mov_b64 s[16:17], -1
                                        ; implicit-def: $sgpr19
.LBB126_426:
	s_andn2_b64 vcc, exec, s[16:17]
	v_mov_b32_e32 v0, s19
	s_cbranch_vccnz .LBB126_428
; %bb.427:
	v_mov_b32_e32 v0, 0x43000000
	v_add_f32_e64 v0, |s21|, v0
.LBB126_428:
	s_mov_b64 s[16:17], 0
.LBB126_429:
	s_andn2_b64 vcc, exec, s[16:17]
	s_cbranch_vccnz .LBB126_431
; %bb.430:
	s_cmp_gt_u32 s18, 0x7f800000
	s_movk_i32 s16, 0x7f
	s_cselect_b32 s16, s16, 0x7c
	v_mov_b32_e32 v0, s16
.LBB126_431:
	s_lshr_b32 s16, s21, 24
	s_and_b32 s16, s16, 0x80
	v_or_b32_e32 v0, s16, v0
	global_store_byte v[10:11], v0, off
.LBB126_432:
	s_mov_b64 s[18:19], 0
	s_mov_b64 s[16:17], -1
.LBB126_433:
	s_andn2_b64 vcc, exec, s[18:19]
	s_cbranch_vccnz .LBB126_450
; %bb.434:
	s_cmp_gt_i32 s20, 14
	s_mov_b64 s[18:19], -1
	s_cbranch_scc0 .LBB126_447
; %bb.435:
	s_cmp_eq_u32 s20, 15
	s_mov_b64 s[12:13], -1
	s_cbranch_scc0 .LBB126_446
; %bb.436:
	s_cmpk_lt_i32 s31, 0x80
	s_cbranch_scc1 .LBB126_440
; %bb.437:
	s_and_b32 s12, 0xffff, s31
	s_cmpk_eq_i32 s12, 0x80
	s_mov_b64 s[12:13], -1
	s_cbranch_scc0 .LBB126_439
; %bb.438:
	s_mov_b64 s[12:13], 0
.LBB126_439:
	s_mov_b64 s[16:17], 0
	s_branch .LBB126_441
.LBB126_440:
	s_mov_b64 s[16:17], -1
	s_mov_b64 s[12:13], 0
.LBB126_441:
	s_mov_b32 s18, 0x7f800001
	s_and_b64 vcc, exec, s[16:17]
	s_cbranch_vccz .LBB126_443
; %bb.442:
	s_and_b32 s12, 0xffff, s31
	s_cmp_lg_u32 s12, 0
	s_mov_b32 s18, 0
	s_cselect_b64 s[12:13], -1, 0
.LBB126_443:
	s_andn2_b64 vcc, exec, s[12:13]
	s_cbranch_vccnz .LBB126_445
; %bb.444:
	s_mov_b32 s18, s33
.LBB126_445:
	s_bfe_u32 s12, s18, 0x10010
	s_add_i32 s12, s18, s12
	s_addk_i32 s12, 0x7fff
	s_lshr_b32 s16, s12, 16
	v_cmp_o_f32_e64 s[12:13], s18, s18
	s_and_b64 s[12:13], s[12:13], exec
	s_cselect_b32 s12, s16, 0x7fc0
	v_mov_b32_e32 v0, s12
	global_store_short v[10:11], v0, off
	s_mov_b64 s[16:17], -1
	s_mov_b64 s[12:13], 0
.LBB126_446:
	s_mov_b64 s[18:19], 0
.LBB126_447:
	s_and_b64 vcc, exec, s[18:19]
	s_cbranch_vccz .LBB126_450
; %bb.448:
	s_cmp_eq_u32 s20, 11
	s_mov_b64 s[12:13], -1
	s_cbranch_scc0 .LBB126_450
; %bb.449:
	global_store_byte v[10:11], v14, off
	s_mov_b64 s[16:17], -1
	s_mov_b64 s[12:13], 0
.LBB126_450:
	s_branch .LBB126_304
.LBB126_451:
	s_cmp_lt_i32 s20, 5
	s_mov_b64 s[16:17], -1
	s_cbranch_scc1 .LBB126_528
; %bb.452:
	s_cmp_lt_i32 s20, 8
	s_cbranch_scc1 .LBB126_490
; %bb.453:
	s_cmp_lt_i32 s20, 9
	s_cbranch_scc1 .LBB126_478
; %bb.454:
	s_cmp_gt_i32 s20, 9
	s_cbranch_scc0 .LBB126_466
; %bb.455:
	s_cmpk_lt_i32 s31, 0x80
	s_cbranch_scc1 .LBB126_459
; %bb.456:
	s_and_b32 s16, 0xffff, s31
	s_cmpk_eq_i32 s16, 0x80
	s_mov_b64 s[16:17], -1
	s_cbranch_scc0 .LBB126_458
; %bb.457:
	s_mov_b64 s[16:17], 0
.LBB126_458:
	s_mov_b64 s[18:19], 0
	s_branch .LBB126_460
.LBB126_459:
	s_mov_b64 s[18:19], -1
	s_mov_b64 s[16:17], 0
.LBB126_460:
	s_and_b64 vcc, exec, s[18:19]
	s_cbranch_vccz .LBB126_462
; %bb.461:
	s_and_b32 s16, 0xffff, s31
	s_cmp_lg_u32 s16, 0
	s_mov_b64 s[18:19], 0
	s_cselect_b64 s[16:17], -1, 0
	s_branch .LBB126_463
.LBB126_462:
	s_mov_b32 s19, 0x7ff80000
	s_brev_b32 s18, 4
.LBB126_463:
	v_mov_b32_e32 v0, s18
	s_andn2_b64 vcc, exec, s[16:17]
	v_mov_b32_e32 v1, s19
	s_cbranch_vccnz .LBB126_465
; %bb.464:
	v_mov_b32_e32 v0, v6
	v_mov_b32_e32 v1, v7
.LBB126_465:
	v_mov_b32_e32 v2, 0
	v_mov_b32_e32 v3, v2
	global_store_dwordx4 v[10:11], v[0:3], off
	s_mov_b64 s[16:17], 0
.LBB126_466:
	s_and_b64 vcc, exec, s[16:17]
	s_cbranch_vccz .LBB126_477
; %bb.467:
	s_cmpk_lt_i32 s31, 0x80
	s_cbranch_scc1 .LBB126_471
; %bb.468:
	s_and_b32 s16, 0xffff, s31
	s_cmpk_eq_i32 s16, 0x80
	s_mov_b64 s[16:17], -1
	s_cbranch_scc0 .LBB126_470
; %bb.469:
	s_mov_b64 s[16:17], 0
.LBB126_470:
	s_mov_b64 s[18:19], 0
	s_branch .LBB126_472
.LBB126_471:
	s_mov_b64 s[18:19], -1
	s_mov_b64 s[16:17], 0
.LBB126_472:
	s_mov_b32 s21, 0x7f800001
	s_and_b64 vcc, exec, s[18:19]
	s_cbranch_vccz .LBB126_474
; %bb.473:
	s_and_b32 s21, 0xffff, s31
	s_cmp_lg_u32 s21, 0
	s_cselect_b64 s[16:17], -1, 0
.LBB126_474:
	s_andn2_b64 vcc, exec, s[16:17]
	s_cbranch_vccnz .LBB126_476
; %bb.475:
	s_mov_b32 s21, s33
.LBB126_476:
	v_mov_b32_e32 v0, s21
	v_mov_b32_e32 v1, 0
	global_store_dwordx2 v[10:11], v[0:1], off
.LBB126_477:
	s_mov_b64 s[16:17], 0
.LBB126_478:
	s_andn2_b64 vcc, exec, s[16:17]
	s_cbranch_vccnz .LBB126_489
; %bb.479:
	s_cmpk_lt_i32 s31, 0x80
	s_cbranch_scc1 .LBB126_483
; %bb.480:
	s_and_b32 s16, 0xffff, s31
	s_cmpk_eq_i32 s16, 0x80
	s_mov_b64 s[16:17], -1
	s_cbranch_scc0 .LBB126_482
; %bb.481:
	s_mov_b64 s[16:17], 0
.LBB126_482:
	s_mov_b64 s[18:19], 0
	s_branch .LBB126_484
.LBB126_483:
	s_mov_b64 s[18:19], -1
	s_mov_b64 s[16:17], 0
.LBB126_484:
	s_movk_i32 s21, 0x7e00
	s_and_b64 vcc, exec, s[18:19]
	s_cbranch_vccz .LBB126_486
; %bb.485:
	s_and_b32 s21, 0xffff, s31
	s_cmp_lg_u32 s21, 0
	s_cselect_b64 s[16:17], -1, 0
.LBB126_486:
	s_andn2_b64 vcc, exec, s[16:17]
	v_mov_b32_e32 v0, s21
	s_cbranch_vccnz .LBB126_488
; %bb.487:
	v_mov_b32_e32 v0, v13
.LBB126_488:
	global_store_dword v[10:11], v0, off
.LBB126_489:
	s_mov_b64 s[16:17], 0
.LBB126_490:
	s_andn2_b64 vcc, exec, s[16:17]
	s_cbranch_vccnz .LBB126_527
; %bb.491:
	s_cmp_lt_i32 s20, 6
	s_mov_b64 s[16:17], -1
	s_cbranch_scc1 .LBB126_516
; %bb.492:
	s_cmp_gt_i32 s20, 6
	s_cbranch_scc0 .LBB126_504
; %bb.493:
	s_cmpk_lt_i32 s31, 0x80
	s_cbranch_scc1 .LBB126_497
; %bb.494:
	s_and_b32 s16, 0xffff, s31
	s_cmpk_eq_i32 s16, 0x80
	s_mov_b64 s[16:17], -1
	s_cbranch_scc0 .LBB126_496
; %bb.495:
	s_mov_b64 s[16:17], 0
.LBB126_496:
	s_mov_b64 s[18:19], 0
	s_branch .LBB126_498
.LBB126_497:
	s_mov_b64 s[18:19], -1
	s_mov_b64 s[16:17], 0
.LBB126_498:
	s_and_b64 vcc, exec, s[18:19]
	s_cbranch_vccz .LBB126_500
; %bb.499:
	s_and_b32 s16, 0xffff, s31
	s_cmp_lg_u32 s16, 0
	s_mov_b64 s[18:19], 0
	s_cselect_b64 s[16:17], -1, 0
	s_branch .LBB126_501
.LBB126_500:
	s_mov_b32 s19, 0x7ff80000
	s_brev_b32 s18, 4
.LBB126_501:
	v_mov_b32_e32 v0, s18
	s_andn2_b64 vcc, exec, s[16:17]
	v_mov_b32_e32 v1, s19
	s_cbranch_vccnz .LBB126_503
; %bb.502:
	v_mov_b32_e32 v0, v6
	v_mov_b32_e32 v1, v7
.LBB126_503:
	global_store_dwordx2 v[10:11], v[0:1], off
	s_mov_b64 s[16:17], 0
.LBB126_504:
	s_and_b64 vcc, exec, s[16:17]
	s_cbranch_vccz .LBB126_515
; %bb.505:
	s_cmpk_lt_i32 s31, 0x80
	s_cbranch_scc1 .LBB126_509
; %bb.506:
	s_and_b32 s16, 0xffff, s31
	s_cmpk_eq_i32 s16, 0x80
	s_mov_b64 s[16:17], -1
	s_cbranch_scc0 .LBB126_508
; %bb.507:
	s_mov_b64 s[16:17], 0
.LBB126_508:
	s_mov_b64 s[18:19], 0
	s_branch .LBB126_510
.LBB126_509:
	s_mov_b64 s[18:19], -1
	s_mov_b64 s[16:17], 0
.LBB126_510:
	s_mov_b32 s21, 0x7f800001
	s_and_b64 vcc, exec, s[18:19]
	s_cbranch_vccz .LBB126_512
; %bb.511:
	s_and_b32 s16, 0xffff, s31
	s_cmp_lg_u32 s16, 0
	s_mov_b32 s21, 0
	s_cselect_b64 s[16:17], -1, 0
.LBB126_512:
	s_andn2_b64 vcc, exec, s[16:17]
	s_cbranch_vccnz .LBB126_514
; %bb.513:
	s_mov_b32 s21, s33
.LBB126_514:
	v_mov_b32_e32 v0, s21
	global_store_dword v[10:11], v0, off
.LBB126_515:
	s_mov_b64 s[16:17], 0
.LBB126_516:
	s_andn2_b64 vcc, exec, s[16:17]
	s_cbranch_vccnz .LBB126_527
; %bb.517:
	s_cmpk_lt_i32 s31, 0x80
	s_cbranch_scc1 .LBB126_521
; %bb.518:
	s_and_b32 s16, 0xffff, s31
	s_cmpk_eq_i32 s16, 0x80
	s_mov_b64 s[16:17], -1
	s_cbranch_scc0 .LBB126_520
; %bb.519:
	s_mov_b64 s[16:17], 0
.LBB126_520:
	s_mov_b64 s[18:19], 0
	s_branch .LBB126_522
.LBB126_521:
	s_mov_b64 s[18:19], -1
	s_mov_b64 s[16:17], 0
.LBB126_522:
	s_movk_i32 s21, 0x7e00
	s_and_b64 vcc, exec, s[18:19]
	s_cbranch_vccz .LBB126_524
; %bb.523:
	s_and_b32 s16, 0xffff, s31
	s_cmp_lg_u32 s16, 0
	s_cselect_b64 s[16:17], -1, 0
	s_mov_b32 s21, s31
.LBB126_524:
	s_andn2_b64 vcc, exec, s[16:17]
	v_mov_b32_e32 v0, s21
	s_cbranch_vccnz .LBB126_526
; %bb.525:
	v_mov_b32_e32 v0, v13
.LBB126_526:
	global_store_short v[10:11], v0, off
.LBB126_527:
	s_mov_b64 s[16:17], 0
.LBB126_528:
	s_andn2_b64 vcc, exec, s[16:17]
	s_cbranch_vccnz .LBB126_579
; %bb.529:
	s_cmp_lt_i32 s20, 2
	s_mov_b64 s[16:17], -1
	s_cbranch_scc1 .LBB126_560
; %bb.530:
	s_cmp_lt_i32 s20, 3
	s_cbranch_scc1 .LBB126_550
; %bb.531:
	s_cmp_gt_i32 s20, 3
	s_cbranch_scc0 .LBB126_540
; %bb.532:
	s_cmpk_lt_i32 s31, 0x80
	s_cbranch_scc1 .LBB126_534
; %bb.533:
	s_and_b32 s16, 0xffff, s31
	s_cmpk_lg_i32 s16, 0x80
	s_mov_b64 s[18:19], 0
	s_cselect_b64 s[16:17], -1, 0
	s_branch .LBB126_535
.LBB126_534:
	s_mov_b64 s[18:19], -1
	s_mov_b64 s[16:17], 0
.LBB126_535:
	s_andn2_b64 vcc, exec, s[18:19]
	s_cbranch_vccnz .LBB126_537
; %bb.536:
	s_and_b32 s16, 0xffff, s31
	s_cmp_lg_u32 s16, 0
	s_cselect_b64 s[16:17], -1, 0
.LBB126_537:
	v_mov_b32_e32 v0, 0
	s_andn2_b64 vcc, exec, s[16:17]
	v_mov_b32_e32 v1, 0
	s_cbranch_vccnz .LBB126_539
; %bb.538:
	v_mov_b32_e32 v0, v4
	v_mov_b32_e32 v1, v5
.LBB126_539:
	global_store_dwordx2 v[10:11], v[0:1], off
	s_mov_b64 s[16:17], 0
.LBB126_540:
	s_and_b64 vcc, exec, s[16:17]
	s_cbranch_vccz .LBB126_549
; %bb.541:
	s_cmpk_lt_i32 s31, 0x80
	s_cbranch_scc1 .LBB126_543
; %bb.542:
	s_and_b32 s16, 0xffff, s31
	s_cmpk_lg_i32 s16, 0x80
	s_mov_b64 s[18:19], 0
	s_cselect_b64 s[16:17], -1, 0
	s_branch .LBB126_544
.LBB126_543:
	s_mov_b64 s[18:19], -1
	s_mov_b64 s[16:17], 0
.LBB126_544:
	s_andn2_b64 vcc, exec, s[18:19]
	s_cbranch_vccnz .LBB126_546
; %bb.545:
	s_and_b32 s16, 0xffff, s31
	s_cmp_lg_u32 s16, 0
	s_cselect_b64 s[16:17], -1, 0
.LBB126_546:
	s_andn2_b64 vcc, exec, s[16:17]
	v_mov_b32_e32 v0, 0
	s_cbranch_vccnz .LBB126_548
; %bb.547:
	v_mov_b32_e32 v0, v12
.LBB126_548:
	global_store_dword v[10:11], v0, off
.LBB126_549:
	s_mov_b64 s[16:17], 0
.LBB126_550:
	s_andn2_b64 vcc, exec, s[16:17]
	s_cbranch_vccnz .LBB126_559
; %bb.551:
	s_cmpk_lt_i32 s31, 0x80
	s_cbranch_scc1 .LBB126_553
; %bb.552:
	s_and_b32 s16, 0xffff, s31
	s_cmpk_lg_i32 s16, 0x80
	s_mov_b64 s[18:19], 0
	s_cselect_b64 s[16:17], -1, 0
	s_branch .LBB126_554
.LBB126_553:
	s_mov_b64 s[18:19], -1
	s_mov_b64 s[16:17], 0
.LBB126_554:
	s_andn2_b64 vcc, exec, s[18:19]
	s_cbranch_vccnz .LBB126_556
; %bb.555:
	s_and_b32 s16, 0xffff, s31
	s_cmp_lg_u32 s16, 0
	s_cselect_b64 s[16:17], -1, 0
.LBB126_556:
	s_andn2_b64 vcc, exec, s[16:17]
	v_mov_b32_e32 v0, 0
	s_cbranch_vccnz .LBB126_558
; %bb.557:
	v_mov_b32_e32 v0, v12
.LBB126_558:
	global_store_short v[10:11], v0, off
.LBB126_559:
	s_mov_b64 s[16:17], 0
.LBB126_560:
	s_andn2_b64 vcc, exec, s[16:17]
	s_cbranch_vccnz .LBB126_579
; %bb.561:
	s_cmp_gt_i32 s20, 0
	s_mov_b64 s[16:17], -1
	s_cbranch_scc0 .LBB126_570
; %bb.562:
	s_cmpk_lt_i32 s31, 0x80
	s_cbranch_scc1 .LBB126_564
; %bb.563:
	s_and_b32 s16, 0xffff, s31
	s_cmpk_lg_i32 s16, 0x80
	s_mov_b64 s[18:19], 0
	s_cselect_b64 s[16:17], -1, 0
	s_branch .LBB126_565
.LBB126_564:
	s_mov_b64 s[18:19], -1
	s_mov_b64 s[16:17], 0
.LBB126_565:
	s_andn2_b64 vcc, exec, s[18:19]
	s_cbranch_vccnz .LBB126_567
; %bb.566:
	s_and_b32 s16, 0xffff, s31
	s_cmp_lg_u32 s16, 0
	s_cselect_b64 s[16:17], -1, 0
.LBB126_567:
	s_andn2_b64 vcc, exec, s[16:17]
	v_mov_b32_e32 v0, 0
	s_cbranch_vccnz .LBB126_569
; %bb.568:
	v_mov_b32_e32 v0, v12
.LBB126_569:
	global_store_byte v[10:11], v0, off
	s_mov_b64 s[16:17], 0
.LBB126_570:
	s_and_b64 vcc, exec, s[16:17]
	s_cbranch_vccz .LBB126_579
; %bb.571:
	s_cmpk_lt_i32 s31, 0x80
	s_cbranch_scc1 .LBB126_573
; %bb.572:
	s_and_b32 s16, 0xffff, s31
	s_cmpk_lg_i32 s16, 0x80
	s_mov_b64 s[18:19], 0
	s_cselect_b64 s[16:17], -1, 0
	s_branch .LBB126_574
.LBB126_573:
	s_mov_b64 s[18:19], -1
	s_mov_b64 s[16:17], 0
.LBB126_574:
	s_andn2_b64 vcc, exec, s[18:19]
	s_cbranch_vccnz .LBB126_576
; %bb.575:
	s_and_b32 s16, 0xffff, s31
	s_cmp_lg_u32 s16, 0
	s_cselect_b64 s[16:17], -1, 0
.LBB126_576:
	s_andn2_b64 vcc, exec, s[16:17]
	v_mov_b32_e32 v0, 0
	s_cbranch_vccnz .LBB126_578
; %bb.577:
	v_mov_b32_e32 v0, v4
.LBB126_578:
	global_store_byte v[10:11], v0, off
.LBB126_579:
	s_branch .LBB126_305
.LBB126_580:
	s_mov_b64 s[16:17], 0
                                        ; implicit-def: $vgpr16
.LBB126_581:
	s_andn2_b64 s[18:19], s[4:5], exec
	s_and_b64 s[12:13], s[12:13], exec
	s_or_b64 s[12:13], s[18:19], s[12:13]
	s_orn2_b64 s[18:19], s[16:17], exec
.LBB126_582:
	s_or_b64 exec, exec, s[14:15]
	s_mov_b64 s[20:21], 0
	s_mov_b64 s[16:17], 0
                                        ; implicit-def: $vgpr10_vgpr11
	s_and_saveexec_b64 s[14:15], s[18:19]
	s_cbranch_execz .LBB126_1028
; %bb.583:
	v_cmp_gt_i32_e32 vcc, s24, v16
	s_mov_b64 s[22:23], -1
	s_mov_b64 s[18:19], s[12:13]
	s_and_saveexec_b64 s[16:17], vcc
	s_cbranch_execz .LBB126_873
; %bb.584:
	v_mul_lo_u32 v0, v16, s2
	v_mov_b32_e32 v1, s1
	s_and_b32 s25, 0xffff, s30
	s_cmp_lt_i32 s25, 11
	v_ashrrev_i32_e32 v2, 31, v0
	v_add_co_u32_e32 v10, vcc, s0, v0
	v_addc_co_u32_e32 v11, vcc, v1, v2, vcc
	s_cbranch_scc1 .LBB126_593
; %bb.585:
	s_cmp_gt_i32 s25, 25
	s_cbranch_scc0 .LBB126_594
; %bb.586:
	s_cmp_gt_i32 s25, 28
	s_cbranch_scc0 .LBB126_595
	;; [unrolled: 3-line block ×4, first 2 shown]
; %bb.589:
	s_mov_b64 s[22:23], 0
	s_mov_b64 s[18:19], -1
	s_cmp_eq_u32 s25, 46
	s_cbranch_scc0 .LBB126_604
; %bb.590:
	s_cmpk_lt_i32 s31, 0x80
	s_cbranch_scc1 .LBB126_600
; %bb.591:
	s_and_b32 s18, 0xffff, s31
	s_cmpk_eq_i32 s18, 0x80
	s_mov_b64 s[18:19], -1
	s_cbranch_scc0 .LBB126_598
; %bb.592:
	s_mov_b64 s[18:19], 0
	s_mov_b32 s26, 0x7f800001
	s_and_b64 vcc, exec, s[20:21]
	s_cbranch_vccz .LBB126_601
	s_branch .LBB126_599
.LBB126_593:
	s_mov_b64 s[18:19], s[12:13]
	s_branch .LBB126_739
.LBB126_594:
	s_mov_b64 s[18:19], s[12:13]
	s_branch .LBB126_672
.LBB126_595:
	s_mov_b64 s[18:19], s[12:13]
	s_branch .LBB126_630
.LBB126_596:
	s_mov_b64 s[18:19], s[12:13]
	s_branch .LBB126_617
.LBB126_597:
	s_mov_b64 s[18:19], s[12:13]
	s_branch .LBB126_604
.LBB126_598:
	s_mov_b32 s26, 0x7f800001
	s_and_b64 vcc, exec, s[20:21]
	s_cbranch_vccz .LBB126_601
.LBB126_599:
	s_and_b32 s18, 0xffff, s31
	s_cmp_lg_u32 s18, 0
	s_mov_b32 s26, 0
	s_cselect_b64 s[18:19], -1, 0
	s_andn2_b64 vcc, exec, s[18:19]
	s_cbranch_vccz .LBB126_602
	s_branch .LBB126_603
.LBB126_600:
	s_mov_b64 s[18:19], 0
	s_mov_b32 s26, 0x7f800001
	s_cbranch_execnz .LBB126_599
.LBB126_601:
	s_andn2_b64 vcc, exec, s[18:19]
	s_cbranch_vccnz .LBB126_603
.LBB126_602:
	s_mov_b32 s26, s33
.LBB126_603:
	s_bfe_u32 s18, s26, 0x10010
	s_add_i32 s18, s26, s18
	s_addk_i32 s18, 0x7fff
	s_lshr_b32 s20, s18, 16
	v_cmp_o_f32_e64 s[18:19], s26, s26
	s_and_b64 s[18:19], s[18:19], exec
	s_cselect_b32 s18, s20, 0x7fc0
	v_mov_b32_e32 v0, s18
	global_store_dword v[10:11], v0, off
	s_mov_b64 s[20:21], -1
	s_mov_b64 s[18:19], 0
.LBB126_604:
	s_and_b64 vcc, exec, s[22:23]
	s_cbranch_vccz .LBB126_616
; %bb.605:
	s_cmp_eq_u32 s25, 44
	s_mov_b64 s[18:19], -1
	s_cbranch_scc0 .LBB126_616
; %bb.606:
	s_cmpk_lt_i32 s31, 0x80
	s_cbranch_scc1 .LBB126_610
; %bb.607:
	s_and_b32 s18, 0xffff, s31
	s_cmpk_eq_i32 s18, 0x80
	s_mov_b64 s[18:19], -1
	s_cbranch_scc0 .LBB126_609
; %bb.608:
	s_mov_b64 s[18:19], 0
.LBB126_609:
	s_mov_b64 s[20:21], 0
	s_branch .LBB126_611
.LBB126_610:
	s_mov_b64 s[20:21], -1
	s_mov_b64 s[18:19], 0
.LBB126_611:
	s_mov_b32 s22, 0x7f800001
	s_and_b64 vcc, exec, s[20:21]
	s_cbranch_vccz .LBB126_621
; %bb.612:
	s_and_b32 s22, 0xffff, s31
	s_cmp_lg_u32 s22, 0
	s_cselect_b64 s[18:19], -1, 0
	s_andn2_b64 vcc, exec, s[18:19]
	s_cbranch_vccz .LBB126_622
.LBB126_613:
	s_lshr_b32 s18, s22, 23
	s_cmpk_eq_i32 s18, 0xff
	v_mov_b32_e32 v0, 0xff
	s_cbranch_scc1 .LBB126_615
.LBB126_614:
	s_bitcmp1_b32 s22, 22
	s_cselect_b64 s[20:21], -1, 0
	s_and_b32 s19, s22, 0x3fffff
	s_or_b32 s19, s18, s19
	s_cmp_lg_u32 s19, 0
	s_cselect_b64 s[22:23], -1, 0
	s_and_b64 s[20:21], s[20:21], s[22:23]
	v_cndmask_b32_e64 v0, 0, 1, s[20:21]
	v_add_u32_e32 v0, s18, v0
.LBB126_615:
	s_mov_b64 s[20:21], -1
	s_mov_b64 s[18:19], 0
	global_store_byte v[10:11], v0, off
.LBB126_616:
	s_mov_b64 s[22:23], 0
.LBB126_617:
	s_and_b64 vcc, exec, s[22:23]
	s_cbranch_vccz .LBB126_629
; %bb.618:
	s_cmp_eq_u32 s25, 29
	s_mov_b64 s[18:19], -1
	s_cbranch_scc0 .LBB126_629
; %bb.619:
	s_cmpk_lt_i32 s31, 0x80
	s_cbranch_scc1 .LBB126_623
; %bb.620:
	s_and_b32 s18, 0xffff, s31
	s_cmpk_lg_i32 s18, 0x80
	s_mov_b64 s[20:21], 0
	s_cselect_b64 s[18:19], -1, 0
	s_branch .LBB126_624
.LBB126_621:
	s_andn2_b64 vcc, exec, s[18:19]
	s_cbranch_vccnz .LBB126_613
.LBB126_622:
	s_mov_b32 s22, s34
	s_lshr_b32 s18, s22, 23
	s_cmpk_eq_i32 s18, 0xff
	v_mov_b32_e32 v0, 0xff
	s_cbranch_scc0 .LBB126_614
	s_branch .LBB126_615
.LBB126_623:
	s_mov_b64 s[20:21], -1
	s_mov_b64 s[18:19], 0
.LBB126_624:
	s_andn2_b64 vcc, exec, s[20:21]
	s_cbranch_vccnz .LBB126_626
; %bb.625:
	s_and_b32 s18, 0xffff, s31
	s_cmp_lg_u32 s18, 0
	s_cselect_b64 s[18:19], -1, 0
.LBB126_626:
	v_mov_b32_e32 v0, 0
	s_andn2_b64 vcc, exec, s[18:19]
	v_mov_b32_e32 v1, 0
	s_cbranch_vccnz .LBB126_628
; %bb.627:
	v_mov_b32_e32 v0, v8
	v_mov_b32_e32 v1, v9
.LBB126_628:
	global_store_dwordx2 v[10:11], v[0:1], off
	s_mov_b64 s[20:21], -1
	s_mov_b64 s[18:19], 0
.LBB126_629:
	s_mov_b64 s[22:23], 0
.LBB126_630:
	s_and_b64 vcc, exec, s[22:23]
	s_cbranch_vccz .LBB126_671
; %bb.631:
	s_cmp_lt_i32 s25, 27
	s_mov_b64 s[20:21], -1
	s_cbranch_scc1 .LBB126_651
; %bb.632:
	s_cmp_gt_i32 s25, 27
	s_cbranch_scc0 .LBB126_641
; %bb.633:
	s_cmpk_lt_i32 s31, 0x80
	s_cbranch_scc1 .LBB126_635
; %bb.634:
	s_and_b32 s20, 0xffff, s31
	s_cmpk_lg_i32 s20, 0x80
	s_mov_b64 s[22:23], 0
	s_cselect_b64 s[20:21], -1, 0
	s_branch .LBB126_636
.LBB126_635:
	s_mov_b64 s[22:23], -1
	s_mov_b64 s[20:21], 0
.LBB126_636:
	s_andn2_b64 vcc, exec, s[22:23]
	s_cbranch_vccnz .LBB126_638
; %bb.637:
	s_and_b32 s20, 0xffff, s31
	s_cmp_lg_u32 s20, 0
	s_cselect_b64 s[20:21], -1, 0
.LBB126_638:
	s_andn2_b64 vcc, exec, s[20:21]
	v_mov_b32_e32 v0, 0
	s_cbranch_vccnz .LBB126_640
; %bb.639:
	v_mov_b32_e32 v0, v15
.LBB126_640:
	global_store_dword v[10:11], v0, off
	s_mov_b64 s[20:21], 0
.LBB126_641:
	s_and_b64 vcc, exec, s[20:21]
	s_cbranch_vccz .LBB126_650
; %bb.642:
	s_cmpk_lt_i32 s31, 0x80
	s_cbranch_scc1 .LBB126_644
; %bb.643:
	s_and_b32 s20, 0xffff, s31
	s_cmpk_lg_i32 s20, 0x80
	s_mov_b64 s[22:23], 0
	s_cselect_b64 s[20:21], -1, 0
	s_branch .LBB126_645
.LBB126_644:
	s_mov_b64 s[22:23], -1
	s_mov_b64 s[20:21], 0
.LBB126_645:
	s_andn2_b64 vcc, exec, s[22:23]
	s_cbranch_vccnz .LBB126_647
; %bb.646:
	s_and_b32 s20, 0xffff, s31
	s_cmp_lg_u32 s20, 0
	s_cselect_b64 s[20:21], -1, 0
.LBB126_647:
	s_andn2_b64 vcc, exec, s[20:21]
	v_mov_b32_e32 v0, 0
	s_cbranch_vccnz .LBB126_649
; %bb.648:
	v_mov_b32_e32 v0, v15
.LBB126_649:
	global_store_short v[10:11], v0, off
.LBB126_650:
	s_mov_b64 s[20:21], 0
.LBB126_651:
	s_andn2_b64 vcc, exec, s[20:21]
	s_cbranch_vccnz .LBB126_670
; %bb.652:
	s_cmpk_lt_i32 s31, 0x80
	s_cbranch_scc1 .LBB126_656
; %bb.653:
	s_and_b32 s20, 0xffff, s31
	s_cmpk_eq_i32 s20, 0x80
	s_mov_b64 s[20:21], -1
	s_cbranch_scc0 .LBB126_655
; %bb.654:
	s_mov_b64 s[20:21], 0
.LBB126_655:
	s_mov_b64 s[22:23], 0
	s_branch .LBB126_657
.LBB126_656:
	s_mov_b64 s[22:23], -1
	s_mov_b64 s[20:21], 0
.LBB126_657:
	s_mov_b32 s26, 0x7f800001
	s_and_b64 vcc, exec, s[22:23]
	s_cbranch_vccz .LBB126_660
; %bb.658:
	s_and_b32 s20, 0xffff, s31
	s_cmp_lg_u32 s20, 0
	s_mov_b32 s26, 0
	s_cselect_b64 s[20:21], -1, 0
	s_andn2_b64 vcc, exec, s[20:21]
	s_cbranch_vccz .LBB126_661
.LBB126_659:
	s_and_b32 s20, s26, 0x7fffffff
	s_cmp_gt_u32 s20, 0x437fffff
	v_mov_b32_e32 v1, 0x80
	s_cbranch_scc0 .LBB126_662
	s_branch .LBB126_669
.LBB126_660:
	s_andn2_b64 vcc, exec, s[20:21]
	s_cbranch_vccnz .LBB126_659
.LBB126_661:
	s_mov_b32 s26, s33
	s_and_b32 s20, s26, 0x7fffffff
	s_cmp_gt_u32 s20, 0x437fffff
	v_mov_b32_e32 v1, 0x80
	s_cbranch_scc1 .LBB126_669
.LBB126_662:
	s_cmp_lt_u32 s20, 0x3c000000
	s_cbranch_scc1 .LBB126_664
; %bb.663:
	s_bfe_u32 s20, s26, 0x10014
	s_add_i32 s20, s26, s20
	s_add_i32 s20, s20, 0x487ffff
	s_lshr_b32 s27, s20, 20
	s_mov_b64 s[22:23], 0
	s_mov_b64 s[20:21], -1
	s_branch .LBB126_665
.LBB126_664:
	s_mov_b64 s[22:23], -1
	s_mov_b64 s[20:21], 0
                                        ; implicit-def: $sgpr27
.LBB126_665:
	s_andn2_b64 vcc, exec, s[22:23]
	v_mov_b32_e32 v0, s27
	s_cbranch_vccnz .LBB126_667
; %bb.666:
	v_mov_b32_e32 v0, 0x46000000
	v_add_f32_e64 v0, |s26|, v0
	v_and_b32_e32 v0, 0xff, v0
	v_cmp_ne_u32_e64 s[20:21], 0, v0
.LBB126_667:
	s_andn2_b64 vcc, exec, s[20:21]
	v_mov_b32_e32 v1, 0
	s_cbranch_vccnz .LBB126_669
; %bb.668:
	s_lshr_b32 s20, s26, 24
	s_and_b32 s20, s20, 0x80
	v_or_b32_e32 v1, s20, v0
.LBB126_669:
	global_store_byte v[10:11], v1, off
.LBB126_670:
	s_mov_b64 s[20:21], -1
.LBB126_671:
	s_mov_b64 s[22:23], 0
.LBB126_672:
	s_and_b64 vcc, exec, s[22:23]
	s_cbranch_vccz .LBB126_738
; %bb.673:
	s_cmp_gt_i32 s25, 22
	s_mov_b64 s[22:23], -1
	s_cbranch_scc0 .LBB126_721
; %bb.674:
	s_cmp_lt_i32 s25, 24
	s_mov_b64 s[20:21], -1
	s_cbranch_scc1 .LBB126_699
; %bb.675:
	s_cmp_gt_i32 s25, 24
	s_cbranch_scc0 .LBB126_677
; %bb.676:
	v_mov_b32_e32 v0, s3
	s_mov_b64 s[20:21], 0
	global_store_byte v[10:11], v0, off
.LBB126_677:
	s_andn2_b64 vcc, exec, s[20:21]
	s_cbranch_vccnz .LBB126_698
; %bb.678:
	s_cmpk_lt_i32 s31, 0x80
	s_cbranch_scc1 .LBB126_682
; %bb.679:
	s_and_b32 s20, 0xffff, s31
	s_cmpk_eq_i32 s20, 0x80
	s_mov_b64 s[20:21], -1
	s_cbranch_scc0 .LBB126_681
; %bb.680:
	s_mov_b64 s[20:21], 0
.LBB126_681:
	s_mov_b64 s[22:23], 0
	s_branch .LBB126_683
.LBB126_682:
	s_mov_b64 s[20:21], 0
.LBB126_683:
	s_mov_b32 s26, 0x7f800001
	s_and_b64 vcc, exec, s[22:23]
	s_cbranch_vccz .LBB126_688
; %bb.684:
	s_and_b32 s20, 0xffff, s31
	s_cmp_lg_u32 s20, 0
	s_mov_b32 s26, 0
	s_cselect_b64 s[20:21], -1, 0
	s_andn2_b64 vcc, exec, s[20:21]
	s_cbranch_vccz .LBB126_689
.LBB126_685:
	s_and_b32 s22, s26, 0x7fffffff
	s_cmp_gt_u32 s22, 0x43efffff
	s_cbranch_scc1 .LBB126_690
.LBB126_686:
	s_cmp_lt_u32 s22, 0x3c800000
	s_cbranch_scc1 .LBB126_691
; %bb.687:
	s_bfe_u32 s20, s26, 0x10014
	s_add_i32 s20, s26, s20
	s_add_i32 s20, s20, 0x407ffff
	s_lshr_b32 s21, s20, 20
	s_and_b32 s20, s20, 0xff00000
	s_cmp_lg_u32 s20, 0x7f00000
	s_cselect_b32 s23, s21, 0x7e
	s_mov_b64 s[20:21], 0
	s_branch .LBB126_692
.LBB126_688:
	s_andn2_b64 vcc, exec, s[20:21]
	s_cbranch_vccnz .LBB126_685
.LBB126_689:
	s_mov_b32 s26, s33
	s_and_b32 s22, s26, 0x7fffffff
	s_cmp_gt_u32 s22, 0x43efffff
	s_cbranch_scc0 .LBB126_686
.LBB126_690:
	s_mov_b64 s[20:21], -1
                                        ; implicit-def: $vgpr0
	s_branch .LBB126_695
.LBB126_691:
	s_mov_b64 s[20:21], -1
                                        ; implicit-def: $sgpr23
.LBB126_692:
	s_andn2_b64 vcc, exec, s[20:21]
	v_mov_b32_e32 v0, s23
	s_cbranch_vccnz .LBB126_694
; %bb.693:
	v_mov_b32_e32 v0, 0x46800000
	v_add_f32_e64 v0, |s26|, v0
.LBB126_694:
	s_mov_b64 s[20:21], 0
.LBB126_695:
	s_andn2_b64 vcc, exec, s[20:21]
	s_cbranch_vccnz .LBB126_697
; %bb.696:
	s_cmp_gt_u32 s22, 0x7f800000
	s_movk_i32 s20, 0x7f
	s_cselect_b32 s20, s20, 0x7e
	v_mov_b32_e32 v0, s20
.LBB126_697:
	s_lshr_b32 s20, s26, 24
	s_and_b32 s20, s20, 0x80
	v_or_b32_e32 v0, s20, v0
	global_store_byte v[10:11], v0, off
.LBB126_698:
	s_mov_b64 s[20:21], 0
.LBB126_699:
	s_andn2_b64 vcc, exec, s[20:21]
	s_cbranch_vccnz .LBB126_720
; %bb.700:
	s_cmpk_lt_i32 s31, 0x80
	s_cbranch_scc1 .LBB126_704
; %bb.701:
	s_and_b32 s20, 0xffff, s31
	s_cmpk_eq_i32 s20, 0x80
	s_mov_b64 s[20:21], -1
	s_cbranch_scc0 .LBB126_703
; %bb.702:
	s_mov_b64 s[20:21], 0
.LBB126_703:
	s_mov_b64 s[22:23], 0
	s_branch .LBB126_705
.LBB126_704:
	s_mov_b64 s[22:23], -1
	s_mov_b64 s[20:21], 0
.LBB126_705:
	s_mov_b32 s26, 0x7f800001
	s_and_b64 vcc, exec, s[22:23]
	s_cbranch_vccz .LBB126_710
; %bb.706:
	s_and_b32 s20, 0xffff, s31
	s_cmp_lg_u32 s20, 0
	s_mov_b32 s26, 0
	s_cselect_b64 s[20:21], -1, 0
	s_andn2_b64 vcc, exec, s[20:21]
	s_cbranch_vccz .LBB126_711
.LBB126_707:
	s_and_b32 s22, s26, 0x7fffffff
	s_cmp_gt_u32 s22, 0x477fffff
	s_cbranch_scc1 .LBB126_712
.LBB126_708:
	s_cmp_lt_u32 s22, 0x38800000
	s_cbranch_scc1 .LBB126_713
; %bb.709:
	s_bfe_u32 s20, s26, 0x10015
	s_add_i32 s20, s26, s20
	s_add_i32 s20, s20, 0x80fffff
	s_lshr_b32 s23, s20, 21
	s_mov_b64 s[20:21], 0
	s_branch .LBB126_714
.LBB126_710:
	s_andn2_b64 vcc, exec, s[20:21]
	s_cbranch_vccnz .LBB126_707
.LBB126_711:
	s_mov_b32 s26, s33
	s_and_b32 s22, s26, 0x7fffffff
	s_cmp_gt_u32 s22, 0x477fffff
	s_cbranch_scc0 .LBB126_708
.LBB126_712:
	s_mov_b64 s[20:21], -1
                                        ; implicit-def: $vgpr0
	s_branch .LBB126_717
.LBB126_713:
	s_mov_b64 s[20:21], -1
                                        ; implicit-def: $sgpr23
.LBB126_714:
	s_andn2_b64 vcc, exec, s[20:21]
	v_mov_b32_e32 v0, s23
	s_cbranch_vccnz .LBB126_716
; %bb.715:
	v_mov_b32_e32 v0, 0x43000000
	v_add_f32_e64 v0, |s26|, v0
.LBB126_716:
	s_mov_b64 s[20:21], 0
.LBB126_717:
	s_andn2_b64 vcc, exec, s[20:21]
	s_cbranch_vccnz .LBB126_719
; %bb.718:
	s_cmp_gt_u32 s22, 0x7f800000
	s_movk_i32 s20, 0x7f
	s_cselect_b32 s20, s20, 0x7c
	v_mov_b32_e32 v0, s20
.LBB126_719:
	s_lshr_b32 s20, s26, 24
	s_and_b32 s20, s20, 0x80
	v_or_b32_e32 v0, s20, v0
	global_store_byte v[10:11], v0, off
.LBB126_720:
	s_mov_b64 s[22:23], 0
	s_mov_b64 s[20:21], -1
.LBB126_721:
	s_andn2_b64 vcc, exec, s[22:23]
	s_cbranch_vccnz .LBB126_738
; %bb.722:
	s_cmp_gt_i32 s25, 14
	s_mov_b64 s[22:23], -1
	s_cbranch_scc0 .LBB126_735
; %bb.723:
	s_cmp_eq_u32 s25, 15
	s_mov_b64 s[18:19], -1
	s_cbranch_scc0 .LBB126_734
; %bb.724:
	s_cmpk_lt_i32 s31, 0x80
	s_cbranch_scc1 .LBB126_728
; %bb.725:
	s_and_b32 s18, 0xffff, s31
	s_cmpk_eq_i32 s18, 0x80
	s_mov_b64 s[18:19], -1
	s_cbranch_scc0 .LBB126_727
; %bb.726:
	s_mov_b64 s[18:19], 0
.LBB126_727:
	s_mov_b64 s[20:21], 0
	s_branch .LBB126_729
.LBB126_728:
	s_mov_b64 s[20:21], -1
	s_mov_b64 s[18:19], 0
.LBB126_729:
	s_mov_b32 s22, 0x7f800001
	s_and_b64 vcc, exec, s[20:21]
	s_cbranch_vccz .LBB126_731
; %bb.730:
	s_and_b32 s18, 0xffff, s31
	s_cmp_lg_u32 s18, 0
	s_mov_b32 s22, 0
	s_cselect_b64 s[18:19], -1, 0
.LBB126_731:
	s_andn2_b64 vcc, exec, s[18:19]
	s_cbranch_vccnz .LBB126_733
; %bb.732:
	s_mov_b32 s22, s33
.LBB126_733:
	s_bfe_u32 s18, s22, 0x10010
	s_add_i32 s18, s22, s18
	s_addk_i32 s18, 0x7fff
	s_lshr_b32 s20, s18, 16
	v_cmp_o_f32_e64 s[18:19], s22, s22
	s_and_b64 s[18:19], s[18:19], exec
	s_cselect_b32 s18, s20, 0x7fc0
	v_mov_b32_e32 v0, s18
	global_store_short v[10:11], v0, off
	s_mov_b64 s[20:21], -1
	s_mov_b64 s[18:19], 0
.LBB126_734:
	s_mov_b64 s[22:23], 0
.LBB126_735:
	s_and_b64 vcc, exec, s[22:23]
	s_cbranch_vccz .LBB126_738
; %bb.736:
	s_cmp_eq_u32 s25, 11
	s_mov_b64 s[18:19], -1
	s_cbranch_scc0 .LBB126_738
; %bb.737:
	global_store_byte v[10:11], v14, off
	s_mov_b64 s[20:21], -1
	s_mov_b64 s[18:19], 0
.LBB126_738:
	s_mov_b64 s[22:23], 0
.LBB126_739:
	s_and_b64 vcc, exec, s[22:23]
	s_cbranch_vccz .LBB126_869
; %bb.740:
	s_cmp_lt_i32 s25, 5
	s_mov_b64 s[20:21], -1
	s_cbranch_scc1 .LBB126_817
; %bb.741:
	s_cmp_lt_i32 s25, 8
	s_cbranch_scc1 .LBB126_779
; %bb.742:
	s_cmp_lt_i32 s25, 9
	s_cbranch_scc1 .LBB126_767
; %bb.743:
	s_cmp_gt_i32 s25, 9
	s_cbranch_scc0 .LBB126_755
; %bb.744:
	s_cmpk_lt_i32 s31, 0x80
	s_cbranch_scc1 .LBB126_748
; %bb.745:
	s_and_b32 s20, 0xffff, s31
	s_cmpk_eq_i32 s20, 0x80
	s_mov_b64 s[20:21], -1
	s_cbranch_scc0 .LBB126_747
; %bb.746:
	s_mov_b64 s[20:21], 0
.LBB126_747:
	s_mov_b64 s[22:23], 0
	s_branch .LBB126_749
.LBB126_748:
	s_mov_b64 s[22:23], -1
	s_mov_b64 s[20:21], 0
.LBB126_749:
	s_and_b64 vcc, exec, s[22:23]
	s_cbranch_vccz .LBB126_751
; %bb.750:
	s_and_b32 s20, 0xffff, s31
	s_cmp_lg_u32 s20, 0
	s_mov_b64 s[22:23], 0
	s_cselect_b64 s[20:21], -1, 0
	s_branch .LBB126_752
.LBB126_751:
	s_mov_b32 s23, 0x7ff80000
	s_brev_b32 s22, 4
.LBB126_752:
	v_mov_b32_e32 v0, s22
	s_andn2_b64 vcc, exec, s[20:21]
	v_mov_b32_e32 v1, s23
	s_cbranch_vccnz .LBB126_754
; %bb.753:
	v_mov_b32_e32 v0, v6
	v_mov_b32_e32 v1, v7
.LBB126_754:
	v_mov_b32_e32 v2, 0
	v_mov_b32_e32 v3, v2
	global_store_dwordx4 v[10:11], v[0:3], off
	s_mov_b64 s[20:21], 0
.LBB126_755:
	s_and_b64 vcc, exec, s[20:21]
	s_cbranch_vccz .LBB126_766
; %bb.756:
	s_cmpk_lt_i32 s31, 0x80
	s_cbranch_scc1 .LBB126_760
; %bb.757:
	s_and_b32 s20, 0xffff, s31
	s_cmpk_eq_i32 s20, 0x80
	s_mov_b64 s[20:21], -1
	s_cbranch_scc0 .LBB126_759
; %bb.758:
	s_mov_b64 s[20:21], 0
.LBB126_759:
	s_mov_b64 s[22:23], 0
	s_branch .LBB126_761
.LBB126_760:
	s_mov_b64 s[22:23], -1
	s_mov_b64 s[20:21], 0
.LBB126_761:
	s_mov_b32 s26, 0x7f800001
	s_and_b64 vcc, exec, s[22:23]
	s_cbranch_vccz .LBB126_763
; %bb.762:
	s_and_b32 s26, 0xffff, s31
	s_cmp_lg_u32 s26, 0
	s_cselect_b64 s[20:21], -1, 0
.LBB126_763:
	s_andn2_b64 vcc, exec, s[20:21]
	s_cbranch_vccnz .LBB126_765
; %bb.764:
	s_mov_b32 s26, s33
.LBB126_765:
	v_mov_b32_e32 v0, s26
	v_mov_b32_e32 v1, 0
	global_store_dwordx2 v[10:11], v[0:1], off
.LBB126_766:
	s_mov_b64 s[20:21], 0
.LBB126_767:
	s_andn2_b64 vcc, exec, s[20:21]
	s_cbranch_vccnz .LBB126_778
; %bb.768:
	s_cmpk_lt_i32 s31, 0x80
	s_cbranch_scc1 .LBB126_772
; %bb.769:
	s_and_b32 s20, 0xffff, s31
	s_cmpk_eq_i32 s20, 0x80
	s_mov_b64 s[20:21], -1
	s_cbranch_scc0 .LBB126_771
; %bb.770:
	s_mov_b64 s[20:21], 0
.LBB126_771:
	s_mov_b64 s[22:23], 0
	s_branch .LBB126_773
.LBB126_772:
	s_mov_b64 s[22:23], -1
	s_mov_b64 s[20:21], 0
.LBB126_773:
	s_movk_i32 s26, 0x7e00
	s_and_b64 vcc, exec, s[22:23]
	s_cbranch_vccz .LBB126_775
; %bb.774:
	s_and_b32 s26, 0xffff, s31
	s_cmp_lg_u32 s26, 0
	s_cselect_b64 s[20:21], -1, 0
.LBB126_775:
	s_andn2_b64 vcc, exec, s[20:21]
	v_mov_b32_e32 v0, s26
	s_cbranch_vccnz .LBB126_777
; %bb.776:
	v_mov_b32_e32 v0, v13
.LBB126_777:
	global_store_dword v[10:11], v0, off
.LBB126_778:
	s_mov_b64 s[20:21], 0
.LBB126_779:
	s_andn2_b64 vcc, exec, s[20:21]
	s_cbranch_vccnz .LBB126_816
; %bb.780:
	s_cmp_lt_i32 s25, 6
	s_mov_b64 s[20:21], -1
	s_cbranch_scc1 .LBB126_805
; %bb.781:
	s_cmp_gt_i32 s25, 6
	s_cbranch_scc0 .LBB126_793
; %bb.782:
	s_cmpk_lt_i32 s31, 0x80
	s_cbranch_scc1 .LBB126_786
; %bb.783:
	s_and_b32 s20, 0xffff, s31
	s_cmpk_eq_i32 s20, 0x80
	s_mov_b64 s[20:21], -1
	s_cbranch_scc0 .LBB126_785
; %bb.784:
	s_mov_b64 s[20:21], 0
.LBB126_785:
	s_mov_b64 s[22:23], 0
	s_branch .LBB126_787
.LBB126_786:
	s_mov_b64 s[22:23], -1
	s_mov_b64 s[20:21], 0
.LBB126_787:
	s_and_b64 vcc, exec, s[22:23]
	s_cbranch_vccz .LBB126_789
; %bb.788:
	s_and_b32 s20, 0xffff, s31
	s_cmp_lg_u32 s20, 0
	s_mov_b64 s[22:23], 0
	s_cselect_b64 s[20:21], -1, 0
	s_branch .LBB126_790
.LBB126_789:
	s_mov_b32 s23, 0x7ff80000
	s_brev_b32 s22, 4
.LBB126_790:
	v_mov_b32_e32 v0, s22
	s_andn2_b64 vcc, exec, s[20:21]
	v_mov_b32_e32 v1, s23
	s_cbranch_vccnz .LBB126_792
; %bb.791:
	v_mov_b32_e32 v0, v6
	v_mov_b32_e32 v1, v7
.LBB126_792:
	global_store_dwordx2 v[10:11], v[0:1], off
	s_mov_b64 s[20:21], 0
.LBB126_793:
	s_and_b64 vcc, exec, s[20:21]
	s_cbranch_vccz .LBB126_804
; %bb.794:
	s_cmpk_lt_i32 s31, 0x80
	s_cbranch_scc1 .LBB126_798
; %bb.795:
	s_and_b32 s20, 0xffff, s31
	s_cmpk_eq_i32 s20, 0x80
	s_mov_b64 s[20:21], -1
	s_cbranch_scc0 .LBB126_797
; %bb.796:
	s_mov_b64 s[20:21], 0
.LBB126_797:
	s_mov_b64 s[22:23], 0
	s_branch .LBB126_799
.LBB126_798:
	s_mov_b64 s[22:23], -1
	s_mov_b64 s[20:21], 0
.LBB126_799:
	s_mov_b32 s26, 0x7f800001
	s_and_b64 vcc, exec, s[22:23]
	s_cbranch_vccz .LBB126_801
; %bb.800:
	s_and_b32 s20, 0xffff, s31
	s_cmp_lg_u32 s20, 0
	s_mov_b32 s26, 0
	s_cselect_b64 s[20:21], -1, 0
.LBB126_801:
	s_andn2_b64 vcc, exec, s[20:21]
	s_cbranch_vccnz .LBB126_803
; %bb.802:
	s_mov_b32 s26, s33
.LBB126_803:
	v_mov_b32_e32 v0, s26
	global_store_dword v[10:11], v0, off
.LBB126_804:
	s_mov_b64 s[20:21], 0
.LBB126_805:
	s_andn2_b64 vcc, exec, s[20:21]
	s_cbranch_vccnz .LBB126_816
; %bb.806:
	s_cmpk_lt_i32 s31, 0x80
	s_cbranch_scc1 .LBB126_810
; %bb.807:
	s_and_b32 s20, 0xffff, s31
	s_cmpk_eq_i32 s20, 0x80
	s_mov_b64 s[20:21], -1
	s_cbranch_scc0 .LBB126_809
; %bb.808:
	s_mov_b64 s[20:21], 0
.LBB126_809:
	s_mov_b64 s[22:23], 0
	s_branch .LBB126_811
.LBB126_810:
	s_mov_b64 s[22:23], -1
	s_mov_b64 s[20:21], 0
.LBB126_811:
	s_movk_i32 s26, 0x7e00
	s_and_b64 vcc, exec, s[22:23]
	s_cbranch_vccz .LBB126_813
; %bb.812:
	s_and_b32 s20, 0xffff, s31
	s_cmp_lg_u32 s20, 0
	s_cselect_b64 s[20:21], -1, 0
	s_mov_b32 s26, s31
.LBB126_813:
	s_andn2_b64 vcc, exec, s[20:21]
	v_mov_b32_e32 v0, s26
	s_cbranch_vccnz .LBB126_815
; %bb.814:
	v_mov_b32_e32 v0, v13
.LBB126_815:
	global_store_short v[10:11], v0, off
.LBB126_816:
	s_mov_b64 s[20:21], 0
.LBB126_817:
	s_andn2_b64 vcc, exec, s[20:21]
	s_cbranch_vccnz .LBB126_868
; %bb.818:
	s_cmp_lt_i32 s25, 2
	s_mov_b64 s[20:21], -1
	s_cbranch_scc1 .LBB126_849
; %bb.819:
	s_cmp_lt_i32 s25, 3
	s_cbranch_scc1 .LBB126_839
; %bb.820:
	s_cmp_gt_i32 s25, 3
	s_cbranch_scc0 .LBB126_829
; %bb.821:
	s_cmpk_lt_i32 s31, 0x80
	s_cbranch_scc1 .LBB126_823
; %bb.822:
	s_and_b32 s20, 0xffff, s31
	s_cmpk_lg_i32 s20, 0x80
	s_mov_b64 s[22:23], 0
	s_cselect_b64 s[20:21], -1, 0
	s_branch .LBB126_824
.LBB126_823:
	s_mov_b64 s[22:23], -1
	s_mov_b64 s[20:21], 0
.LBB126_824:
	s_andn2_b64 vcc, exec, s[22:23]
	s_cbranch_vccnz .LBB126_826
; %bb.825:
	s_and_b32 s20, 0xffff, s31
	s_cmp_lg_u32 s20, 0
	s_cselect_b64 s[20:21], -1, 0
.LBB126_826:
	v_mov_b32_e32 v0, 0
	s_andn2_b64 vcc, exec, s[20:21]
	v_mov_b32_e32 v1, 0
	s_cbranch_vccnz .LBB126_828
; %bb.827:
	v_mov_b32_e32 v0, v4
	v_mov_b32_e32 v1, v5
.LBB126_828:
	global_store_dwordx2 v[10:11], v[0:1], off
	s_mov_b64 s[20:21], 0
.LBB126_829:
	s_and_b64 vcc, exec, s[20:21]
	s_cbranch_vccz .LBB126_838
; %bb.830:
	s_cmpk_lt_i32 s31, 0x80
	s_cbranch_scc1 .LBB126_832
; %bb.831:
	s_and_b32 s20, 0xffff, s31
	s_cmpk_lg_i32 s20, 0x80
	s_mov_b64 s[22:23], 0
	s_cselect_b64 s[20:21], -1, 0
	s_branch .LBB126_833
.LBB126_832:
	s_mov_b64 s[22:23], -1
	s_mov_b64 s[20:21], 0
.LBB126_833:
	s_andn2_b64 vcc, exec, s[22:23]
	s_cbranch_vccnz .LBB126_835
; %bb.834:
	s_and_b32 s20, 0xffff, s31
	s_cmp_lg_u32 s20, 0
	s_cselect_b64 s[20:21], -1, 0
.LBB126_835:
	s_andn2_b64 vcc, exec, s[20:21]
	v_mov_b32_e32 v0, 0
	s_cbranch_vccnz .LBB126_837
; %bb.836:
	v_mov_b32_e32 v0, v12
.LBB126_837:
	global_store_dword v[10:11], v0, off
.LBB126_838:
	s_mov_b64 s[20:21], 0
.LBB126_839:
	s_andn2_b64 vcc, exec, s[20:21]
	s_cbranch_vccnz .LBB126_848
; %bb.840:
	s_cmpk_lt_i32 s31, 0x80
	s_cbranch_scc1 .LBB126_842
; %bb.841:
	s_and_b32 s20, 0xffff, s31
	s_cmpk_lg_i32 s20, 0x80
	s_mov_b64 s[22:23], 0
	s_cselect_b64 s[20:21], -1, 0
	s_branch .LBB126_843
.LBB126_842:
	s_mov_b64 s[22:23], -1
	s_mov_b64 s[20:21], 0
.LBB126_843:
	s_andn2_b64 vcc, exec, s[22:23]
	s_cbranch_vccnz .LBB126_845
; %bb.844:
	s_and_b32 s20, 0xffff, s31
	s_cmp_lg_u32 s20, 0
	s_cselect_b64 s[20:21], -1, 0
.LBB126_845:
	s_andn2_b64 vcc, exec, s[20:21]
	v_mov_b32_e32 v0, 0
	s_cbranch_vccnz .LBB126_847
; %bb.846:
	v_mov_b32_e32 v0, v12
.LBB126_847:
	global_store_short v[10:11], v0, off
.LBB126_848:
	s_mov_b64 s[20:21], 0
.LBB126_849:
	s_andn2_b64 vcc, exec, s[20:21]
	s_cbranch_vccnz .LBB126_868
; %bb.850:
	s_cmp_gt_i32 s25, 0
	s_mov_b64 s[20:21], -1
	s_cbranch_scc0 .LBB126_859
; %bb.851:
	s_cmpk_lt_i32 s31, 0x80
	s_cbranch_scc1 .LBB126_853
; %bb.852:
	s_and_b32 s20, 0xffff, s31
	s_cmpk_lg_i32 s20, 0x80
	s_mov_b64 s[22:23], 0
	s_cselect_b64 s[20:21], -1, 0
	s_branch .LBB126_854
.LBB126_853:
	s_mov_b64 s[22:23], -1
	s_mov_b64 s[20:21], 0
.LBB126_854:
	s_andn2_b64 vcc, exec, s[22:23]
	s_cbranch_vccnz .LBB126_856
; %bb.855:
	s_and_b32 s20, 0xffff, s31
	s_cmp_lg_u32 s20, 0
	s_cselect_b64 s[20:21], -1, 0
.LBB126_856:
	s_andn2_b64 vcc, exec, s[20:21]
	v_mov_b32_e32 v0, 0
	s_cbranch_vccnz .LBB126_858
; %bb.857:
	v_mov_b32_e32 v0, v12
.LBB126_858:
	global_store_byte v[10:11], v0, off
	s_mov_b64 s[20:21], 0
.LBB126_859:
	s_and_b64 vcc, exec, s[20:21]
	s_cbranch_vccz .LBB126_868
; %bb.860:
	s_cmpk_lt_i32 s31, 0x80
	s_cbranch_scc1 .LBB126_862
; %bb.861:
	s_and_b32 s20, 0xffff, s31
	s_cmpk_lg_i32 s20, 0x80
	s_mov_b64 s[22:23], 0
	s_cselect_b64 s[20:21], -1, 0
	s_branch .LBB126_863
.LBB126_862:
	s_mov_b64 s[22:23], -1
	s_mov_b64 s[20:21], 0
.LBB126_863:
	s_andn2_b64 vcc, exec, s[22:23]
	s_cbranch_vccnz .LBB126_865
; %bb.864:
	s_and_b32 s20, 0xffff, s31
	s_cmp_lg_u32 s20, 0
	s_cselect_b64 s[20:21], -1, 0
.LBB126_865:
	s_andn2_b64 vcc, exec, s[20:21]
	v_mov_b32_e32 v0, 0
	s_cbranch_vccnz .LBB126_867
; %bb.866:
	v_mov_b32_e32 v0, v4
.LBB126_867:
	global_store_byte v[10:11], v0, off
.LBB126_868:
	s_mov_b64 s[20:21], -1
.LBB126_869:
	s_andn2_b64 vcc, exec, s[20:21]
	s_cbranch_vccnz .LBB126_871
; %bb.870:
	v_add_u32_e32 v16, 0x80, v16
	s_mov_b64 s[20:21], -1
	s_branch .LBB126_872
.LBB126_871:
	s_mov_b64 s[20:21], 0
                                        ; implicit-def: $vgpr16
.LBB126_872:
	s_andn2_b64 s[22:23], s[12:13], exec
	s_and_b64 s[18:19], s[18:19], exec
	s_or_b64 s[18:19], s[22:23], s[18:19]
	s_orn2_b64 s[22:23], s[20:21], exec
.LBB126_873:
	s_or_b64 exec, exec, s[16:17]
	s_mov_b64 s[20:21], 0
	s_mov_b64 s[26:27], 0
                                        ; implicit-def: $vgpr10_vgpr11
	s_and_saveexec_b64 s[16:17], s[22:23]
	s_cbranch_execz .LBB126_1027
; %bb.874:
	v_cmp_gt_i32_e32 vcc, s24, v16
	s_mov_b64 s[24:25], 0
	s_mov_b64 s[22:23], s[18:19]
	;; [unrolled: 1-line block ×3, first 2 shown]
                                        ; implicit-def: $vgpr10_vgpr11
	s_and_saveexec_b64 s[20:21], vcc
	s_cbranch_execz .LBB126_1026
; %bb.875:
	v_mul_lo_u32 v0, v16, s2
	v_mov_b32_e32 v1, s1
	s_and_b32 s35, 0xffff, s30
	s_cmp_lt_i32 s35, 11
	v_ashrrev_i32_e32 v2, 31, v0
	v_add_co_u32_e32 v10, vcc, s0, v0
	v_addc_co_u32_e32 v11, vcc, v1, v2, vcc
	s_cbranch_scc1 .LBB126_885
; %bb.876:
	s_mov_b64 s[26:27], -1
	s_cmp_gt_i32 s35, 25
	s_mov_b64 s[22:23], s[18:19]
	s_cbranch_scc0 .LBB126_960
; %bb.877:
	s_mov_b64 s[24:25], -1
	s_cmp_gt_i32 s35, 28
	s_mov_b64 s[22:23], s[18:19]
	s_cbranch_scc0 .LBB126_919
; %bb.878:
	s_cmp_gt_i32 s35, 43
	s_mov_b64 s[22:23], s[18:19]
	s_cbranch_scc0 .LBB126_906
; %bb.879:
	s_cmp_gt_i32 s35, 45
	s_mov_b64 s[22:23], s[18:19]
	s_cbranch_scc0 .LBB126_893
; %bb.880:
	s_cmp_eq_u32 s35, 46
	s_mov_b64 s[22:23], -1
	s_cbranch_scc0 .LBB126_892
; %bb.881:
	s_cmpk_lt_i32 s31, 0x80
	s_cbranch_scc1 .LBB126_886
; %bb.882:
	s_and_b32 s22, 0xffff, s31
	s_cmpk_eq_i32 s22, 0x80
	s_mov_b64 s[22:23], -1
	s_cbranch_scc0 .LBB126_884
; %bb.883:
	s_mov_b64 s[22:23], 0
.LBB126_884:
	s_mov_b64 s[24:25], 0
	s_branch .LBB126_887
.LBB126_885:
	s_mov_b64 s[24:25], -1
	s_mov_b64 s[22:23], s[18:19]
	s_branch .LBB126_1025
.LBB126_886:
	s_mov_b64 s[22:23], 0
.LBB126_887:
	s_mov_b32 s26, 0x7f800001
	s_and_b64 vcc, exec, s[24:25]
	s_cbranch_vccz .LBB126_889
; %bb.888:
	s_and_b32 s22, 0xffff, s31
	s_cmp_lg_u32 s22, 0
	s_mov_b32 s26, 0
	s_cselect_b64 s[22:23], -1, 0
.LBB126_889:
	s_andn2_b64 vcc, exec, s[22:23]
	s_cbranch_vccnz .LBB126_891
; %bb.890:
	s_mov_b32 s26, s33
.LBB126_891:
	s_bfe_u32 s22, s26, 0x10010
	s_add_i32 s22, s26, s22
	s_addk_i32 s22, 0x7fff
	s_lshr_b32 s24, s22, 16
	v_cmp_o_f32_e64 s[22:23], s26, s26
	s_and_b64 s[22:23], s[22:23], exec
	s_cselect_b32 s22, s24, 0x7fc0
	v_mov_b32_e32 v0, s22
	global_store_dword v[10:11], v0, off
	s_mov_b64 s[22:23], 0
.LBB126_892:
	s_mov_b64 s[24:25], 0
.LBB126_893:
	s_and_b64 vcc, exec, s[24:25]
	s_cbranch_vccz .LBB126_905
; %bb.894:
	s_cmp_eq_u32 s35, 44
	s_mov_b64 s[22:23], -1
	s_cbranch_scc0 .LBB126_905
; %bb.895:
	s_cmpk_lt_i32 s31, 0x80
	s_cbranch_scc1 .LBB126_899
; %bb.896:
	s_and_b32 s22, 0xffff, s31
	s_cmpk_eq_i32 s22, 0x80
	s_mov_b64 s[22:23], -1
	s_cbranch_scc0 .LBB126_898
; %bb.897:
	s_mov_b64 s[22:23], 0
.LBB126_898:
	s_mov_b64 s[24:25], 0
	s_branch .LBB126_900
.LBB126_899:
	s_mov_b64 s[24:25], -1
	s_mov_b64 s[22:23], 0
.LBB126_900:
	s_mov_b32 s26, 0x7f800001
	s_and_b64 vcc, exec, s[24:25]
	s_cbranch_vccz .LBB126_910
; %bb.901:
	s_and_b32 s26, 0xffff, s31
	s_cmp_lg_u32 s26, 0
	s_cselect_b64 s[22:23], -1, 0
	s_andn2_b64 vcc, exec, s[22:23]
	s_cbranch_vccz .LBB126_911
.LBB126_902:
	s_lshr_b32 s22, s26, 23
	s_cmpk_eq_i32 s22, 0xff
	v_mov_b32_e32 v0, 0xff
	s_cbranch_scc1 .LBB126_904
.LBB126_903:
	s_bitcmp1_b32 s26, 22
	s_cselect_b64 s[24:25], -1, 0
	s_and_b32 s23, s26, 0x3fffff
	s_or_b32 s23, s22, s23
	s_cmp_lg_u32 s23, 0
	s_cselect_b64 s[26:27], -1, 0
	s_and_b64 s[24:25], s[24:25], s[26:27]
	v_cndmask_b32_e64 v0, 0, 1, s[24:25]
	v_add_u32_e32 v0, s22, v0
.LBB126_904:
	s_mov_b64 s[22:23], 0
	global_store_byte v[10:11], v0, off
.LBB126_905:
	s_mov_b64 s[24:25], 0
.LBB126_906:
	s_and_b64 vcc, exec, s[24:25]
	s_cbranch_vccz .LBB126_918
; %bb.907:
	s_cmp_eq_u32 s35, 29
	s_mov_b64 s[22:23], -1
	s_cbranch_scc0 .LBB126_918
; %bb.908:
	s_cmpk_lt_i32 s31, 0x80
	s_cbranch_scc1 .LBB126_912
; %bb.909:
	s_and_b32 s22, 0xffff, s31
	s_cmpk_lg_i32 s22, 0x80
	s_mov_b64 s[24:25], 0
	s_cselect_b64 s[22:23], -1, 0
	s_branch .LBB126_913
.LBB126_910:
	s_andn2_b64 vcc, exec, s[22:23]
	s_cbranch_vccnz .LBB126_902
.LBB126_911:
	s_mov_b32 s26, s34
	s_lshr_b32 s22, s26, 23
	s_cmpk_eq_i32 s22, 0xff
	v_mov_b32_e32 v0, 0xff
	s_cbranch_scc0 .LBB126_903
	s_branch .LBB126_904
.LBB126_912:
	s_mov_b64 s[24:25], -1
	s_mov_b64 s[22:23], 0
.LBB126_913:
	s_andn2_b64 vcc, exec, s[24:25]
	s_cbranch_vccnz .LBB126_915
; %bb.914:
	s_and_b32 s22, 0xffff, s31
	s_cmp_lg_u32 s22, 0
	s_cselect_b64 s[22:23], -1, 0
.LBB126_915:
	v_mov_b32_e32 v0, 0
	s_andn2_b64 vcc, exec, s[22:23]
	v_mov_b32_e32 v1, 0
	s_cbranch_vccnz .LBB126_917
; %bb.916:
	v_mov_b32_e32 v0, v8
	v_mov_b32_e32 v1, v9
.LBB126_917:
	s_mov_b64 s[22:23], 0
	global_store_dwordx2 v[10:11], v[0:1], off
.LBB126_918:
	s_mov_b64 s[24:25], 0
.LBB126_919:
	s_and_b64 vcc, exec, s[24:25]
	s_cbranch_vccz .LBB126_959
; %bb.920:
	s_cmp_lt_i32 s35, 27
	s_mov_b64 s[24:25], -1
	s_cbranch_scc1 .LBB126_940
; %bb.921:
	s_cmp_gt_i32 s35, 27
	s_cbranch_scc0 .LBB126_930
; %bb.922:
	s_cmpk_lt_i32 s31, 0x80
	s_cbranch_scc1 .LBB126_924
; %bb.923:
	s_and_b32 s24, 0xffff, s31
	s_cmpk_lg_i32 s24, 0x80
	s_mov_b64 s[26:27], 0
	s_cselect_b64 s[24:25], -1, 0
	s_branch .LBB126_925
.LBB126_924:
	s_mov_b64 s[26:27], -1
	s_mov_b64 s[24:25], 0
.LBB126_925:
	s_andn2_b64 vcc, exec, s[26:27]
	s_cbranch_vccnz .LBB126_927
; %bb.926:
	s_and_b32 s24, 0xffff, s31
	s_cmp_lg_u32 s24, 0
	s_cselect_b64 s[24:25], -1, 0
.LBB126_927:
	s_andn2_b64 vcc, exec, s[24:25]
	v_mov_b32_e32 v0, 0
	s_cbranch_vccnz .LBB126_929
; %bb.928:
	v_mov_b32_e32 v0, v15
.LBB126_929:
	global_store_dword v[10:11], v0, off
	s_mov_b64 s[24:25], 0
.LBB126_930:
	s_and_b64 vcc, exec, s[24:25]
	s_cbranch_vccz .LBB126_939
; %bb.931:
	s_cmpk_lt_i32 s31, 0x80
	s_cbranch_scc1 .LBB126_933
; %bb.932:
	s_and_b32 s24, 0xffff, s31
	s_cmpk_lg_i32 s24, 0x80
	s_mov_b64 s[26:27], 0
	s_cselect_b64 s[24:25], -1, 0
	s_branch .LBB126_934
.LBB126_933:
	s_mov_b64 s[26:27], -1
	s_mov_b64 s[24:25], 0
.LBB126_934:
	s_andn2_b64 vcc, exec, s[26:27]
	s_cbranch_vccnz .LBB126_936
; %bb.935:
	s_and_b32 s24, 0xffff, s31
	s_cmp_lg_u32 s24, 0
	s_cselect_b64 s[24:25], -1, 0
.LBB126_936:
	s_andn2_b64 vcc, exec, s[24:25]
	v_mov_b32_e32 v0, 0
	s_cbranch_vccnz .LBB126_938
; %bb.937:
	v_mov_b32_e32 v0, v15
.LBB126_938:
	global_store_short v[10:11], v0, off
.LBB126_939:
	s_mov_b64 s[24:25], 0
.LBB126_940:
	s_andn2_b64 vcc, exec, s[24:25]
	s_cbranch_vccnz .LBB126_959
; %bb.941:
	s_cmpk_lt_i32 s31, 0x80
	s_cbranch_scc1 .LBB126_945
; %bb.942:
	s_and_b32 s24, 0xffff, s31
	s_cmpk_eq_i32 s24, 0x80
	s_mov_b64 s[24:25], -1
	s_cbranch_scc0 .LBB126_944
; %bb.943:
	s_mov_b64 s[24:25], 0
.LBB126_944:
	s_mov_b64 s[26:27], 0
	s_branch .LBB126_946
.LBB126_945:
	s_mov_b64 s[26:27], -1
	s_mov_b64 s[24:25], 0
.LBB126_946:
	s_mov_b32 s28, 0x7f800001
	s_and_b64 vcc, exec, s[26:27]
	s_cbranch_vccz .LBB126_949
; %bb.947:
	s_and_b32 s24, 0xffff, s31
	s_cmp_lg_u32 s24, 0
	s_mov_b32 s28, 0
	s_cselect_b64 s[24:25], -1, 0
	s_andn2_b64 vcc, exec, s[24:25]
	s_cbranch_vccz .LBB126_950
.LBB126_948:
	s_and_b32 s24, s28, 0x7fffffff
	s_cmp_gt_u32 s24, 0x437fffff
	v_mov_b32_e32 v1, 0x80
	s_cbranch_scc0 .LBB126_951
	s_branch .LBB126_958
.LBB126_949:
	s_andn2_b64 vcc, exec, s[24:25]
	s_cbranch_vccnz .LBB126_948
.LBB126_950:
	s_mov_b32 s28, s33
	s_and_b32 s24, s28, 0x7fffffff
	s_cmp_gt_u32 s24, 0x437fffff
	v_mov_b32_e32 v1, 0x80
	s_cbranch_scc1 .LBB126_958
.LBB126_951:
	s_cmp_lt_u32 s24, 0x3c000000
	s_cbranch_scc1 .LBB126_953
; %bb.952:
	s_bfe_u32 s24, s28, 0x10014
	s_add_i32 s24, s28, s24
	s_add_i32 s24, s24, 0x487ffff
	s_lshr_b32 s29, s24, 20
	s_mov_b64 s[26:27], 0
	s_mov_b64 s[24:25], -1
	s_branch .LBB126_954
.LBB126_953:
	s_mov_b64 s[26:27], -1
	s_mov_b64 s[24:25], 0
                                        ; implicit-def: $sgpr29
.LBB126_954:
	s_andn2_b64 vcc, exec, s[26:27]
	v_mov_b32_e32 v0, s29
	s_cbranch_vccnz .LBB126_956
; %bb.955:
	v_mov_b32_e32 v0, 0x46000000
	v_add_f32_e64 v0, |s28|, v0
	v_and_b32_e32 v0, 0xff, v0
	v_cmp_ne_u32_e64 s[24:25], 0, v0
.LBB126_956:
	s_andn2_b64 vcc, exec, s[24:25]
	v_mov_b32_e32 v1, 0
	s_cbranch_vccnz .LBB126_958
; %bb.957:
	s_lshr_b32 s24, s28, 24
	s_and_b32 s24, s24, 0x80
	v_or_b32_e32 v1, s24, v0
.LBB126_958:
	global_store_byte v[10:11], v1, off
.LBB126_959:
	s_mov_b64 s[26:27], 0
.LBB126_960:
	s_mov_b64 s[24:25], 0
	s_and_b64 vcc, exec, s[26:27]
	s_cbranch_vccz .LBB126_970
; %bb.961:
	s_cmp_gt_i32 s35, 22
	s_mov_b64 s[26:27], -1
	s_cbranch_scc0 .LBB126_1010
; %bb.962:
	s_cmp_lt_i32 s35, 24
	s_cbranch_scc1 .LBB126_988
; %bb.963:
	s_cmp_gt_i32 s35, 24
	s_cbranch_scc0 .LBB126_965
; %bb.964:
	v_mov_b32_e32 v0, s3
	s_mov_b64 s[26:27], 0
	global_store_byte v[10:11], v0, off
.LBB126_965:
	s_andn2_b64 vcc, exec, s[26:27]
	s_cbranch_vccnz .LBB126_987
; %bb.966:
	s_cmpk_lt_i32 s31, 0x80
	s_cbranch_scc1 .LBB126_971
; %bb.967:
	s_and_b32 s26, 0xffff, s31
	s_cmpk_eq_i32 s26, 0x80
	s_mov_b64 s[26:27], -1
	s_cbranch_scc0 .LBB126_969
; %bb.968:
	s_mov_b64 s[26:27], 0
.LBB126_969:
	s_mov_b64 s[28:29], 0
	s_branch .LBB126_972
.LBB126_970:
	s_mov_b64 s[26:27], 0
	s_branch .LBB126_1025
.LBB126_971:
	s_mov_b64 s[28:29], -1
	s_mov_b64 s[26:27], 0
.LBB126_972:
	s_mov_b32 s34, 0x7f800001
	s_and_b64 vcc, exec, s[28:29]
	s_cbranch_vccz .LBB126_977
; %bb.973:
	s_and_b32 s26, 0xffff, s31
	s_cmp_lg_u32 s26, 0
	s_mov_b32 s34, 0
	s_cselect_b64 s[26:27], -1, 0
	s_andn2_b64 vcc, exec, s[26:27]
	s_cbranch_vccz .LBB126_978
.LBB126_974:
	s_and_b32 s28, s34, 0x7fffffff
	s_cmp_gt_u32 s28, 0x43efffff
	s_cbranch_scc1 .LBB126_979
.LBB126_975:
	s_cmp_lt_u32 s28, 0x3c800000
	s_cbranch_scc1 .LBB126_980
; %bb.976:
	s_bfe_u32 s26, s34, 0x10014
	s_add_i32 s26, s34, s26
	s_add_i32 s26, s26, 0x407ffff
	s_lshr_b32 s27, s26, 20
	s_and_b32 s26, s26, 0xff00000
	s_cmp_lg_u32 s26, 0x7f00000
	s_cselect_b32 s29, s27, 0x7e
	s_mov_b64 s[26:27], 0
	s_branch .LBB126_981
.LBB126_977:
	s_andn2_b64 vcc, exec, s[26:27]
	s_cbranch_vccnz .LBB126_974
.LBB126_978:
	s_mov_b32 s34, s33
	s_and_b32 s28, s34, 0x7fffffff
	s_cmp_gt_u32 s28, 0x43efffff
	s_cbranch_scc0 .LBB126_975
.LBB126_979:
	s_mov_b64 s[26:27], -1
                                        ; implicit-def: $vgpr0
	s_branch .LBB126_984
.LBB126_980:
	s_mov_b64 s[26:27], -1
                                        ; implicit-def: $sgpr29
.LBB126_981:
	s_andn2_b64 vcc, exec, s[26:27]
	v_mov_b32_e32 v0, s29
	s_cbranch_vccnz .LBB126_983
; %bb.982:
	v_mov_b32_e32 v0, 0x46800000
	v_add_f32_e64 v0, |s34|, v0
.LBB126_983:
	s_mov_b64 s[26:27], 0
.LBB126_984:
	s_andn2_b64 vcc, exec, s[26:27]
	s_cbranch_vccnz .LBB126_986
; %bb.985:
	s_cmp_gt_u32 s28, 0x7f800000
	s_movk_i32 s26, 0x7f
	s_cselect_b32 s26, s26, 0x7e
	v_mov_b32_e32 v0, s26
.LBB126_986:
	s_lshr_b32 s26, s34, 24
	s_and_b32 s26, s26, 0x80
	v_or_b32_e32 v0, s26, v0
	global_store_byte v[10:11], v0, off
.LBB126_987:
	s_mov_b64 s[26:27], 0
.LBB126_988:
	s_andn2_b64 vcc, exec, s[26:27]
	s_cbranch_vccnz .LBB126_1009
; %bb.989:
	s_cmpk_lt_i32 s31, 0x80
	s_cbranch_scc1 .LBB126_993
; %bb.990:
	s_and_b32 s26, 0xffff, s31
	s_cmpk_eq_i32 s26, 0x80
	s_mov_b64 s[26:27], -1
	s_cbranch_scc0 .LBB126_992
; %bb.991:
	s_mov_b64 s[26:27], 0
.LBB126_992:
	s_mov_b64 s[28:29], 0
	s_branch .LBB126_994
.LBB126_993:
	s_mov_b64 s[28:29], -1
	s_mov_b64 s[26:27], 0
.LBB126_994:
	s_mov_b32 s34, 0x7f800001
	s_and_b64 vcc, exec, s[28:29]
	s_cbranch_vccz .LBB126_999
; %bb.995:
	s_and_b32 s26, 0xffff, s31
	s_cmp_lg_u32 s26, 0
	s_mov_b32 s34, 0
	s_cselect_b64 s[26:27], -1, 0
	s_andn2_b64 vcc, exec, s[26:27]
	s_cbranch_vccz .LBB126_1000
.LBB126_996:
	s_and_b32 s28, s34, 0x7fffffff
	s_cmp_gt_u32 s28, 0x477fffff
	s_cbranch_scc1 .LBB126_1001
.LBB126_997:
	s_cmp_lt_u32 s28, 0x38800000
	s_cbranch_scc1 .LBB126_1002
; %bb.998:
	s_bfe_u32 s26, s34, 0x10015
	s_add_i32 s26, s34, s26
	s_add_i32 s26, s26, 0x80fffff
	s_lshr_b32 s29, s26, 21
	s_mov_b64 s[26:27], 0
	s_branch .LBB126_1003
.LBB126_999:
	s_andn2_b64 vcc, exec, s[26:27]
	s_cbranch_vccnz .LBB126_996
.LBB126_1000:
	s_mov_b32 s34, s33
	s_and_b32 s28, s34, 0x7fffffff
	s_cmp_gt_u32 s28, 0x477fffff
	s_cbranch_scc0 .LBB126_997
.LBB126_1001:
	s_mov_b64 s[26:27], -1
                                        ; implicit-def: $vgpr0
	s_branch .LBB126_1006
.LBB126_1002:
	s_mov_b64 s[26:27], -1
                                        ; implicit-def: $sgpr29
.LBB126_1003:
	s_andn2_b64 vcc, exec, s[26:27]
	v_mov_b32_e32 v0, s29
	s_cbranch_vccnz .LBB126_1005
; %bb.1004:
	v_mov_b32_e32 v0, 0x43000000
	v_add_f32_e64 v0, |s34|, v0
.LBB126_1005:
	s_mov_b64 s[26:27], 0
.LBB126_1006:
	s_andn2_b64 vcc, exec, s[26:27]
	s_cbranch_vccnz .LBB126_1008
; %bb.1007:
	s_cmp_gt_u32 s28, 0x7f800000
	s_movk_i32 s26, 0x7f
	s_cselect_b32 s26, s26, 0x7c
	v_mov_b32_e32 v0, s26
.LBB126_1008:
	s_lshr_b32 s26, s34, 24
	s_and_b32 s26, s26, 0x80
	v_or_b32_e32 v0, s26, v0
	global_store_byte v[10:11], v0, off
.LBB126_1009:
	s_mov_b64 s[26:27], 0
.LBB126_1010:
	s_andn2_b64 vcc, exec, s[26:27]
	s_mov_b64 s[26:27], 0
	s_cbranch_vccnz .LBB126_1025
; %bb.1011:
	s_cmp_gt_i32 s35, 14
	s_mov_b64 s[28:29], -1
	s_cbranch_scc0 .LBB126_1023
; %bb.1012:
	s_cmp_eq_u32 s35, 15
	s_mov_b64 s[22:23], -1
	s_cbranch_scc0 .LBB126_1022
; %bb.1013:
	s_cmpk_lt_i32 s31, 0x80
	s_cbranch_scc1 .LBB126_1018
; %bb.1014:
	s_and_b32 s22, 0xffff, s31
	s_cmpk_eq_i32 s22, 0x80
	s_mov_b64 s[22:23], -1
	s_cbranch_scc0 .LBB126_1016
; %bb.1015:
	s_mov_b64 s[22:23], 0
	s_mov_b32 s28, 0x7f800001
	s_and_b64 vcc, exec, s[26:27]
	s_cbranch_vccz .LBB126_1019
	s_branch .LBB126_1017
.LBB126_1016:
	s_mov_b32 s28, 0x7f800001
	s_and_b64 vcc, exec, s[26:27]
	s_cbranch_vccz .LBB126_1019
.LBB126_1017:
	s_and_b32 s22, 0xffff, s31
	s_cmp_lg_u32 s22, 0
	s_mov_b32 s28, 0
	s_cselect_b64 s[22:23], -1, 0
	s_andn2_b64 vcc, exec, s[22:23]
	s_cbranch_vccz .LBB126_1020
	s_branch .LBB126_1021
.LBB126_1018:
	s_mov_b64 s[22:23], 0
	s_mov_b32 s28, 0x7f800001
	s_cbranch_execnz .LBB126_1017
.LBB126_1019:
	s_andn2_b64 vcc, exec, s[22:23]
	s_cbranch_vccnz .LBB126_1021
.LBB126_1020:
	s_mov_b32 s28, s33
.LBB126_1021:
	s_bfe_u32 s22, s28, 0x10010
	s_add_i32 s22, s28, s22
	s_addk_i32 s22, 0x7fff
	s_lshr_b32 s26, s22, 16
	v_cmp_o_f32_e64 s[22:23], s28, s28
	s_and_b64 s[22:23], s[22:23], exec
	s_cselect_b32 s22, s26, 0x7fc0
	v_mov_b32_e32 v0, s22
	global_store_short v[10:11], v0, off
	s_mov_b64 s[22:23], 0
.LBB126_1022:
	s_mov_b64 s[28:29], 0
.LBB126_1023:
	s_mov_b64 s[26:27], 0
	s_and_b64 vcc, exec, s[28:29]
	s_cbranch_vccz .LBB126_1025
; %bb.1024:
	s_cmp_lg_u32 s35, 11
	s_cselect_b64 s[28:29], -1, 0
	s_andn2_b64 s[22:23], s[22:23], exec
	s_and_b64 s[28:29], s[28:29], exec
	s_mov_b64 s[26:27], -1
	s_or_b64 s[22:23], s[22:23], s[28:29]
.LBB126_1025:
	s_and_b64 s[28:29], s[24:25], exec
	s_and_b64 s[24:25], s[26:27], exec
	s_andn2_b64 s[26:27], s[18:19], exec
	s_and_b64 s[22:23], s[22:23], exec
	s_or_b64 s[22:23], s[26:27], s[22:23]
.LBB126_1026:
	s_or_b64 exec, exec, s[20:21]
	s_andn2_b64 s[18:19], s[18:19], exec
	s_and_b64 s[22:23], s[22:23], exec
	s_and_b64 s[26:27], s[28:29], exec
	;; [unrolled: 1-line block ×3, first 2 shown]
	s_or_b64 s[18:19], s[18:19], s[22:23]
.LBB126_1027:
	s_or_b64 exec, exec, s[16:17]
	s_andn2_b64 s[12:13], s[12:13], exec
	s_and_b64 s[18:19], s[18:19], exec
	s_and_b64 s[16:17], s[26:27], exec
	;; [unrolled: 1-line block ×3, first 2 shown]
	s_or_b64 s[12:13], s[12:13], s[18:19]
.LBB126_1028:
	s_or_b64 exec, exec, s[14:15]
	s_andn2_b64 s[4:5], s[4:5], exec
	s_and_b64 s[12:13], s[12:13], exec
	s_and_b64 s[16:17], s[16:17], exec
	;; [unrolled: 1-line block ×3, first 2 shown]
	s_or_b64 s[4:5], s[4:5], s[12:13]
	s_or_b64 exec, exec, s[10:11]
	s_mov_b64 s[10:11], 0
	s_and_saveexec_b64 s[12:13], s[4:5]
	s_cbranch_execz .LBB126_301
.LBB126_1029:
	s_mov_b64 s[10:11], exec
	s_andn2_b64 s[14:15], s[14:15], exec
	s_trap 2
	s_or_b64 exec, exec, s[12:13]
	s_and_saveexec_b64 s[4:5], s[14:15]
	s_xor_b64 s[4:5], exec, s[4:5]
	s_cbranch_execnz .LBB126_302
.LBB126_1030:
	s_or_b64 exec, exec, s[4:5]
	s_and_saveexec_b64 s[4:5], s[16:17]
	s_xor_b64 s[4:5], exec, s[4:5]
	s_cbranch_execz .LBB126_1159
.LBB126_1031:
	s_sext_i32_i16 s14, s30
	s_cmp_lt_i32 s14, 5
	s_mov_b64 s[12:13], -1
	s_cbranch_scc1 .LBB126_1108
; %bb.1032:
	s_cmp_lt_i32 s14, 8
	s_cbranch_scc1 .LBB126_1070
; %bb.1033:
	s_cmp_lt_i32 s14, 9
	s_cbranch_scc1 .LBB126_1058
; %bb.1034:
	s_cmp_gt_i32 s14, 9
	s_cbranch_scc0 .LBB126_1046
; %bb.1035:
	s_cmpk_lt_i32 s31, 0x80
	s_cbranch_scc1 .LBB126_1039
; %bb.1036:
	s_and_b32 s12, 0xffff, s31
	s_cmpk_eq_i32 s12, 0x80
	s_mov_b64 s[12:13], -1
	s_cbranch_scc0 .LBB126_1038
; %bb.1037:
	s_mov_b64 s[12:13], 0
.LBB126_1038:
	s_mov_b64 s[14:15], 0
	s_branch .LBB126_1040
.LBB126_1039:
	s_mov_b64 s[14:15], -1
	s_mov_b64 s[12:13], 0
.LBB126_1040:
	s_and_b64 vcc, exec, s[14:15]
	s_cbranch_vccz .LBB126_1042
; %bb.1041:
	s_and_b32 s12, 0xffff, s31
	s_cmp_lg_u32 s12, 0
	s_mov_b64 s[14:15], 0
	s_cselect_b64 s[12:13], -1, 0
	s_branch .LBB126_1043
.LBB126_1042:
	s_mov_b32 s15, 0x7ff80000
	s_brev_b32 s14, 4
.LBB126_1043:
	v_mov_b32_e32 v0, s14
	s_andn2_b64 vcc, exec, s[12:13]
	v_mov_b32_e32 v1, s15
	s_cbranch_vccnz .LBB126_1045
; %bb.1044:
	v_mov_b32_e32 v0, v6
	v_mov_b32_e32 v1, v7
.LBB126_1045:
	v_mov_b32_e32 v2, 0
	v_mov_b32_e32 v3, v2
	global_store_dwordx4 v[10:11], v[0:3], off
	s_mov_b64 s[12:13], 0
.LBB126_1046:
	s_and_b64 vcc, exec, s[12:13]
	s_cbranch_vccz .LBB126_1057
; %bb.1047:
	s_cmpk_lt_i32 s31, 0x80
	s_cbranch_scc1 .LBB126_1051
; %bb.1048:
	s_and_b32 s12, 0xffff, s31
	s_cmpk_eq_i32 s12, 0x80
	s_mov_b64 s[12:13], -1
	s_cbranch_scc0 .LBB126_1050
; %bb.1049:
	s_mov_b64 s[12:13], 0
.LBB126_1050:
	s_mov_b64 s[14:15], 0
	s_branch .LBB126_1052
.LBB126_1051:
	s_mov_b64 s[14:15], -1
	s_mov_b64 s[12:13], 0
.LBB126_1052:
	s_mov_b32 s16, 0x7f800001
	s_and_b64 vcc, exec, s[14:15]
	s_cbranch_vccz .LBB126_1054
; %bb.1053:
	s_and_b32 s16, 0xffff, s31
	s_cmp_lg_u32 s16, 0
	s_cselect_b64 s[12:13], -1, 0
.LBB126_1054:
	s_andn2_b64 vcc, exec, s[12:13]
	s_cbranch_vccnz .LBB126_1056
; %bb.1055:
	s_mov_b32 s16, s33
.LBB126_1056:
	v_mov_b32_e32 v0, s16
	v_mov_b32_e32 v1, 0
	global_store_dwordx2 v[10:11], v[0:1], off
.LBB126_1057:
	s_mov_b64 s[12:13], 0
.LBB126_1058:
	s_andn2_b64 vcc, exec, s[12:13]
	s_cbranch_vccnz .LBB126_1069
; %bb.1059:
	s_cmpk_lt_i32 s31, 0x80
	s_cbranch_scc1 .LBB126_1063
; %bb.1060:
	s_and_b32 s12, 0xffff, s31
	s_cmpk_eq_i32 s12, 0x80
	s_mov_b64 s[12:13], -1
	s_cbranch_scc0 .LBB126_1062
; %bb.1061:
	s_mov_b64 s[12:13], 0
.LBB126_1062:
	s_mov_b64 s[14:15], 0
	s_branch .LBB126_1064
.LBB126_1063:
	s_mov_b64 s[14:15], -1
	s_mov_b64 s[12:13], 0
.LBB126_1064:
	s_movk_i32 s16, 0x7e00
	s_and_b64 vcc, exec, s[14:15]
	s_cbranch_vccz .LBB126_1066
; %bb.1065:
	s_and_b32 s16, 0xffff, s31
	s_cmp_lg_u32 s16, 0
	s_cselect_b64 s[12:13], -1, 0
.LBB126_1066:
	s_andn2_b64 vcc, exec, s[12:13]
	v_mov_b32_e32 v0, s16
	s_cbranch_vccnz .LBB126_1068
; %bb.1067:
	v_mov_b32_e32 v0, v13
.LBB126_1068:
	global_store_dword v[10:11], v0, off
.LBB126_1069:
	s_mov_b64 s[12:13], 0
.LBB126_1070:
	s_andn2_b64 vcc, exec, s[12:13]
	s_cbranch_vccnz .LBB126_1107
; %bb.1071:
	s_sext_i32_i16 s14, s30
	s_cmp_lt_i32 s14, 6
	s_mov_b64 s[12:13], -1
	s_cbranch_scc1 .LBB126_1096
; %bb.1072:
	s_cmp_gt_i32 s14, 6
	s_cbranch_scc0 .LBB126_1084
; %bb.1073:
	s_cmpk_lt_i32 s31, 0x80
	s_cbranch_scc1 .LBB126_1077
; %bb.1074:
	s_and_b32 s12, 0xffff, s31
	s_cmpk_eq_i32 s12, 0x80
	s_mov_b64 s[12:13], -1
	s_cbranch_scc0 .LBB126_1076
; %bb.1075:
	s_mov_b64 s[12:13], 0
.LBB126_1076:
	s_mov_b64 s[14:15], 0
	s_branch .LBB126_1078
.LBB126_1077:
	s_mov_b64 s[14:15], -1
	s_mov_b64 s[12:13], 0
.LBB126_1078:
	s_and_b64 vcc, exec, s[14:15]
	s_cbranch_vccz .LBB126_1080
; %bb.1079:
	s_and_b32 s12, 0xffff, s31
	s_cmp_lg_u32 s12, 0
	s_mov_b64 s[14:15], 0
	s_cselect_b64 s[12:13], -1, 0
	s_branch .LBB126_1081
.LBB126_1080:
	s_mov_b32 s15, 0x7ff80000
	s_brev_b32 s14, 4
.LBB126_1081:
	v_mov_b32_e32 v0, s14
	s_andn2_b64 vcc, exec, s[12:13]
	v_mov_b32_e32 v1, s15
	s_cbranch_vccnz .LBB126_1083
; %bb.1082:
	v_mov_b32_e32 v0, v6
	v_mov_b32_e32 v1, v7
.LBB126_1083:
	global_store_dwordx2 v[10:11], v[0:1], off
	s_mov_b64 s[12:13], 0
.LBB126_1084:
	s_and_b64 vcc, exec, s[12:13]
	s_cbranch_vccz .LBB126_1095
; %bb.1085:
	s_cmpk_lt_i32 s31, 0x80
	s_cbranch_scc1 .LBB126_1089
; %bb.1086:
	s_and_b32 s12, 0xffff, s31
	s_cmpk_eq_i32 s12, 0x80
	s_mov_b64 s[12:13], -1
	s_cbranch_scc0 .LBB126_1088
; %bb.1087:
	s_mov_b64 s[12:13], 0
.LBB126_1088:
	s_mov_b64 s[14:15], 0
	s_branch .LBB126_1090
.LBB126_1089:
	s_mov_b64 s[14:15], -1
	s_mov_b64 s[12:13], 0
.LBB126_1090:
	s_mov_b32 s16, 0x7f800001
	s_and_b64 vcc, exec, s[14:15]
	s_cbranch_vccz .LBB126_1092
; %bb.1091:
	s_and_b32 s12, 0xffff, s31
	s_cmp_lg_u32 s12, 0
	s_mov_b32 s16, 0
	s_cselect_b64 s[12:13], -1, 0
.LBB126_1092:
	s_andn2_b64 vcc, exec, s[12:13]
	s_cbranch_vccnz .LBB126_1094
; %bb.1093:
	s_mov_b32 s16, s33
.LBB126_1094:
	v_mov_b32_e32 v0, s16
	global_store_dword v[10:11], v0, off
.LBB126_1095:
	s_mov_b64 s[12:13], 0
.LBB126_1096:
	s_andn2_b64 vcc, exec, s[12:13]
	s_cbranch_vccnz .LBB126_1107
; %bb.1097:
	s_cmpk_lt_i32 s31, 0x80
	s_cbranch_scc1 .LBB126_1101
; %bb.1098:
	s_and_b32 s12, 0xffff, s31
	s_cmpk_eq_i32 s12, 0x80
	s_mov_b64 s[12:13], -1
	s_cbranch_scc0 .LBB126_1100
; %bb.1099:
	s_mov_b64 s[12:13], 0
.LBB126_1100:
	s_mov_b64 s[14:15], 0
	s_branch .LBB126_1102
.LBB126_1101:
	s_mov_b64 s[14:15], -1
	s_mov_b64 s[12:13], 0
.LBB126_1102:
	s_movk_i32 s16, 0x7e00
	s_and_b64 vcc, exec, s[14:15]
	s_cbranch_vccz .LBB126_1104
; %bb.1103:
	s_and_b32 s12, 0xffff, s31
	s_cmp_lg_u32 s12, 0
	s_cselect_b64 s[12:13], -1, 0
	s_mov_b32 s16, s31
.LBB126_1104:
	s_andn2_b64 vcc, exec, s[12:13]
	v_mov_b32_e32 v0, s16
	s_cbranch_vccnz .LBB126_1106
; %bb.1105:
	v_mov_b32_e32 v0, v13
.LBB126_1106:
	global_store_short v[10:11], v0, off
.LBB126_1107:
	s_mov_b64 s[12:13], 0
.LBB126_1108:
	s_andn2_b64 vcc, exec, s[12:13]
	s_cbranch_vccnz .LBB126_1159
; %bb.1109:
	s_sext_i32_i16 s14, s30
	s_cmp_lt_i32 s14, 2
	s_mov_b64 s[12:13], -1
	s_cbranch_scc1 .LBB126_1140
; %bb.1110:
	s_cmp_lt_i32 s14, 3
	s_cbranch_scc1 .LBB126_1130
; %bb.1111:
	s_cmp_gt_i32 s14, 3
	s_cbranch_scc0 .LBB126_1120
; %bb.1112:
	s_cmpk_lt_i32 s31, 0x80
	s_cbranch_scc1 .LBB126_1114
; %bb.1113:
	s_and_b32 s12, 0xffff, s31
	s_cmpk_lg_i32 s12, 0x80
	s_mov_b64 s[14:15], 0
	s_cselect_b64 s[12:13], -1, 0
	s_branch .LBB126_1115
.LBB126_1114:
	s_mov_b64 s[14:15], -1
	s_mov_b64 s[12:13], 0
.LBB126_1115:
	s_andn2_b64 vcc, exec, s[14:15]
	s_cbranch_vccnz .LBB126_1117
; %bb.1116:
	s_and_b32 s12, 0xffff, s31
	s_cmp_lg_u32 s12, 0
	s_cselect_b64 s[12:13], -1, 0
.LBB126_1117:
	v_mov_b32_e32 v0, 0
	s_andn2_b64 vcc, exec, s[12:13]
	v_mov_b32_e32 v1, 0
	s_cbranch_vccnz .LBB126_1119
; %bb.1118:
	v_mov_b32_e32 v0, v4
	v_mov_b32_e32 v1, v5
.LBB126_1119:
	global_store_dwordx2 v[10:11], v[0:1], off
	s_mov_b64 s[12:13], 0
.LBB126_1120:
	s_and_b64 vcc, exec, s[12:13]
	s_cbranch_vccz .LBB126_1129
; %bb.1121:
	s_cmpk_lt_i32 s31, 0x80
	s_cbranch_scc1 .LBB126_1123
; %bb.1122:
	s_and_b32 s12, 0xffff, s31
	s_cmpk_lg_i32 s12, 0x80
	s_mov_b64 s[14:15], 0
	s_cselect_b64 s[12:13], -1, 0
	s_branch .LBB126_1124
.LBB126_1123:
	s_mov_b64 s[14:15], -1
	s_mov_b64 s[12:13], 0
.LBB126_1124:
	s_andn2_b64 vcc, exec, s[14:15]
	s_cbranch_vccnz .LBB126_1126
; %bb.1125:
	s_and_b32 s12, 0xffff, s31
	s_cmp_lg_u32 s12, 0
	s_cselect_b64 s[12:13], -1, 0
.LBB126_1126:
	s_andn2_b64 vcc, exec, s[12:13]
	v_mov_b32_e32 v0, 0
	s_cbranch_vccnz .LBB126_1128
; %bb.1127:
	v_mov_b32_e32 v0, v12
.LBB126_1128:
	global_store_dword v[10:11], v0, off
.LBB126_1129:
	s_mov_b64 s[12:13], 0
.LBB126_1130:
	s_andn2_b64 vcc, exec, s[12:13]
	s_cbranch_vccnz .LBB126_1139
; %bb.1131:
	s_cmpk_lt_i32 s31, 0x80
	s_cbranch_scc1 .LBB126_1133
; %bb.1132:
	s_and_b32 s12, 0xffff, s31
	s_cmpk_lg_i32 s12, 0x80
	s_mov_b64 s[14:15], 0
	s_cselect_b64 s[12:13], -1, 0
	s_branch .LBB126_1134
.LBB126_1133:
	s_mov_b64 s[14:15], -1
	s_mov_b64 s[12:13], 0
.LBB126_1134:
	s_andn2_b64 vcc, exec, s[14:15]
	s_cbranch_vccnz .LBB126_1136
; %bb.1135:
	s_and_b32 s12, 0xffff, s31
	s_cmp_lg_u32 s12, 0
	s_cselect_b64 s[12:13], -1, 0
.LBB126_1136:
	s_andn2_b64 vcc, exec, s[12:13]
	v_mov_b32_e32 v0, 0
	s_cbranch_vccnz .LBB126_1138
; %bb.1137:
	v_mov_b32_e32 v0, v12
.LBB126_1138:
	global_store_short v[10:11], v0, off
.LBB126_1139:
	s_mov_b64 s[12:13], 0
.LBB126_1140:
	s_andn2_b64 vcc, exec, s[12:13]
	s_cbranch_vccnz .LBB126_1159
; %bb.1141:
	s_sext_i32_i16 s12, s30
	s_cmp_gt_i32 s12, 0
	s_mov_b64 s[12:13], -1
	s_cbranch_scc0 .LBB126_1150
; %bb.1142:
	s_cmpk_lt_i32 s31, 0x80
	s_cbranch_scc1 .LBB126_1144
; %bb.1143:
	s_and_b32 s12, 0xffff, s31
	s_cmpk_lg_i32 s12, 0x80
	s_mov_b64 s[14:15], 0
	s_cselect_b64 s[12:13], -1, 0
	s_branch .LBB126_1145
.LBB126_1144:
	s_mov_b64 s[14:15], -1
	s_mov_b64 s[12:13], 0
.LBB126_1145:
	s_andn2_b64 vcc, exec, s[14:15]
	s_cbranch_vccnz .LBB126_1147
; %bb.1146:
	s_and_b32 s12, 0xffff, s31
	s_cmp_lg_u32 s12, 0
	s_cselect_b64 s[12:13], -1, 0
.LBB126_1147:
	s_andn2_b64 vcc, exec, s[12:13]
	v_mov_b32_e32 v0, 0
	s_cbranch_vccnz .LBB126_1149
; %bb.1148:
	v_mov_b32_e32 v0, v12
.LBB126_1149:
	global_store_byte v[10:11], v0, off
	s_mov_b64 s[12:13], 0
.LBB126_1150:
	s_and_b64 vcc, exec, s[12:13]
	s_cbranch_vccz .LBB126_1159
; %bb.1151:
	s_cmpk_lt_i32 s31, 0x80
	s_cbranch_scc1 .LBB126_1153
; %bb.1152:
	s_and_b32 s12, 0xffff, s31
	s_cmpk_lg_i32 s12, 0x80
	s_mov_b64 s[14:15], 0
	s_cselect_b64 s[12:13], -1, 0
	s_branch .LBB126_1154
.LBB126_1153:
	s_mov_b64 s[14:15], -1
	s_mov_b64 s[12:13], 0
.LBB126_1154:
	s_andn2_b64 vcc, exec, s[14:15]
	s_cbranch_vccnz .LBB126_1156
; %bb.1155:
	s_and_b32 s12, 0xffff, s31
	s_cmp_lg_u32 s12, 0
	s_cselect_b64 s[12:13], -1, 0
.LBB126_1156:
	s_andn2_b64 vcc, exec, s[12:13]
	v_mov_b32_e32 v0, 0
	s_cbranch_vccnz .LBB126_1158
; %bb.1157:
	v_mov_b32_e32 v0, v4
.LBB126_1158:
	global_store_byte v[10:11], v0, off
.LBB126_1159:
	s_or_b64 exec, exec, s[4:5]
	s_and_b64 s[4:5], s[10:11], exec
                                        ; implicit-def: $vgpr16
.LBB126_1160:
	s_or_saveexec_b64 s[6:7], s[6:7]
	s_mov_b64 s[12:13], 0
                                        ; implicit-def: $vgpr4_vgpr5
	s_xor_b64 exec, exec, s[6:7]
	s_cbranch_execz .LBB126_2023
; %bb.1161:
	v_mul_lo_u32 v6, s2, v16
	v_mov_b32_e32 v0, s1
	s_and_b32 s18, 0xffff, s30
	s_cmp_lt_i32 s18, 11
	v_ashrrev_i32_e32 v1, 31, v6
	v_add_co_u32_e32 v4, vcc, s0, v6
	v_addc_co_u32_e32 v5, vcc, v0, v1, vcc
	s_cbranch_scc1 .LBB126_1170
; %bb.1162:
	s_mov_b64 s[10:11], -1
	s_cmp_gt_i32 s18, 25
	s_mov_b64 s[14:15], 0
	s_cbranch_scc0 .LBB126_1246
; %bb.1163:
	s_cmp_gt_i32 s18, 28
	s_cbranch_scc0 .LBB126_1204
; %bb.1164:
	s_cmp_gt_i32 s18, 43
	;; [unrolled: 3-line block ×3, first 2 shown]
	s_cbranch_scc0 .LBB126_1178
; %bb.1166:
	s_mov_b64 s[8:9], -1
	s_mov_b64 s[10:11], 0
	s_cmp_eq_u32 s18, 46
	s_cbranch_scc0 .LBB126_1178
; %bb.1167:
	s_and_b32 s16, s3, 0xff
	s_cmpk_lt_i32 s16, 0x80
	s_cbranch_scc1 .LBB126_1174
; %bb.1168:
	s_and_b32 s8, 0xffff, s16
	s_cmpk_eq_i32 s8, 0x80
	s_mov_b64 s[8:9], -1
	s_cbranch_scc0 .LBB126_1172
; %bb.1169:
	s_mov_b64 s[8:9], 0
	s_mov_b32 s17, 0x7f800001
	s_and_b64 vcc, exec, s[14:15]
	s_cbranch_vccz .LBB126_1175
	s_branch .LBB126_1173
.LBB126_1170:
	s_mov_b64 s[14:15], 0
	s_mov_b64 s[10:11], s[4:5]
	s_cbranch_execnz .LBB126_1314
.LBB126_1171:
	s_andn2_b64 vcc, exec, s[14:15]
	s_cbranch_vccz .LBB126_1444
	s_branch .LBB126_2021
.LBB126_1172:
	s_mov_b32 s17, 0x7f800001
	s_and_b64 vcc, exec, s[14:15]
	s_cbranch_vccz .LBB126_1175
.LBB126_1173:
	s_and_b32 s8, 0xffff, s16
	s_cmp_lg_u32 s8, 0
	s_mov_b32 s17, 0
	s_cselect_b64 s[8:9], -1, 0
	s_andn2_b64 vcc, exec, s[8:9]
	s_cbranch_vccz .LBB126_1176
	s_branch .LBB126_1177
.LBB126_1174:
	s_mov_b64 s[8:9], 0
	s_mov_b32 s17, 0x7f800001
	s_cbranch_execnz .LBB126_1173
.LBB126_1175:
	s_andn2_b64 vcc, exec, s[8:9]
	s_cbranch_vccnz .LBB126_1177
.LBB126_1176:
	s_and_b32 s9, s3, 3
	s_flbit_i32_b32 s15, s9
	s_min_u32 s15, s15, 32
	s_sub_i32 s16, s15, 29
	s_lshl_b32 s16, s3, s16
	s_lshl_b32 s8, s3, 24
	s_bfe_u32 s14, s3, 0x50002
	s_sub_i32 s15, 30, s15
	s_and_b32 s16, s16, 3
	s_cmp_eq_u32 s14, 0
	s_cselect_b32 s14, s15, s14
	s_cselect_b32 s9, s16, s9
	s_lshl_b32 s14, s14, 23
	s_and_b32 s8, s8, 0x80000000
	s_add_i32 s14, s14, 0x37800000
	s_lshl_b32 s9, s9, 21
	s_or_b32 s8, s8, s14
	s_or_b32 s17, s8, s9
.LBB126_1177:
	s_bfe_u32 s8, s17, 0x10010
	s_add_i32 s8, s17, s8
	s_addk_i32 s8, 0x7fff
	s_lshr_b32 s14, s8, 16
	v_cmp_o_f32_e64 s[8:9], s17, s17
	s_and_b64 s[8:9], s[8:9], exec
	s_cselect_b32 s8, s14, 0x7fc0
	v_mov_b32_e32 v0, s8
	s_mov_b64 s[8:9], 0
	s_mov_b64 s[14:15], -1
	global_store_dword v[4:5], v0, off
.LBB126_1178:
	s_and_b64 vcc, exec, s[10:11]
	s_cbranch_vccz .LBB126_1190
; %bb.1179:
	s_cmp_eq_u32 s18, 44
	s_mov_b64 s[8:9], -1
	s_cbranch_scc0 .LBB126_1190
; %bb.1180:
	s_and_b32 s14, s3, 0xff
	s_cmpk_lt_i32 s14, 0x80
	s_cbranch_scc1 .LBB126_1184
; %bb.1181:
	s_and_b32 s8, 0xffff, s14
	s_cmpk_eq_i32 s8, 0x80
	s_mov_b64 s[8:9], -1
	s_cbranch_scc0 .LBB126_1183
; %bb.1182:
	s_mov_b64 s[8:9], 0
.LBB126_1183:
	s_mov_b64 s[10:11], 0
	s_branch .LBB126_1185
.LBB126_1184:
	s_mov_b64 s[10:11], -1
	s_mov_b64 s[8:9], 0
.LBB126_1185:
	s_mov_b32 s15, 0x7f800001
	s_and_b64 vcc, exec, s[10:11]
	s_cbranch_vccz .LBB126_1195
; %bb.1186:
	s_and_b32 s15, 0xffff, s14
	s_cmp_lg_u32 s15, 0
	s_cselect_b64 s[8:9], -1, 0
	s_andn2_b64 vcc, exec, s[8:9]
	s_cbranch_vccz .LBB126_1196
.LBB126_1187:
	s_lshr_b32 s8, s15, 23
	s_cmpk_eq_i32 s8, 0xff
	v_mov_b32_e32 v0, 0xff
	s_cbranch_scc1 .LBB126_1189
.LBB126_1188:
	s_bitcmp1_b32 s15, 22
	s_cselect_b64 s[10:11], -1, 0
	s_and_b32 s9, s15, 0x3fffff
	s_or_b32 s9, s8, s9
	s_cmp_lg_u32 s9, 0
	s_cselect_b64 s[14:15], -1, 0
	s_and_b64 s[10:11], s[10:11], s[14:15]
	v_cndmask_b32_e64 v0, 0, 1, s[10:11]
	v_add_u32_e32 v0, s8, v0
.LBB126_1189:
	s_mov_b64 s[8:9], 0
	s_mov_b64 s[14:15], -1
	global_store_byte v[4:5], v0, off
.LBB126_1190:
	s_mov_b64 s[10:11], 0
.LBB126_1191:
	s_and_b64 vcc, exec, s[10:11]
	s_cbranch_vccz .LBB126_1203
; %bb.1192:
	s_cmp_eq_u32 s18, 29
	s_mov_b64 s[8:9], -1
	s_cbranch_scc0 .LBB126_1203
; %bb.1193:
	s_and_b32 s14, s3, 0xff
	s_cmpk_lt_i32 s14, 0x80
	s_cbranch_scc1 .LBB126_1197
; %bb.1194:
	s_and_b32 s8, 0xffff, s14
	s_cmpk_lg_i32 s8, 0x80
	s_mov_b64 s[10:11], 0
	s_cselect_b64 s[8:9], -1, 0
	s_branch .LBB126_1198
.LBB126_1195:
	s_andn2_b64 vcc, exec, s[8:9]
	s_cbranch_vccnz .LBB126_1187
.LBB126_1196:
	s_and_b32 s8, s3, 3
	s_flbit_i32_b32 s10, s8
	s_min_u32 s10, s10, 32
	s_sub_i32 s11, s10, 29
	s_lshl_b32 s11, s3, s11
	s_bfe_u32 s9, s3, 0x50002
	s_sub_i32 s10, 30, s10
	s_and_b32 s11, s11, 3
	s_cmp_eq_u32 s9, 0
	s_cselect_b32 s9, s10, s9
	s_cselect_b32 s8, s11, s8
	s_lshl_b32 s8, s8, 21
	s_lshl_b32 s9, s9, 23
	s_or_b32 s8, s9, s8
	s_add_i32 s15, s8, 0x37800000
	s_lshr_b32 s8, s15, 23
	s_cmpk_eq_i32 s8, 0xff
	v_mov_b32_e32 v0, 0xff
	s_cbranch_scc0 .LBB126_1188
	s_branch .LBB126_1189
.LBB126_1197:
	s_mov_b64 s[10:11], -1
	s_mov_b64 s[8:9], 0
.LBB126_1198:
	s_andn2_b64 vcc, exec, s[10:11]
	s_cbranch_vccnz .LBB126_1200
; %bb.1199:
	s_and_b32 s8, 0xffff, s14
	s_cmp_lg_u32 s8, 0
	s_cselect_b64 s[8:9], -1, 0
.LBB126_1200:
	v_mov_b32_e32 v0, 0
	s_andn2_b64 vcc, exec, s[8:9]
	v_mov_b32_e32 v1, 0
	s_cbranch_vccnz .LBB126_1202
; %bb.1201:
	s_and_b32 s9, s3, 3
	s_flbit_i32_b32 s11, s9
	s_min_u32 s11, s11, 32
	s_sub_i32 s14, s11, 29
	s_lshl_b32 s14, s3, s14
	s_lshl_b32 s8, s3, 24
	s_bfe_u32 s10, s3, 0x50002
	s_sub_i32 s11, 30, s11
	s_and_b32 s14, s14, 3
	s_cmp_eq_u32 s10, 0
	s_cselect_b32 s10, s11, s10
	s_cselect_b32 s9, s14, s9
	s_lshl_b32 s10, s10, 23
	s_and_b32 s8, s8, 0x80000000
	s_add_i32 s10, s10, 0x37800000
	s_lshl_b32 s9, s9, 21
	s_or_b32 s8, s8, s10
	s_or_b32 s8, s8, s9
	v_trunc_f32_e32 v0, s8
	v_mul_f32_e32 v1, 0x2f800000, v0
	v_floor_f32_e32 v1, v1
	v_fmac_f32_e32 v0, 0xcf800000, v1
	v_cvt_u32_f32_e32 v0, v0
	v_cvt_u32_f32_e32 v1, v1
.LBB126_1202:
	global_store_dwordx2 v[4:5], v[0:1], off
	s_mov_b64 s[8:9], 0
	s_mov_b64 s[14:15], -1
.LBB126_1203:
	s_mov_b64 s[10:11], 0
.LBB126_1204:
	s_and_b64 vcc, exec, s[10:11]
	s_cbranch_vccz .LBB126_1245
; %bb.1205:
	s_cmp_lt_i32 s18, 27
	s_mov_b64 s[10:11], -1
	s_cbranch_scc1 .LBB126_1225
; %bb.1206:
	s_cmp_gt_i32 s18, 27
	s_cbranch_scc0 .LBB126_1215
; %bb.1207:
	s_and_b32 s16, s3, 0xff
	s_cmpk_lt_i32 s16, 0x80
	s_cbranch_scc1 .LBB126_1209
; %bb.1208:
	s_and_b32 s10, 0xffff, s16
	s_cmpk_lg_i32 s10, 0x80
	s_mov_b64 s[14:15], 0
	s_cselect_b64 s[10:11], -1, 0
	s_branch .LBB126_1210
.LBB126_1209:
	s_mov_b64 s[14:15], -1
	s_mov_b64 s[10:11], 0
.LBB126_1210:
	s_andn2_b64 vcc, exec, s[14:15]
	s_cbranch_vccnz .LBB126_1212
; %bb.1211:
	s_and_b32 s10, 0xffff, s16
	s_cmp_lg_u32 s10, 0
	s_cselect_b64 s[10:11], -1, 0
.LBB126_1212:
	s_andn2_b64 vcc, exec, s[10:11]
	v_mov_b32_e32 v0, 0
	s_cbranch_vccnz .LBB126_1214
; %bb.1213:
	s_and_b32 s11, s3, 3
	s_flbit_i32_b32 s15, s11
	s_min_u32 s15, s15, 32
	s_sub_i32 s16, s15, 29
	s_lshl_b32 s16, s3, s16
	s_lshl_b32 s10, s3, 24
	s_bfe_u32 s14, s3, 0x50002
	s_sub_i32 s15, 30, s15
	s_and_b32 s16, s16, 3
	s_cmp_eq_u32 s14, 0
	s_cselect_b32 s14, s15, s14
	s_cselect_b32 s11, s16, s11
	s_lshl_b32 s14, s14, 23
	s_and_b32 s10, s10, 0x80000000
	s_add_i32 s14, s14, 0x37800000
	s_lshl_b32 s11, s11, 21
	s_or_b32 s10, s10, s14
	s_or_b32 s10, s10, s11
	v_cvt_u32_f32_e32 v0, s10
.LBB126_1214:
	global_store_dword v[4:5], v0, off
	s_mov_b64 s[10:11], 0
.LBB126_1215:
	s_and_b64 vcc, exec, s[10:11]
	s_cbranch_vccz .LBB126_1224
; %bb.1216:
	s_and_b32 s16, s3, 0xff
	s_cmpk_lt_i32 s16, 0x80
	s_cbranch_scc1 .LBB126_1218
; %bb.1217:
	s_and_b32 s10, 0xffff, s16
	s_cmpk_lg_i32 s10, 0x80
	s_mov_b64 s[14:15], 0
	s_cselect_b64 s[10:11], -1, 0
	s_branch .LBB126_1219
.LBB126_1218:
	s_mov_b64 s[14:15], -1
	s_mov_b64 s[10:11], 0
.LBB126_1219:
	s_andn2_b64 vcc, exec, s[14:15]
	s_cbranch_vccnz .LBB126_1221
; %bb.1220:
	s_and_b32 s10, 0xffff, s16
	s_cmp_lg_u32 s10, 0
	s_cselect_b64 s[10:11], -1, 0
.LBB126_1221:
	s_andn2_b64 vcc, exec, s[10:11]
	v_mov_b32_e32 v0, 0
	s_cbranch_vccnz .LBB126_1223
; %bb.1222:
	s_and_b32 s11, s3, 3
	s_flbit_i32_b32 s15, s11
	s_min_u32 s15, s15, 32
	s_sub_i32 s16, s15, 29
	s_lshl_b32 s16, s3, s16
	s_lshl_b32 s10, s3, 24
	s_bfe_u32 s14, s3, 0x50002
	s_sub_i32 s15, 30, s15
	s_and_b32 s16, s16, 3
	s_cmp_eq_u32 s14, 0
	s_cselect_b32 s14, s15, s14
	s_cselect_b32 s11, s16, s11
	s_lshl_b32 s14, s14, 23
	s_and_b32 s10, s10, 0x80000000
	s_add_i32 s14, s14, 0x37800000
	s_lshl_b32 s11, s11, 21
	s_or_b32 s10, s10, s14
	s_or_b32 s10, s10, s11
	v_cvt_u32_f32_e32 v0, s10
.LBB126_1223:
	global_store_short v[4:5], v0, off
.LBB126_1224:
	s_mov_b64 s[10:11], 0
.LBB126_1225:
	s_andn2_b64 vcc, exec, s[10:11]
	s_cbranch_vccnz .LBB126_1244
; %bb.1226:
	s_and_b32 s17, s3, 0xff
	s_cmpk_lt_i32 s17, 0x80
	s_cbranch_scc1 .LBB126_1230
; %bb.1227:
	s_and_b32 s10, 0xffff, s17
	s_cmpk_eq_i32 s10, 0x80
	s_mov_b64 s[10:11], -1
	s_cbranch_scc0 .LBB126_1229
; %bb.1228:
	s_mov_b64 s[10:11], 0
.LBB126_1229:
	s_mov_b64 s[14:15], 0
	s_branch .LBB126_1231
.LBB126_1230:
	s_mov_b64 s[14:15], -1
	s_mov_b64 s[10:11], 0
.LBB126_1231:
	s_mov_b32 s16, 0x7f800001
	s_and_b64 vcc, exec, s[14:15]
	s_cbranch_vccz .LBB126_1234
; %bb.1232:
	s_and_b32 s10, 0xffff, s17
	s_cmp_lg_u32 s10, 0
	s_mov_b32 s16, 0
	s_cselect_b64 s[10:11], -1, 0
	s_andn2_b64 vcc, exec, s[10:11]
	s_cbranch_vccz .LBB126_1235
.LBB126_1233:
	s_and_b32 s10, s16, 0x7fffffff
	s_cmp_gt_u32 s10, 0x437fffff
	v_mov_b32_e32 v1, 0x80
	s_cbranch_scc0 .LBB126_1236
	s_branch .LBB126_1243
.LBB126_1234:
	s_andn2_b64 vcc, exec, s[10:11]
	s_cbranch_vccnz .LBB126_1233
.LBB126_1235:
	s_and_b32 s11, s3, 3
	s_flbit_i32_b32 s15, s11
	s_min_u32 s15, s15, 32
	s_sub_i32 s16, s15, 29
	s_lshl_b32 s16, s3, s16
	s_lshl_b32 s10, s3, 24
	s_bfe_u32 s14, s3, 0x50002
	s_sub_i32 s15, 30, s15
	s_and_b32 s16, s16, 3
	s_cmp_eq_u32 s14, 0
	s_cselect_b32 s14, s15, s14
	s_cselect_b32 s11, s16, s11
	s_lshl_b32 s14, s14, 23
	s_and_b32 s10, s10, 0x80000000
	s_add_i32 s14, s14, 0x37800000
	s_lshl_b32 s11, s11, 21
	s_or_b32 s10, s10, s14
	s_or_b32 s16, s10, s11
	s_and_b32 s10, s16, 0x7fffffff
	s_cmp_gt_u32 s10, 0x437fffff
	v_mov_b32_e32 v1, 0x80
	s_cbranch_scc1 .LBB126_1243
.LBB126_1236:
	s_cmp_gt_u32 s10, 0x3bffffff
	s_cbranch_scc0 .LBB126_1238
; %bb.1237:
	s_bfe_u32 s10, s16, 0x10014
	s_add_i32 s10, s16, s10
	s_add_i32 s10, s10, 0x487ffff
	s_lshr_b32 s17, s10, 20
	s_mov_b64 s[14:15], 0
	s_mov_b64 s[10:11], -1
	s_branch .LBB126_1239
.LBB126_1238:
	s_mov_b64 s[14:15], -1
	s_mov_b64 s[10:11], 0
                                        ; implicit-def: $sgpr17
.LBB126_1239:
	s_andn2_b64 vcc, exec, s[14:15]
	v_mov_b32_e32 v0, s17
	s_cbranch_vccnz .LBB126_1241
; %bb.1240:
	v_mov_b32_e32 v0, 0x46000000
	v_add_f32_e64 v0, |s16|, v0
	v_and_b32_e32 v0, 0xff, v0
	v_cmp_ne_u32_e64 s[10:11], 0, v0
.LBB126_1241:
	s_andn2_b64 vcc, exec, s[10:11]
	v_mov_b32_e32 v1, 0
	s_cbranch_vccnz .LBB126_1243
; %bb.1242:
	s_lshr_b32 s10, s16, 24
	s_and_b32 s10, s10, 0x80
	v_or_b32_e32 v1, s10, v0
.LBB126_1243:
	global_store_byte v[4:5], v1, off
.LBB126_1244:
	s_mov_b64 s[14:15], -1
.LBB126_1245:
	s_mov_b64 s[10:11], 0
.LBB126_1246:
	s_and_b64 vcc, exec, s[10:11]
	s_cbranch_vccz .LBB126_1310
; %bb.1247:
	s_cmp_gt_i32 s18, 22
	s_mov_b64 s[10:11], -1
	s_cbranch_scc0 .LBB126_1294
; %bb.1248:
	s_cmp_lt_i32 s18, 24
	s_cbranch_scc1 .LBB126_1272
; %bb.1249:
	s_cmp_gt_i32 s18, 24
	s_cbranch_scc0 .LBB126_1251
; %bb.1250:
	v_mov_b32_e32 v0, s3
	global_store_byte v[4:5], v0, off
	s_mov_b64 s[10:11], 0
.LBB126_1251:
	s_andn2_b64 vcc, exec, s[10:11]
	s_cbranch_vccnz .LBB126_1271
; %bb.1252:
	s_and_b32 s15, s3, 0xff
	s_cmpk_lt_i32 s15, 0x80
	s_cbranch_scc1 .LBB126_1260
; %bb.1253:
	s_and_b32 s10, 0xffff, s15
	s_cmpk_eq_i32 s10, 0x80
	s_mov_b64 s[10:11], -1
	s_cbranch_scc0 .LBB126_1255
; %bb.1254:
	s_mov_b64 s[10:11], 0
	s_mov_b32 s14, 0x7f800001
	s_and_b64 vcc, exec, s[12:13]
	s_cbranch_vccz .LBB126_1261
	s_branch .LBB126_1256
.LBB126_1255:
	s_mov_b32 s14, 0x7f800001
	s_and_b64 vcc, exec, s[12:13]
	s_cbranch_vccz .LBB126_1261
.LBB126_1256:
	s_and_b32 s10, 0xffff, s15
	s_cmp_lg_u32 s10, 0
	s_mov_b32 s14, 0
	s_cselect_b64 s[10:11], -1, 0
	s_andn2_b64 vcc, exec, s[10:11]
	s_cbranch_vccz .LBB126_1262
.LBB126_1257:
	s_and_b32 s12, s14, 0x7fffffff
	s_cmp_lt_u32 s12, 0x43f00000
	s_cbranch_scc0 .LBB126_1263
.LBB126_1258:
	s_cmp_gt_u32 s12, 0x3c7fffff
	s_cbranch_scc0 .LBB126_1264
; %bb.1259:
	s_bfe_u32 s10, s14, 0x10014
	s_add_i32 s10, s14, s10
	s_add_i32 s10, s10, 0x407ffff
	s_lshr_b32 s11, s10, 20
	s_and_b32 s10, s10, 0xff00000
	s_cmp_lg_u32 s10, 0x7f00000
	s_cselect_b32 s13, s11, 0x7e
	s_mov_b64 s[10:11], 0
	s_branch .LBB126_1265
.LBB126_1260:
	s_mov_b64 s[10:11], 0
	s_mov_b32 s14, 0x7f800001
	s_cbranch_execnz .LBB126_1256
.LBB126_1261:
	s_andn2_b64 vcc, exec, s[10:11]
	s_cbranch_vccnz .LBB126_1257
.LBB126_1262:
	s_and_b32 s11, s3, 3
	s_flbit_i32_b32 s13, s11
	s_min_u32 s13, s13, 32
	s_sub_i32 s14, s13, 29
	s_lshl_b32 s14, s3, s14
	s_lshl_b32 s10, s3, 24
	s_bfe_u32 s12, s3, 0x50002
	s_sub_i32 s13, 30, s13
	s_and_b32 s14, s14, 3
	s_cmp_eq_u32 s12, 0
	s_cselect_b32 s12, s13, s12
	s_cselect_b32 s11, s14, s11
	s_lshl_b32 s12, s12, 23
	s_and_b32 s10, s10, 0x80000000
	s_add_i32 s12, s12, 0x37800000
	s_lshl_b32 s11, s11, 21
	s_or_b32 s10, s10, s12
	s_or_b32 s14, s10, s11
	s_and_b32 s12, s14, 0x7fffffff
	s_cmp_lt_u32 s12, 0x43f00000
	s_cbranch_scc1 .LBB126_1258
.LBB126_1263:
	s_mov_b64 s[10:11], -1
                                        ; implicit-def: $vgpr0
	s_branch .LBB126_1268
.LBB126_1264:
	s_mov_b64 s[10:11], -1
                                        ; implicit-def: $sgpr13
.LBB126_1265:
	s_andn2_b64 vcc, exec, s[10:11]
	v_mov_b32_e32 v0, s13
	s_cbranch_vccnz .LBB126_1267
; %bb.1266:
	v_mov_b32_e32 v0, 0x46800000
	v_add_f32_e64 v0, |s14|, v0
.LBB126_1267:
	s_mov_b64 s[10:11], 0
.LBB126_1268:
	s_andn2_b64 vcc, exec, s[10:11]
	s_cbranch_vccnz .LBB126_1270
; %bb.1269:
	s_cmp_gt_u32 s12, 0x7f800000
	s_movk_i32 s10, 0x7f
	s_cselect_b32 s10, s10, 0x7e
	v_mov_b32_e32 v0, s10
.LBB126_1270:
	s_lshr_b32 s10, s14, 24
	s_and_b32 s10, s10, 0x80
	v_or_b32_e32 v0, s10, v0
	global_store_byte v[4:5], v0, off
.LBB126_1271:
	s_mov_b64 s[10:11], 0
.LBB126_1272:
	s_andn2_b64 vcc, exec, s[10:11]
	s_cbranch_vccnz .LBB126_1293
; %bb.1273:
	s_and_b32 s15, s3, 0xff
	s_cmpk_lt_i32 s15, 0x80
	s_cbranch_scc1 .LBB126_1277
; %bb.1274:
	s_and_b32 s10, 0xffff, s15
	s_cmpk_eq_i32 s10, 0x80
	s_mov_b64 s[10:11], -1
	s_cbranch_scc0 .LBB126_1276
; %bb.1275:
	s_mov_b64 s[10:11], 0
.LBB126_1276:
	s_mov_b64 s[12:13], 0
	s_branch .LBB126_1278
.LBB126_1277:
	s_mov_b64 s[12:13], -1
	s_mov_b64 s[10:11], 0
.LBB126_1278:
	s_mov_b32 s14, 0x7f800001
	s_and_b64 vcc, exec, s[12:13]
	s_cbranch_vccz .LBB126_1283
; %bb.1279:
	s_and_b32 s10, 0xffff, s15
	s_cmp_lg_u32 s10, 0
	s_mov_b32 s14, 0
	s_cselect_b64 s[10:11], -1, 0
	s_andn2_b64 vcc, exec, s[10:11]
	s_cbranch_vccz .LBB126_1284
.LBB126_1280:
	s_and_b32 s12, s14, 0x7fffffff
	s_cmp_lt_u32 s12, 0x47800000
	s_cbranch_scc0 .LBB126_1285
.LBB126_1281:
	s_cmp_gt_u32 s12, 0x387fffff
	s_cbranch_scc0 .LBB126_1286
; %bb.1282:
	s_bfe_u32 s10, s14, 0x10015
	s_add_i32 s10, s14, s10
	s_add_i32 s10, s10, 0x80fffff
	s_lshr_b32 s13, s10, 21
	s_mov_b64 s[10:11], 0
	s_branch .LBB126_1287
.LBB126_1283:
	s_andn2_b64 vcc, exec, s[10:11]
	s_cbranch_vccnz .LBB126_1280
.LBB126_1284:
	s_and_b32 s11, s3, 3
	s_flbit_i32_b32 s13, s11
	s_min_u32 s13, s13, 32
	s_sub_i32 s14, s13, 29
	s_lshl_b32 s14, s3, s14
	s_lshl_b32 s10, s3, 24
	s_bfe_u32 s12, s3, 0x50002
	s_sub_i32 s13, 30, s13
	s_and_b32 s14, s14, 3
	s_cmp_eq_u32 s12, 0
	s_cselect_b32 s12, s13, s12
	s_cselect_b32 s11, s14, s11
	s_lshl_b32 s12, s12, 23
	s_and_b32 s10, s10, 0x80000000
	s_add_i32 s12, s12, 0x37800000
	s_lshl_b32 s11, s11, 21
	s_or_b32 s10, s10, s12
	s_or_b32 s14, s10, s11
	s_and_b32 s12, s14, 0x7fffffff
	s_cmp_lt_u32 s12, 0x47800000
	s_cbranch_scc1 .LBB126_1281
.LBB126_1285:
	s_mov_b64 s[10:11], -1
                                        ; implicit-def: $vgpr0
	s_branch .LBB126_1290
.LBB126_1286:
	s_mov_b64 s[10:11], -1
                                        ; implicit-def: $sgpr13
.LBB126_1287:
	s_andn2_b64 vcc, exec, s[10:11]
	v_mov_b32_e32 v0, s13
	s_cbranch_vccnz .LBB126_1289
; %bb.1288:
	v_mov_b32_e32 v0, 0x43000000
	v_add_f32_e64 v0, |s14|, v0
.LBB126_1289:
	s_mov_b64 s[10:11], 0
.LBB126_1290:
	s_andn2_b64 vcc, exec, s[10:11]
	s_cbranch_vccnz .LBB126_1292
; %bb.1291:
	s_cmp_gt_u32 s12, 0x7f800000
	s_movk_i32 s10, 0x7f
	s_cselect_b32 s10, s10, 0x7c
	v_mov_b32_e32 v0, s10
.LBB126_1292:
	s_lshr_b32 s10, s14, 24
	s_and_b32 s10, s10, 0x80
	v_or_b32_e32 v0, s10, v0
	global_store_byte v[4:5], v0, off
.LBB126_1293:
	s_mov_b64 s[10:11], 0
	s_mov_b64 s[14:15], -1
.LBB126_1294:
	s_andn2_b64 vcc, exec, s[10:11]
	s_mov_b64 s[12:13], 0
	s_cbranch_vccnz .LBB126_1310
; %bb.1295:
	s_cmp_gt_i32 s18, 14
	s_mov_b64 s[10:11], -1
	s_cbranch_scc0 .LBB126_1308
; %bb.1296:
	s_cmp_eq_u32 s18, 15
	s_mov_b64 s[8:9], -1
	s_cbranch_scc0 .LBB126_1307
; %bb.1297:
	s_and_b32 s12, s3, 0xff
	s_cmpk_lt_i32 s12, 0x80
	s_cbranch_scc1 .LBB126_1301
; %bb.1298:
	s_and_b32 s8, 0xffff, s12
	s_cmpk_eq_i32 s8, 0x80
	s_mov_b64 s[8:9], -1
	s_cbranch_scc0 .LBB126_1300
; %bb.1299:
	s_mov_b64 s[8:9], 0
.LBB126_1300:
	s_mov_b64 s[10:11], 0
	s_branch .LBB126_1302
.LBB126_1301:
	s_mov_b64 s[8:9], 0
.LBB126_1302:
	s_mov_b32 s13, 0x7f800001
	s_and_b64 vcc, exec, s[10:11]
	s_cbranch_vccz .LBB126_1304
; %bb.1303:
	s_and_b32 s8, 0xffff, s12
	s_cmp_lg_u32 s8, 0
	s_mov_b32 s13, 0
	s_cselect_b64 s[8:9], -1, 0
.LBB126_1304:
	s_andn2_b64 vcc, exec, s[8:9]
	s_cbranch_vccnz .LBB126_1306
; %bb.1305:
	s_and_b32 s9, s3, 3
	s_flbit_i32_b32 s11, s9
	s_min_u32 s11, s11, 32
	s_sub_i32 s12, s11, 29
	s_lshl_b32 s12, s3, s12
	s_lshl_b32 s8, s3, 24
	s_bfe_u32 s10, s3, 0x50002
	s_sub_i32 s11, 30, s11
	s_and_b32 s12, s12, 3
	s_cmp_eq_u32 s10, 0
	s_cselect_b32 s10, s11, s10
	s_cselect_b32 s9, s12, s9
	s_lshl_b32 s10, s10, 23
	s_and_b32 s8, s8, 0x80000000
	s_add_i32 s10, s10, 0x37800000
	s_lshl_b32 s9, s9, 21
	s_or_b32 s8, s8, s10
	s_or_b32 s13, s8, s9
.LBB126_1306:
	s_bfe_u32 s8, s13, 0x10010
	s_add_i32 s8, s13, s8
	s_addk_i32 s8, 0x7fff
	s_lshr_b32 s10, s8, 16
	v_cmp_o_f32_e64 s[8:9], s13, s13
	s_and_b64 s[8:9], s[8:9], exec
	s_cselect_b32 s8, s10, 0x7fc0
	v_mov_b32_e32 v0, s8
	global_store_short v[4:5], v0, off
	s_mov_b64 s[8:9], 0
	s_mov_b64 s[14:15], -1
.LBB126_1307:
	s_mov_b64 s[10:11], 0
.LBB126_1308:
	s_mov_b64 s[12:13], 0
	s_and_b64 vcc, exec, s[10:11]
	s_cbranch_vccz .LBB126_1310
; %bb.1309:
	s_cmp_lg_u32 s18, 11
	s_mov_b64 s[12:13], -1
	s_cselect_b64 s[8:9], -1, 0
.LBB126_1310:
	s_and_b64 vcc, exec, s[8:9]
	s_mov_b64 s[10:11], s[4:5]
	s_cbranch_vccnz .LBB126_1322
; %bb.1311:
	s_andn2_b64 vcc, exec, s[12:13]
	s_cbranch_vccnz .LBB126_1313
.LBB126_1312:
	s_and_b32 s8, s3, 0xff
	s_cmp_lg_u32 s8, 0
	s_cselect_b64 s[8:9], -1, 0
	v_cndmask_b32_e64 v0, 0, 1, s[8:9]
	s_mov_b64 s[14:15], -1
	global_store_byte v[4:5], v0, off
.LBB126_1313:
	s_branch .LBB126_1171
.LBB126_1314:
	s_cmp_lt_i32 s18, 5
	s_mov_b64 s[8:9], -1
	s_cbranch_scc1 .LBB126_1392
; %bb.1315:
	s_cmp_lt_i32 s18, 8
	s_cbranch_scc1 .LBB126_1354
; %bb.1316:
	s_cmp_lt_i32 s18, 9
	s_cbranch_scc1 .LBB126_1342
; %bb.1317:
	s_cmp_gt_i32 s18, 9
	s_cbranch_scc0 .LBB126_1330
; %bb.1318:
	s_and_b32 s14, s3, 0xff
	s_cmpk_lt_i32 s14, 0x80
	s_cbranch_scc1 .LBB126_1323
; %bb.1319:
	s_and_b32 s8, 0xffff, s14
	s_cmpk_eq_i32 s8, 0x80
	s_mov_b64 s[8:9], -1
	s_cbranch_scc0 .LBB126_1321
; %bb.1320:
	s_mov_b64 s[8:9], 0
.LBB126_1321:
	s_mov_b64 s[12:13], 0
	s_branch .LBB126_1324
.LBB126_1322:
	s_or_b64 s[10:11], s[4:5], exec
	s_trap 2
	s_cbranch_execz .LBB126_1312
	s_branch .LBB126_1313
.LBB126_1323:
	s_mov_b64 s[12:13], -1
	s_mov_b64 s[8:9], 0
.LBB126_1324:
	s_and_b64 vcc, exec, s[12:13]
	s_cbranch_vccz .LBB126_1326
; %bb.1325:
	s_and_b32 s8, 0xffff, s14
	s_cmp_lg_u32 s8, 0
	s_mov_b64 s[12:13], 0
	s_cselect_b64 s[8:9], -1, 0
	s_branch .LBB126_1327
.LBB126_1326:
	s_mov_b32 s13, 0x7ff80000
	s_brev_b32 s12, 4
.LBB126_1327:
	v_mov_b32_e32 v0, s12
	s_andn2_b64 vcc, exec, s[8:9]
	v_mov_b32_e32 v1, s13
	s_cbranch_vccnz .LBB126_1329
; %bb.1328:
	s_and_b32 s9, s3, 3
	s_flbit_i32_b32 s13, s9
	s_min_u32 s13, s13, 32
	s_sub_i32 s14, s13, 29
	s_lshl_b32 s14, s3, s14
	s_lshl_b32 s8, s3, 24
	s_bfe_u32 s12, s3, 0x50002
	s_sub_i32 s13, 30, s13
	s_and_b32 s14, s14, 3
	s_cmp_eq_u32 s12, 0
	s_cselect_b32 s12, s13, s12
	s_cselect_b32 s9, s14, s9
	s_lshl_b32 s12, s12, 23
	s_and_b32 s8, s8, 0x80000000
	s_add_i32 s12, s12, 0x37800000
	s_lshl_b32 s9, s9, 21
	s_or_b32 s8, s8, s12
	s_or_b32 s8, s8, s9
	v_cvt_f64_f32_e32 v[0:1], s8
.LBB126_1329:
	v_mov_b32_e32 v2, 0
	v_mov_b32_e32 v3, v2
	global_store_dwordx4 v[4:5], v[0:3], off
	s_mov_b64 s[8:9], 0
.LBB126_1330:
	s_and_b64 vcc, exec, s[8:9]
	s_cbranch_vccz .LBB126_1341
; %bb.1331:
	s_and_b32 s14, s3, 0xff
	s_cmpk_lt_i32 s14, 0x80
	s_cbranch_scc1 .LBB126_1335
; %bb.1332:
	s_and_b32 s8, 0xffff, s14
	s_cmpk_eq_i32 s8, 0x80
	s_mov_b64 s[8:9], -1
	s_cbranch_scc0 .LBB126_1334
; %bb.1333:
	s_mov_b64 s[8:9], 0
.LBB126_1334:
	s_mov_b64 s[12:13], 0
	s_branch .LBB126_1336
.LBB126_1335:
	s_mov_b64 s[12:13], -1
	s_mov_b64 s[8:9], 0
.LBB126_1336:
	s_mov_b32 s15, 0x7f800001
	s_and_b64 vcc, exec, s[12:13]
	s_cbranch_vccz .LBB126_1338
; %bb.1337:
	s_and_b32 s15, 0xffff, s14
	s_cmp_lg_u32 s15, 0
	s_cselect_b64 s[8:9], -1, 0
.LBB126_1338:
	s_andn2_b64 vcc, exec, s[8:9]
	s_cbranch_vccnz .LBB126_1340
; %bb.1339:
	s_and_b32 s9, s3, 3
	s_flbit_i32_b32 s13, s9
	s_min_u32 s13, s13, 32
	s_sub_i32 s14, s13, 29
	s_lshl_b32 s14, s3, s14
	s_lshl_b32 s8, s3, 24
	s_bfe_u32 s12, s3, 0x50002
	s_sub_i32 s13, 30, s13
	s_and_b32 s14, s14, 3
	s_cmp_eq_u32 s12, 0
	s_cselect_b32 s12, s13, s12
	s_cselect_b32 s9, s14, s9
	s_lshl_b32 s12, s12, 23
	s_and_b32 s8, s8, 0x80000000
	s_add_i32 s12, s12, 0x37800000
	s_lshl_b32 s9, s9, 21
	s_or_b32 s8, s8, s12
	s_or_b32 s15, s8, s9
.LBB126_1340:
	v_mov_b32_e32 v0, s15
	v_mov_b32_e32 v1, 0
	global_store_dwordx2 v[4:5], v[0:1], off
.LBB126_1341:
	s_mov_b64 s[8:9], 0
.LBB126_1342:
	s_andn2_b64 vcc, exec, s[8:9]
	s_cbranch_vccnz .LBB126_1353
; %bb.1343:
	s_and_b32 s14, s3, 0xff
	s_cmpk_lt_i32 s14, 0x80
	s_cbranch_scc1 .LBB126_1347
; %bb.1344:
	s_and_b32 s8, 0xffff, s14
	s_cmpk_eq_i32 s8, 0x80
	s_mov_b64 s[8:9], -1
	s_cbranch_scc0 .LBB126_1346
; %bb.1345:
	s_mov_b64 s[8:9], 0
.LBB126_1346:
	s_mov_b64 s[12:13], 0
	s_branch .LBB126_1348
.LBB126_1347:
	s_mov_b64 s[12:13], -1
	s_mov_b64 s[8:9], 0
.LBB126_1348:
	s_movk_i32 s15, 0x7e00
	s_and_b64 vcc, exec, s[12:13]
	s_cbranch_vccz .LBB126_1350
; %bb.1349:
	s_and_b32 s15, 0xffff, s14
	s_cmp_lg_u32 s15, 0
	s_cselect_b64 s[8:9], -1, 0
.LBB126_1350:
	s_andn2_b64 vcc, exec, s[8:9]
	v_mov_b32_e32 v0, s15
	s_cbranch_vccnz .LBB126_1352
; %bb.1351:
	s_and_b32 s9, s3, 3
	s_flbit_i32_b32 s13, s9
	s_min_u32 s13, s13, 32
	s_sub_i32 s14, s13, 29
	s_lshl_b32 s14, s3, s14
	s_lshl_b32 s8, s3, 24
	s_bfe_u32 s12, s3, 0x50002
	s_sub_i32 s13, 30, s13
	s_and_b32 s14, s14, 3
	s_cmp_eq_u32 s12, 0
	s_cselect_b32 s12, s13, s12
	s_cselect_b32 s9, s14, s9
	s_lshl_b32 s12, s12, 23
	s_and_b32 s8, s8, 0x80000000
	s_add_i32 s12, s12, 0x37800000
	s_lshl_b32 s9, s9, 21
	s_or_b32 s8, s8, s12
	s_or_b32 s8, s8, s9
	v_cvt_f16_f32_e32 v0, s8
.LBB126_1352:
	global_store_dword v[4:5], v0, off
.LBB126_1353:
	s_mov_b64 s[8:9], 0
.LBB126_1354:
	s_andn2_b64 vcc, exec, s[8:9]
	s_cbranch_vccnz .LBB126_1391
; %bb.1355:
	s_cmp_lt_i32 s18, 6
	s_mov_b64 s[8:9], -1
	s_cbranch_scc1 .LBB126_1380
; %bb.1356:
	s_cmp_gt_i32 s18, 6
	s_cbranch_scc0 .LBB126_1368
; %bb.1357:
	s_and_b32 s14, s3, 0xff
	s_cmpk_lt_i32 s14, 0x80
	s_cbranch_scc1 .LBB126_1361
; %bb.1358:
	s_and_b32 s8, 0xffff, s14
	s_cmpk_eq_i32 s8, 0x80
	s_mov_b64 s[8:9], -1
	s_cbranch_scc0 .LBB126_1360
; %bb.1359:
	s_mov_b64 s[8:9], 0
.LBB126_1360:
	s_mov_b64 s[12:13], 0
	s_branch .LBB126_1362
.LBB126_1361:
	s_mov_b64 s[12:13], -1
	s_mov_b64 s[8:9], 0
.LBB126_1362:
	s_and_b64 vcc, exec, s[12:13]
	s_cbranch_vccz .LBB126_1364
; %bb.1363:
	s_and_b32 s8, 0xffff, s14
	s_cmp_lg_u32 s8, 0
	s_mov_b64 s[12:13], 0
	s_cselect_b64 s[8:9], -1, 0
	s_branch .LBB126_1365
.LBB126_1364:
	s_mov_b32 s13, 0x7ff80000
	s_brev_b32 s12, 4
.LBB126_1365:
	v_mov_b32_e32 v0, s12
	s_andn2_b64 vcc, exec, s[8:9]
	v_mov_b32_e32 v1, s13
	s_cbranch_vccnz .LBB126_1367
; %bb.1366:
	s_and_b32 s9, s3, 3
	s_flbit_i32_b32 s13, s9
	s_min_u32 s13, s13, 32
	s_sub_i32 s14, s13, 29
	s_lshl_b32 s14, s3, s14
	s_lshl_b32 s8, s3, 24
	s_bfe_u32 s12, s3, 0x50002
	s_sub_i32 s13, 30, s13
	s_and_b32 s14, s14, 3
	s_cmp_eq_u32 s12, 0
	s_cselect_b32 s12, s13, s12
	s_cselect_b32 s9, s14, s9
	s_lshl_b32 s12, s12, 23
	s_and_b32 s8, s8, 0x80000000
	s_add_i32 s12, s12, 0x37800000
	s_lshl_b32 s9, s9, 21
	s_or_b32 s8, s8, s12
	s_or_b32 s8, s8, s9
	v_cvt_f64_f32_e32 v[0:1], s8
.LBB126_1367:
	global_store_dwordx2 v[4:5], v[0:1], off
	s_mov_b64 s[8:9], 0
.LBB126_1368:
	s_and_b64 vcc, exec, s[8:9]
	s_cbranch_vccz .LBB126_1379
; %bb.1369:
	s_and_b32 s14, s3, 0xff
	s_cmpk_lt_i32 s14, 0x80
	s_cbranch_scc1 .LBB126_1373
; %bb.1370:
	s_and_b32 s8, 0xffff, s14
	s_cmpk_eq_i32 s8, 0x80
	s_mov_b64 s[8:9], -1
	s_cbranch_scc0 .LBB126_1372
; %bb.1371:
	s_mov_b64 s[8:9], 0
.LBB126_1372:
	s_mov_b64 s[12:13], 0
	s_branch .LBB126_1374
.LBB126_1373:
	s_mov_b64 s[12:13], -1
	s_mov_b64 s[8:9], 0
.LBB126_1374:
	s_mov_b32 s15, 0x7f800001
	s_and_b64 vcc, exec, s[12:13]
	s_cbranch_vccz .LBB126_1376
; %bb.1375:
	s_and_b32 s15, 0xffff, s14
	s_cmp_lg_u32 s15, 0
	s_cselect_b64 s[8:9], -1, 0
.LBB126_1376:
	s_andn2_b64 vcc, exec, s[8:9]
	s_cbranch_vccnz .LBB126_1378
; %bb.1377:
	s_and_b32 s9, s3, 3
	s_flbit_i32_b32 s13, s9
	s_min_u32 s13, s13, 32
	s_sub_i32 s14, s13, 29
	s_lshl_b32 s14, s3, s14
	s_lshl_b32 s8, s3, 24
	s_bfe_u32 s12, s3, 0x50002
	s_sub_i32 s13, 30, s13
	s_and_b32 s14, s14, 3
	s_cmp_eq_u32 s12, 0
	s_cselect_b32 s12, s13, s12
	s_cselect_b32 s9, s14, s9
	s_lshl_b32 s12, s12, 23
	s_and_b32 s8, s8, 0x80000000
	s_add_i32 s12, s12, 0x37800000
	s_lshl_b32 s9, s9, 21
	s_or_b32 s8, s8, s12
	s_or_b32 s15, s8, s9
.LBB126_1378:
	v_mov_b32_e32 v0, s15
	global_store_dword v[4:5], v0, off
.LBB126_1379:
	s_mov_b64 s[8:9], 0
.LBB126_1380:
	s_andn2_b64 vcc, exec, s[8:9]
	s_cbranch_vccnz .LBB126_1391
; %bb.1381:
	s_and_b32 s14, s3, 0xff
	s_cmpk_lt_i32 s14, 0x80
	s_cbranch_scc1 .LBB126_1385
; %bb.1382:
	s_and_b32 s8, 0xffff, s14
	s_cmpk_eq_i32 s8, 0x80
	s_mov_b64 s[8:9], -1
	s_cbranch_scc0 .LBB126_1384
; %bb.1383:
	s_mov_b64 s[8:9], 0
.LBB126_1384:
	s_mov_b64 s[12:13], 0
	s_branch .LBB126_1386
.LBB126_1385:
	s_mov_b64 s[12:13], -1
	s_mov_b64 s[8:9], 0
.LBB126_1386:
	s_movk_i32 s15, 0x7e00
	s_and_b64 vcc, exec, s[12:13]
	s_cbranch_vccz .LBB126_1388
; %bb.1387:
	s_and_b32 s8, 0xffff, s14
	s_cmp_lg_u32 s8, 0
	s_cselect_b64 s[8:9], -1, 0
	s_mov_b32 s15, s14
.LBB126_1388:
	s_andn2_b64 vcc, exec, s[8:9]
	v_mov_b32_e32 v0, s15
	s_cbranch_vccnz .LBB126_1390
; %bb.1389:
	s_and_b32 s9, s3, 3
	s_flbit_i32_b32 s13, s9
	s_min_u32 s13, s13, 32
	s_sub_i32 s14, s13, 29
	s_lshl_b32 s14, s3, s14
	s_lshl_b32 s8, s3, 24
	s_bfe_u32 s12, s3, 0x50002
	s_sub_i32 s13, 30, s13
	s_and_b32 s14, s14, 3
	s_cmp_eq_u32 s12, 0
	s_cselect_b32 s12, s13, s12
	s_cselect_b32 s9, s14, s9
	s_lshl_b32 s12, s12, 23
	s_and_b32 s8, s8, 0x80000000
	s_add_i32 s12, s12, 0x37800000
	s_lshl_b32 s9, s9, 21
	s_or_b32 s8, s8, s12
	s_or_b32 s8, s8, s9
	v_cvt_f16_f32_e32 v0, s8
.LBB126_1390:
	global_store_short v[4:5], v0, off
.LBB126_1391:
	s_mov_b64 s[8:9], 0
.LBB126_1392:
	s_andn2_b64 vcc, exec, s[8:9]
	s_cbranch_vccnz .LBB126_1443
; %bb.1393:
	s_cmp_lt_i32 s18, 2
	s_mov_b64 s[8:9], -1
	s_cbranch_scc1 .LBB126_1424
; %bb.1394:
	s_cmp_lt_i32 s18, 3
	s_cbranch_scc1 .LBB126_1414
; %bb.1395:
	s_cmp_gt_i32 s18, 3
	s_cbranch_scc0 .LBB126_1404
; %bb.1396:
	s_and_b32 s14, s3, 0xff
	s_cmpk_lt_i32 s14, 0x80
	s_cbranch_scc1 .LBB126_1398
; %bb.1397:
	s_and_b32 s8, 0xffff, s14
	s_cmpk_lg_i32 s8, 0x80
	s_mov_b64 s[12:13], 0
	s_cselect_b64 s[8:9], -1, 0
	s_branch .LBB126_1399
.LBB126_1398:
	s_mov_b64 s[12:13], -1
	s_mov_b64 s[8:9], 0
.LBB126_1399:
	s_andn2_b64 vcc, exec, s[12:13]
	s_cbranch_vccnz .LBB126_1401
; %bb.1400:
	s_and_b32 s8, 0xffff, s14
	s_cmp_lg_u32 s8, 0
	s_cselect_b64 s[8:9], -1, 0
.LBB126_1401:
	v_mov_b32_e32 v0, 0
	s_andn2_b64 vcc, exec, s[8:9]
	v_mov_b32_e32 v1, 0
	s_cbranch_vccnz .LBB126_1403
; %bb.1402:
	s_and_b32 s9, s3, 3
	s_flbit_i32_b32 s13, s9
	s_min_u32 s13, s13, 32
	s_sub_i32 s14, s13, 29
	s_lshl_b32 s14, s3, s14
	s_lshl_b32 s8, s3, 24
	s_bfe_u32 s12, s3, 0x50002
	s_sub_i32 s13, 30, s13
	s_and_b32 s14, s14, 3
	s_cmp_eq_u32 s12, 0
	s_cselect_b32 s12, s13, s12
	s_cselect_b32 s9, s14, s9
	s_lshl_b32 s12, s12, 23
	s_and_b32 s8, s8, 0x80000000
	s_add_i32 s12, s12, 0x37800000
	s_lshl_b32 s9, s9, 21
	s_or_b32 s8, s8, s12
	s_or_b32 s8, s8, s9
	v_trunc_f32_e32 v0, s8
	s_mov_b32 s8, 0x2f800000
	v_mul_f32_e64 v1, |v0|, s8
	v_floor_f32_e32 v1, v1
	s_mov_b32 s8, 0xcf800000
	v_fma_f32 v2, v1, s8, |v0|
	v_cvt_u32_f32_e32 v2, v2
	v_cvt_u32_f32_e32 v1, v1
	v_ashrrev_i32_e32 v3, 31, v0
	v_xor_b32_e32 v0, v2, v3
	v_xor_b32_e32 v1, v1, v3
	v_sub_co_u32_e32 v0, vcc, v0, v3
	v_subb_co_u32_e32 v1, vcc, v1, v3, vcc
.LBB126_1403:
	global_store_dwordx2 v[4:5], v[0:1], off
	s_mov_b64 s[8:9], 0
.LBB126_1404:
	s_and_b64 vcc, exec, s[8:9]
	s_cbranch_vccz .LBB126_1413
; %bb.1405:
	s_and_b32 s14, s3, 0xff
	s_cmpk_lt_i32 s14, 0x80
	s_cbranch_scc1 .LBB126_1407
; %bb.1406:
	s_and_b32 s8, 0xffff, s14
	s_cmpk_lg_i32 s8, 0x80
	s_mov_b64 s[12:13], 0
	s_cselect_b64 s[8:9], -1, 0
	s_branch .LBB126_1408
.LBB126_1407:
	s_mov_b64 s[12:13], -1
	s_mov_b64 s[8:9], 0
.LBB126_1408:
	s_andn2_b64 vcc, exec, s[12:13]
	s_cbranch_vccnz .LBB126_1410
; %bb.1409:
	s_and_b32 s8, 0xffff, s14
	s_cmp_lg_u32 s8, 0
	s_cselect_b64 s[8:9], -1, 0
.LBB126_1410:
	s_andn2_b64 vcc, exec, s[8:9]
	v_mov_b32_e32 v0, 0
	s_cbranch_vccnz .LBB126_1412
; %bb.1411:
	s_and_b32 s9, s3, 3
	s_flbit_i32_b32 s13, s9
	s_min_u32 s13, s13, 32
	s_sub_i32 s14, s13, 29
	s_lshl_b32 s14, s3, s14
	s_lshl_b32 s8, s3, 24
	s_bfe_u32 s12, s3, 0x50002
	s_sub_i32 s13, 30, s13
	s_and_b32 s14, s14, 3
	s_cmp_eq_u32 s12, 0
	s_cselect_b32 s12, s13, s12
	s_cselect_b32 s9, s14, s9
	s_lshl_b32 s12, s12, 23
	s_and_b32 s8, s8, 0x80000000
	s_add_i32 s12, s12, 0x37800000
	s_lshl_b32 s9, s9, 21
	s_or_b32 s8, s8, s12
	s_or_b32 s8, s8, s9
	v_cvt_i32_f32_e32 v0, s8
.LBB126_1412:
	global_store_dword v[4:5], v0, off
.LBB126_1413:
	s_mov_b64 s[8:9], 0
.LBB126_1414:
	s_andn2_b64 vcc, exec, s[8:9]
	s_cbranch_vccnz .LBB126_1423
; %bb.1415:
	s_and_b32 s14, s3, 0xff
	s_cmpk_lt_i32 s14, 0x80
	s_cbranch_scc1 .LBB126_1417
; %bb.1416:
	s_and_b32 s8, 0xffff, s14
	s_cmpk_lg_i32 s8, 0x80
	s_mov_b64 s[12:13], 0
	s_cselect_b64 s[8:9], -1, 0
	s_branch .LBB126_1418
.LBB126_1417:
	s_mov_b64 s[12:13], -1
	s_mov_b64 s[8:9], 0
.LBB126_1418:
	s_andn2_b64 vcc, exec, s[12:13]
	s_cbranch_vccnz .LBB126_1420
; %bb.1419:
	s_and_b32 s8, 0xffff, s14
	s_cmp_lg_u32 s8, 0
	s_cselect_b64 s[8:9], -1, 0
.LBB126_1420:
	s_andn2_b64 vcc, exec, s[8:9]
	v_mov_b32_e32 v0, 0
	s_cbranch_vccnz .LBB126_1422
; %bb.1421:
	s_and_b32 s9, s3, 3
	s_flbit_i32_b32 s13, s9
	s_min_u32 s13, s13, 32
	s_sub_i32 s14, s13, 29
	s_lshl_b32 s14, s3, s14
	s_lshl_b32 s8, s3, 24
	s_bfe_u32 s12, s3, 0x50002
	s_sub_i32 s13, 30, s13
	s_and_b32 s14, s14, 3
	s_cmp_eq_u32 s12, 0
	s_cselect_b32 s12, s13, s12
	s_cselect_b32 s9, s14, s9
	s_lshl_b32 s12, s12, 23
	s_and_b32 s8, s8, 0x80000000
	s_add_i32 s12, s12, 0x37800000
	s_lshl_b32 s9, s9, 21
	s_or_b32 s8, s8, s12
	s_or_b32 s8, s8, s9
	v_cvt_i32_f32_e32 v0, s8
.LBB126_1422:
	global_store_short v[4:5], v0, off
.LBB126_1423:
	s_mov_b64 s[8:9], 0
.LBB126_1424:
	s_andn2_b64 vcc, exec, s[8:9]
	s_cbranch_vccnz .LBB126_1443
; %bb.1425:
	s_cmp_gt_i32 s18, 0
	s_mov_b64 s[8:9], -1
	s_cbranch_scc0 .LBB126_1434
; %bb.1426:
	s_and_b32 s14, s3, 0xff
	s_cmpk_lt_i32 s14, 0x80
	s_cbranch_scc1 .LBB126_1428
; %bb.1427:
	s_and_b32 s8, 0xffff, s14
	s_cmpk_lg_i32 s8, 0x80
	s_mov_b64 s[12:13], 0
	s_cselect_b64 s[8:9], -1, 0
	s_branch .LBB126_1429
.LBB126_1428:
	s_mov_b64 s[12:13], -1
	s_mov_b64 s[8:9], 0
.LBB126_1429:
	s_andn2_b64 vcc, exec, s[12:13]
	s_cbranch_vccnz .LBB126_1431
; %bb.1430:
	s_and_b32 s8, 0xffff, s14
	s_cmp_lg_u32 s8, 0
	s_cselect_b64 s[8:9], -1, 0
.LBB126_1431:
	s_andn2_b64 vcc, exec, s[8:9]
	v_mov_b32_e32 v0, 0
	s_cbranch_vccnz .LBB126_1433
; %bb.1432:
	s_and_b32 s9, s3, 3
	s_flbit_i32_b32 s13, s9
	s_min_u32 s13, s13, 32
	s_sub_i32 s14, s13, 29
	s_lshl_b32 s14, s3, s14
	s_lshl_b32 s8, s3, 24
	s_bfe_u32 s12, s3, 0x50002
	s_sub_i32 s13, 30, s13
	s_and_b32 s14, s14, 3
	s_cmp_eq_u32 s12, 0
	s_cselect_b32 s12, s13, s12
	s_cselect_b32 s9, s14, s9
	s_lshl_b32 s12, s12, 23
	s_and_b32 s8, s8, 0x80000000
	s_add_i32 s12, s12, 0x37800000
	s_lshl_b32 s9, s9, 21
	s_or_b32 s8, s8, s12
	s_or_b32 s8, s8, s9
	v_cvt_i32_f32_e32 v0, s8
.LBB126_1433:
	global_store_byte v[4:5], v0, off
	s_mov_b64 s[8:9], 0
.LBB126_1434:
	s_and_b64 vcc, exec, s[8:9]
	s_cbranch_vccz .LBB126_1443
; %bb.1435:
	s_and_b32 s14, s3, 0xff
	s_cmpk_lt_i32 s14, 0x80
	s_cbranch_scc1 .LBB126_1437
; %bb.1436:
	s_and_b32 s8, 0xffff, s14
	s_cmpk_lg_i32 s8, 0x80
	s_mov_b64 s[12:13], 0
	s_cselect_b64 s[8:9], -1, 0
	s_branch .LBB126_1438
.LBB126_1437:
	s_mov_b64 s[12:13], -1
	s_mov_b64 s[8:9], 0
.LBB126_1438:
	s_andn2_b64 vcc, exec, s[12:13]
	s_cbranch_vccnz .LBB126_1440
; %bb.1439:
	s_and_b32 s8, 0xffff, s14
	s_cmp_lg_u32 s8, 0
	s_cselect_b64 s[8:9], -1, 0
.LBB126_1440:
	s_andn2_b64 vcc, exec, s[8:9]
	v_mov_b32_e32 v0, 0
	s_cbranch_vccnz .LBB126_1442
; %bb.1441:
	s_and_b32 s9, s3, 3
	s_flbit_i32_b32 s13, s9
	s_min_u32 s13, s13, 32
	s_sub_i32 s14, s13, 29
	s_lshl_b32 s14, s3, s14
	s_lshl_b32 s8, s3, 24
	s_bfe_u32 s12, s3, 0x50002
	s_sub_i32 s13, 30, s13
	s_and_b32 s14, s14, 3
	s_cmp_eq_u32 s12, 0
	s_cselect_b32 s12, s13, s12
	s_cselect_b32 s9, s14, s9
	s_lshl_b32 s12, s12, 23
	s_and_b32 s8, s8, 0x80000000
	s_add_i32 s12, s12, 0x37800000
	s_lshl_b32 s9, s9, 21
	s_or_b32 s8, s8, s12
	s_or_b32 s8, s8, s9
	v_trunc_f32_e32 v0, s8
	s_mov_b32 s8, 0x2f800000
	v_mul_f32_e64 v1, |v0|, s8
	v_floor_f32_e32 v1, v1
	s_mov_b32 s8, 0xcf800000
	v_fma_f32 v1, v1, s8, |v0|
	v_cvt_u32_f32_e32 v1, v1
	v_ashrrev_i32_e32 v0, 31, v0
	v_xor_b32_e32 v1, v1, v0
	v_sub_u32_e32 v0, v1, v0
.LBB126_1442:
	global_store_byte v[4:5], v0, off
.LBB126_1443:
.LBB126_1444:
	s_lshl_b32 s2, s2, 7
	v_add_u32_e32 v6, s2, v6
	v_ashrrev_i32_e32 v0, 31, v6
	v_mov_b32_e32 v1, s1
	v_add_co_u32_e32 v4, vcc, s0, v6
	s_cmp_lt_i32 s18, 11
	v_addc_co_u32_e32 v5, vcc, v1, v0, vcc
	s_cbranch_scc1 .LBB126_1453
; %bb.1445:
	s_mov_b64 s[16:17], -1
	s_mov_b64 s[12:13], 0
	s_cmp_gt_i32 s18, 25
	s_mov_b64 s[14:15], 0
	s_mov_b64 s[8:9], 0
	s_cbranch_scc0 .LBB126_1529
; %bb.1446:
	s_cmp_gt_i32 s18, 28
	s_cbranch_scc0 .LBB126_1487
; %bb.1447:
	s_cmp_gt_i32 s18, 43
	;; [unrolled: 3-line block ×3, first 2 shown]
	s_cbranch_scc0 .LBB126_1461
; %bb.1449:
	s_mov_b64 s[8:9], -1
	s_mov_b64 s[16:17], 0
	s_cmp_eq_u32 s18, 46
	s_cbranch_scc0 .LBB126_1461
; %bb.1450:
	s_and_b32 s19, s3, 0xff
	s_cmpk_lt_i32 s19, 0x80
	s_cbranch_scc1 .LBB126_1457
; %bb.1451:
	s_and_b32 s8, 0xffff, s19
	s_cmpk_eq_i32 s8, 0x80
	s_mov_b64 s[8:9], -1
	s_cbranch_scc0 .LBB126_1455
; %bb.1452:
	s_mov_b64 s[8:9], 0
	s_mov_b32 s20, 0x7f800001
	s_and_b64 vcc, exec, s[14:15]
	s_cbranch_vccz .LBB126_1458
	s_branch .LBB126_1456
.LBB126_1453:
	s_mov_b64 s[14:15], 0
	s_cbranch_execnz .LBB126_1597
.LBB126_1454:
	s_andn2_b64 vcc, exec, s[14:15]
	s_cbranch_vccz .LBB126_1727
	s_branch .LBB126_2021
.LBB126_1455:
	s_mov_b32 s20, 0x7f800001
	s_and_b64 vcc, exec, s[14:15]
	s_cbranch_vccz .LBB126_1458
.LBB126_1456:
	s_and_b32 s8, 0xffff, s19
	s_cmp_lg_u32 s8, 0
	s_mov_b32 s20, 0
	s_cselect_b64 s[8:9], -1, 0
	s_andn2_b64 vcc, exec, s[8:9]
	s_cbranch_vccz .LBB126_1459
	s_branch .LBB126_1460
.LBB126_1457:
	s_mov_b64 s[8:9], 0
	s_mov_b32 s20, 0x7f800001
	s_cbranch_execnz .LBB126_1456
.LBB126_1458:
	s_andn2_b64 vcc, exec, s[8:9]
	s_cbranch_vccnz .LBB126_1460
.LBB126_1459:
	s_and_b32 s9, s3, 3
	s_flbit_i32_b32 s15, s9
	s_min_u32 s15, s15, 32
	s_sub_i32 s19, s15, 29
	s_lshl_b32 s19, s3, s19
	s_lshl_b32 s8, s3, 24
	s_bfe_u32 s14, s3, 0x50002
	s_sub_i32 s15, 30, s15
	s_and_b32 s19, s19, 3
	s_cmp_eq_u32 s14, 0
	s_cselect_b32 s14, s15, s14
	s_cselect_b32 s9, s19, s9
	s_lshl_b32 s14, s14, 23
	s_and_b32 s8, s8, 0x80000000
	s_add_i32 s14, s14, 0x37800000
	s_lshl_b32 s9, s9, 21
	s_or_b32 s8, s8, s14
	s_or_b32 s20, s8, s9
.LBB126_1460:
	s_bfe_u32 s8, s20, 0x10010
	s_add_i32 s8, s20, s8
	s_addk_i32 s8, 0x7fff
	s_lshr_b32 s14, s8, 16
	v_cmp_o_f32_e64 s[8:9], s20, s20
	s_and_b64 s[8:9], s[8:9], exec
	s_cselect_b32 s8, s14, 0x7fc0
	v_mov_b32_e32 v0, s8
	s_mov_b64 s[8:9], 0
	s_mov_b64 s[14:15], -1
	global_store_dword v[4:5], v0, off
.LBB126_1461:
	s_and_b64 vcc, exec, s[16:17]
	s_cbranch_vccz .LBB126_1473
; %bb.1462:
	s_cmp_eq_u32 s18, 44
	s_mov_b64 s[8:9], -1
	s_cbranch_scc0 .LBB126_1473
; %bb.1463:
	s_and_b32 s16, s3, 0xff
	s_cmpk_lt_i32 s16, 0x80
	s_cbranch_scc1 .LBB126_1467
; %bb.1464:
	s_and_b32 s8, 0xffff, s16
	s_cmpk_eq_i32 s8, 0x80
	s_mov_b64 s[8:9], -1
	s_cbranch_scc0 .LBB126_1466
; %bb.1465:
	s_mov_b64 s[8:9], 0
.LBB126_1466:
	s_mov_b64 s[14:15], 0
	s_branch .LBB126_1468
.LBB126_1467:
	s_mov_b64 s[14:15], -1
	s_mov_b64 s[8:9], 0
.LBB126_1468:
	s_mov_b32 s17, 0x7f800001
	s_and_b64 vcc, exec, s[14:15]
	s_cbranch_vccz .LBB126_1478
; %bb.1469:
	s_and_b32 s17, 0xffff, s16
	s_cmp_lg_u32 s17, 0
	s_cselect_b64 s[8:9], -1, 0
	s_andn2_b64 vcc, exec, s[8:9]
	s_cbranch_vccz .LBB126_1479
.LBB126_1470:
	s_lshr_b32 s8, s17, 23
	s_cmpk_eq_i32 s8, 0xff
	v_mov_b32_e32 v0, 0xff
	s_cbranch_scc1 .LBB126_1472
.LBB126_1471:
	s_bitcmp1_b32 s17, 22
	s_cselect_b64 s[14:15], -1, 0
	s_and_b32 s9, s17, 0x3fffff
	s_or_b32 s9, s8, s9
	s_cmp_lg_u32 s9, 0
	s_cselect_b64 s[16:17], -1, 0
	s_and_b64 s[14:15], s[14:15], s[16:17]
	v_cndmask_b32_e64 v0, 0, 1, s[14:15]
	v_add_u32_e32 v0, s8, v0
.LBB126_1472:
	s_mov_b64 s[8:9], 0
	s_mov_b64 s[14:15], -1
	global_store_byte v[4:5], v0, off
.LBB126_1473:
	s_mov_b64 s[16:17], 0
.LBB126_1474:
	s_and_b64 vcc, exec, s[16:17]
	s_cbranch_vccz .LBB126_1486
; %bb.1475:
	s_cmp_eq_u32 s18, 29
	s_mov_b64 s[8:9], -1
	s_cbranch_scc0 .LBB126_1486
; %bb.1476:
	s_and_b32 s16, s3, 0xff
	s_cmpk_lt_i32 s16, 0x80
	s_cbranch_scc1 .LBB126_1480
; %bb.1477:
	s_and_b32 s8, 0xffff, s16
	s_cmpk_lg_i32 s8, 0x80
	s_mov_b64 s[14:15], 0
	s_cselect_b64 s[8:9], -1, 0
	s_branch .LBB126_1481
.LBB126_1478:
	s_andn2_b64 vcc, exec, s[8:9]
	s_cbranch_vccnz .LBB126_1470
.LBB126_1479:
	s_and_b32 s8, s3, 3
	s_flbit_i32_b32 s14, s8
	s_min_u32 s14, s14, 32
	s_sub_i32 s15, s14, 29
	s_lshl_b32 s15, s3, s15
	s_bfe_u32 s9, s3, 0x50002
	s_sub_i32 s14, 30, s14
	s_and_b32 s15, s15, 3
	s_cmp_eq_u32 s9, 0
	s_cselect_b32 s9, s14, s9
	s_cselect_b32 s8, s15, s8
	s_lshl_b32 s8, s8, 21
	s_lshl_b32 s9, s9, 23
	s_or_b32 s8, s9, s8
	s_add_i32 s17, s8, 0x37800000
	s_lshr_b32 s8, s17, 23
	s_cmpk_eq_i32 s8, 0xff
	v_mov_b32_e32 v0, 0xff
	s_cbranch_scc0 .LBB126_1471
	s_branch .LBB126_1472
.LBB126_1480:
	s_mov_b64 s[14:15], -1
	s_mov_b64 s[8:9], 0
.LBB126_1481:
	s_andn2_b64 vcc, exec, s[14:15]
	s_cbranch_vccnz .LBB126_1483
; %bb.1482:
	s_and_b32 s8, 0xffff, s16
	s_cmp_lg_u32 s8, 0
	s_cselect_b64 s[8:9], -1, 0
.LBB126_1483:
	v_mov_b32_e32 v0, 0
	s_andn2_b64 vcc, exec, s[8:9]
	v_mov_b32_e32 v1, 0
	s_cbranch_vccnz .LBB126_1485
; %bb.1484:
	s_and_b32 s9, s3, 3
	s_flbit_i32_b32 s15, s9
	s_min_u32 s15, s15, 32
	s_sub_i32 s16, s15, 29
	s_lshl_b32 s16, s3, s16
	s_lshl_b32 s8, s3, 24
	s_bfe_u32 s14, s3, 0x50002
	s_sub_i32 s15, 30, s15
	s_and_b32 s16, s16, 3
	s_cmp_eq_u32 s14, 0
	s_cselect_b32 s14, s15, s14
	s_cselect_b32 s9, s16, s9
	s_lshl_b32 s14, s14, 23
	s_and_b32 s8, s8, 0x80000000
	s_add_i32 s14, s14, 0x37800000
	s_lshl_b32 s9, s9, 21
	s_or_b32 s8, s8, s14
	s_or_b32 s8, s8, s9
	v_trunc_f32_e32 v0, s8
	v_mul_f32_e32 v1, 0x2f800000, v0
	v_floor_f32_e32 v1, v1
	v_fmac_f32_e32 v0, 0xcf800000, v1
	v_cvt_u32_f32_e32 v0, v0
	v_cvt_u32_f32_e32 v1, v1
.LBB126_1485:
	global_store_dwordx2 v[4:5], v[0:1], off
	s_mov_b64 s[8:9], 0
	s_mov_b64 s[14:15], -1
.LBB126_1486:
	s_mov_b64 s[16:17], 0
.LBB126_1487:
	s_and_b64 vcc, exec, s[16:17]
	s_cbranch_vccz .LBB126_1528
; %bb.1488:
	s_cmp_lt_i32 s18, 27
	s_mov_b64 s[14:15], -1
	s_cbranch_scc1 .LBB126_1508
; %bb.1489:
	s_cmp_gt_i32 s18, 27
	s_cbranch_scc0 .LBB126_1498
; %bb.1490:
	s_and_b32 s19, s3, 0xff
	s_cmpk_lt_i32 s19, 0x80
	s_cbranch_scc1 .LBB126_1492
; %bb.1491:
	s_and_b32 s14, 0xffff, s19
	s_cmpk_lg_i32 s14, 0x80
	s_mov_b64 s[16:17], 0
	s_cselect_b64 s[14:15], -1, 0
	s_branch .LBB126_1493
.LBB126_1492:
	s_mov_b64 s[16:17], -1
	s_mov_b64 s[14:15], 0
.LBB126_1493:
	s_andn2_b64 vcc, exec, s[16:17]
	s_cbranch_vccnz .LBB126_1495
; %bb.1494:
	s_and_b32 s14, 0xffff, s19
	s_cmp_lg_u32 s14, 0
	s_cselect_b64 s[14:15], -1, 0
.LBB126_1495:
	s_andn2_b64 vcc, exec, s[14:15]
	v_mov_b32_e32 v0, 0
	s_cbranch_vccnz .LBB126_1497
; %bb.1496:
	s_and_b32 s15, s3, 3
	s_flbit_i32_b32 s17, s15
	s_min_u32 s17, s17, 32
	s_sub_i32 s19, s17, 29
	s_lshl_b32 s19, s3, s19
	s_lshl_b32 s14, s3, 24
	s_bfe_u32 s16, s3, 0x50002
	s_sub_i32 s17, 30, s17
	s_and_b32 s19, s19, 3
	s_cmp_eq_u32 s16, 0
	s_cselect_b32 s16, s17, s16
	s_cselect_b32 s15, s19, s15
	s_lshl_b32 s16, s16, 23
	s_and_b32 s14, s14, 0x80000000
	s_add_i32 s16, s16, 0x37800000
	s_lshl_b32 s15, s15, 21
	s_or_b32 s14, s14, s16
	s_or_b32 s14, s14, s15
	v_cvt_u32_f32_e32 v0, s14
.LBB126_1497:
	global_store_dword v[4:5], v0, off
	s_mov_b64 s[14:15], 0
.LBB126_1498:
	s_and_b64 vcc, exec, s[14:15]
	s_cbranch_vccz .LBB126_1507
; %bb.1499:
	s_and_b32 s19, s3, 0xff
	s_cmpk_lt_i32 s19, 0x80
	s_cbranch_scc1 .LBB126_1501
; %bb.1500:
	s_and_b32 s14, 0xffff, s19
	s_cmpk_lg_i32 s14, 0x80
	s_mov_b64 s[16:17], 0
	s_cselect_b64 s[14:15], -1, 0
	s_branch .LBB126_1502
.LBB126_1501:
	s_mov_b64 s[16:17], -1
	s_mov_b64 s[14:15], 0
.LBB126_1502:
	s_andn2_b64 vcc, exec, s[16:17]
	s_cbranch_vccnz .LBB126_1504
; %bb.1503:
	s_and_b32 s14, 0xffff, s19
	s_cmp_lg_u32 s14, 0
	s_cselect_b64 s[14:15], -1, 0
.LBB126_1504:
	s_andn2_b64 vcc, exec, s[14:15]
	v_mov_b32_e32 v0, 0
	s_cbranch_vccnz .LBB126_1506
; %bb.1505:
	s_and_b32 s15, s3, 3
	s_flbit_i32_b32 s17, s15
	s_min_u32 s17, s17, 32
	s_sub_i32 s19, s17, 29
	s_lshl_b32 s19, s3, s19
	s_lshl_b32 s14, s3, 24
	s_bfe_u32 s16, s3, 0x50002
	s_sub_i32 s17, 30, s17
	s_and_b32 s19, s19, 3
	s_cmp_eq_u32 s16, 0
	s_cselect_b32 s16, s17, s16
	s_cselect_b32 s15, s19, s15
	s_lshl_b32 s16, s16, 23
	s_and_b32 s14, s14, 0x80000000
	s_add_i32 s16, s16, 0x37800000
	s_lshl_b32 s15, s15, 21
	s_or_b32 s14, s14, s16
	s_or_b32 s14, s14, s15
	v_cvt_u32_f32_e32 v0, s14
.LBB126_1506:
	global_store_short v[4:5], v0, off
.LBB126_1507:
	s_mov_b64 s[14:15], 0
.LBB126_1508:
	s_andn2_b64 vcc, exec, s[14:15]
	s_cbranch_vccnz .LBB126_1527
; %bb.1509:
	s_and_b32 s20, s3, 0xff
	s_cmpk_lt_i32 s20, 0x80
	s_cbranch_scc1 .LBB126_1513
; %bb.1510:
	s_and_b32 s14, 0xffff, s20
	s_cmpk_eq_i32 s14, 0x80
	s_mov_b64 s[14:15], -1
	s_cbranch_scc0 .LBB126_1512
; %bb.1511:
	s_mov_b64 s[14:15], 0
.LBB126_1512:
	s_mov_b64 s[16:17], 0
	s_branch .LBB126_1514
.LBB126_1513:
	s_mov_b64 s[16:17], -1
	s_mov_b64 s[14:15], 0
.LBB126_1514:
	s_mov_b32 s19, 0x7f800001
	s_and_b64 vcc, exec, s[16:17]
	s_cbranch_vccz .LBB126_1517
; %bb.1515:
	s_and_b32 s14, 0xffff, s20
	s_cmp_lg_u32 s14, 0
	s_mov_b32 s19, 0
	s_cselect_b64 s[14:15], -1, 0
	s_andn2_b64 vcc, exec, s[14:15]
	s_cbranch_vccz .LBB126_1518
.LBB126_1516:
	s_and_b32 s14, s19, 0x7fffffff
	s_cmp_gt_u32 s14, 0x437fffff
	v_mov_b32_e32 v1, 0x80
	s_cbranch_scc0 .LBB126_1519
	s_branch .LBB126_1526
.LBB126_1517:
	s_andn2_b64 vcc, exec, s[14:15]
	s_cbranch_vccnz .LBB126_1516
.LBB126_1518:
	s_and_b32 s15, s3, 3
	s_flbit_i32_b32 s17, s15
	s_min_u32 s17, s17, 32
	s_sub_i32 s19, s17, 29
	s_lshl_b32 s19, s3, s19
	s_lshl_b32 s14, s3, 24
	s_bfe_u32 s16, s3, 0x50002
	s_sub_i32 s17, 30, s17
	s_and_b32 s19, s19, 3
	s_cmp_eq_u32 s16, 0
	s_cselect_b32 s16, s17, s16
	s_cselect_b32 s15, s19, s15
	s_lshl_b32 s16, s16, 23
	s_and_b32 s14, s14, 0x80000000
	s_add_i32 s16, s16, 0x37800000
	s_lshl_b32 s15, s15, 21
	s_or_b32 s14, s14, s16
	s_or_b32 s19, s14, s15
	s_and_b32 s14, s19, 0x7fffffff
	s_cmp_gt_u32 s14, 0x437fffff
	v_mov_b32_e32 v1, 0x80
	s_cbranch_scc1 .LBB126_1526
.LBB126_1519:
	s_cmp_gt_u32 s14, 0x3bffffff
	s_cbranch_scc0 .LBB126_1521
; %bb.1520:
	s_bfe_u32 s14, s19, 0x10014
	s_add_i32 s14, s19, s14
	s_add_i32 s14, s14, 0x487ffff
	s_lshr_b32 s20, s14, 20
	s_mov_b64 s[16:17], 0
	s_mov_b64 s[14:15], -1
	s_branch .LBB126_1522
.LBB126_1521:
	s_mov_b64 s[16:17], -1
	s_mov_b64 s[14:15], 0
                                        ; implicit-def: $sgpr20
.LBB126_1522:
	s_andn2_b64 vcc, exec, s[16:17]
	v_mov_b32_e32 v0, s20
	s_cbranch_vccnz .LBB126_1524
; %bb.1523:
	v_mov_b32_e32 v0, 0x46000000
	v_add_f32_e64 v0, |s19|, v0
	v_and_b32_e32 v0, 0xff, v0
	v_cmp_ne_u32_e64 s[14:15], 0, v0
.LBB126_1524:
	s_andn2_b64 vcc, exec, s[14:15]
	v_mov_b32_e32 v1, 0
	s_cbranch_vccnz .LBB126_1526
; %bb.1525:
	s_lshr_b32 s14, s19, 24
	s_and_b32 s14, s14, 0x80
	v_or_b32_e32 v1, s14, v0
.LBB126_1526:
	global_store_byte v[4:5], v1, off
.LBB126_1527:
	s_mov_b64 s[14:15], -1
.LBB126_1528:
	s_mov_b64 s[16:17], 0
.LBB126_1529:
	s_and_b64 vcc, exec, s[16:17]
	s_cbranch_vccz .LBB126_1593
; %bb.1530:
	s_cmp_gt_i32 s18, 22
	s_mov_b64 s[12:13], -1
	s_cbranch_scc0 .LBB126_1578
; %bb.1531:
	s_cmp_lt_i32 s18, 24
	s_cbranch_scc1 .LBB126_1556
; %bb.1532:
	s_cmp_gt_i32 s18, 24
	s_cbranch_scc0 .LBB126_1534
; %bb.1533:
	v_mov_b32_e32 v0, s3
	global_store_byte v[4:5], v0, off
	s_mov_b64 s[12:13], 0
.LBB126_1534:
	s_andn2_b64 vcc, exec, s[12:13]
	s_cbranch_vccnz .LBB126_1555
; %bb.1535:
	s_and_b32 s17, s3, 0xff
	s_cmpk_lt_i32 s17, 0x80
	s_cbranch_scc1 .LBB126_1539
; %bb.1536:
	s_and_b32 s12, 0xffff, s17
	s_cmpk_eq_i32 s12, 0x80
	s_mov_b64 s[12:13], -1
	s_cbranch_scc0 .LBB126_1538
; %bb.1537:
	s_mov_b64 s[12:13], 0
.LBB126_1538:
	s_mov_b64 s[14:15], 0
	s_branch .LBB126_1540
.LBB126_1539:
	s_mov_b64 s[14:15], -1
	s_mov_b64 s[12:13], 0
.LBB126_1540:
	s_mov_b32 s16, 0x7f800001
	s_and_b64 vcc, exec, s[14:15]
	s_cbranch_vccz .LBB126_1545
; %bb.1541:
	s_and_b32 s12, 0xffff, s17
	s_cmp_lg_u32 s12, 0
	s_mov_b32 s16, 0
	s_cselect_b64 s[12:13], -1, 0
	s_andn2_b64 vcc, exec, s[12:13]
	s_cbranch_vccz .LBB126_1546
.LBB126_1542:
	s_and_b32 s14, s16, 0x7fffffff
	s_cmp_lt_u32 s14, 0x43f00000
	s_cbranch_scc0 .LBB126_1547
.LBB126_1543:
	s_cmp_gt_u32 s14, 0x3c7fffff
	s_cbranch_scc0 .LBB126_1548
; %bb.1544:
	s_bfe_u32 s12, s16, 0x10014
	s_add_i32 s12, s16, s12
	s_add_i32 s12, s12, 0x407ffff
	s_lshr_b32 s13, s12, 20
	s_and_b32 s12, s12, 0xff00000
	s_cmp_lg_u32 s12, 0x7f00000
	s_cselect_b32 s15, s13, 0x7e
	s_mov_b64 s[12:13], 0
	s_branch .LBB126_1549
.LBB126_1545:
	s_andn2_b64 vcc, exec, s[12:13]
	s_cbranch_vccnz .LBB126_1542
.LBB126_1546:
	s_and_b32 s13, s3, 3
	s_flbit_i32_b32 s15, s13
	s_min_u32 s15, s15, 32
	s_sub_i32 s16, s15, 29
	s_lshl_b32 s16, s3, s16
	s_lshl_b32 s12, s3, 24
	s_bfe_u32 s14, s3, 0x50002
	s_sub_i32 s15, 30, s15
	s_and_b32 s16, s16, 3
	s_cmp_eq_u32 s14, 0
	s_cselect_b32 s14, s15, s14
	s_cselect_b32 s13, s16, s13
	s_lshl_b32 s14, s14, 23
	s_and_b32 s12, s12, 0x80000000
	s_add_i32 s14, s14, 0x37800000
	s_lshl_b32 s13, s13, 21
	s_or_b32 s12, s12, s14
	s_or_b32 s16, s12, s13
	s_and_b32 s14, s16, 0x7fffffff
	s_cmp_lt_u32 s14, 0x43f00000
	s_cbranch_scc1 .LBB126_1543
.LBB126_1547:
	s_mov_b64 s[12:13], -1
                                        ; implicit-def: $vgpr0
	s_branch .LBB126_1552
.LBB126_1548:
	s_mov_b64 s[12:13], -1
                                        ; implicit-def: $sgpr15
.LBB126_1549:
	s_andn2_b64 vcc, exec, s[12:13]
	v_mov_b32_e32 v0, s15
	s_cbranch_vccnz .LBB126_1551
; %bb.1550:
	v_mov_b32_e32 v0, 0x46800000
	v_add_f32_e64 v0, |s16|, v0
.LBB126_1551:
	s_mov_b64 s[12:13], 0
.LBB126_1552:
	s_andn2_b64 vcc, exec, s[12:13]
	s_cbranch_vccnz .LBB126_1554
; %bb.1553:
	s_cmp_gt_u32 s14, 0x7f800000
	s_movk_i32 s12, 0x7f
	s_cselect_b32 s12, s12, 0x7e
	v_mov_b32_e32 v0, s12
.LBB126_1554:
	s_lshr_b32 s12, s16, 24
	s_and_b32 s12, s12, 0x80
	v_or_b32_e32 v0, s12, v0
	global_store_byte v[4:5], v0, off
.LBB126_1555:
	s_mov_b64 s[12:13], 0
.LBB126_1556:
	s_andn2_b64 vcc, exec, s[12:13]
	s_cbranch_vccnz .LBB126_1577
; %bb.1557:
	s_and_b32 s17, s3, 0xff
	s_cmpk_lt_i32 s17, 0x80
	s_cbranch_scc1 .LBB126_1561
; %bb.1558:
	s_and_b32 s12, 0xffff, s17
	s_cmpk_eq_i32 s12, 0x80
	s_mov_b64 s[12:13], -1
	s_cbranch_scc0 .LBB126_1560
; %bb.1559:
	s_mov_b64 s[12:13], 0
.LBB126_1560:
	s_mov_b64 s[14:15], 0
	s_branch .LBB126_1562
.LBB126_1561:
	s_mov_b64 s[14:15], -1
	s_mov_b64 s[12:13], 0
.LBB126_1562:
	s_mov_b32 s16, 0x7f800001
	s_and_b64 vcc, exec, s[14:15]
	s_cbranch_vccz .LBB126_1567
; %bb.1563:
	s_and_b32 s12, 0xffff, s17
	s_cmp_lg_u32 s12, 0
	s_mov_b32 s16, 0
	s_cselect_b64 s[12:13], -1, 0
	s_andn2_b64 vcc, exec, s[12:13]
	s_cbranch_vccz .LBB126_1568
.LBB126_1564:
	s_and_b32 s14, s16, 0x7fffffff
	s_cmp_lt_u32 s14, 0x47800000
	s_cbranch_scc0 .LBB126_1569
.LBB126_1565:
	s_cmp_gt_u32 s14, 0x387fffff
	s_cbranch_scc0 .LBB126_1570
; %bb.1566:
	s_bfe_u32 s12, s16, 0x10015
	s_add_i32 s12, s16, s12
	s_add_i32 s12, s12, 0x80fffff
	s_lshr_b32 s15, s12, 21
	s_mov_b64 s[12:13], 0
	s_branch .LBB126_1571
.LBB126_1567:
	s_andn2_b64 vcc, exec, s[12:13]
	s_cbranch_vccnz .LBB126_1564
.LBB126_1568:
	s_and_b32 s13, s3, 3
	s_flbit_i32_b32 s15, s13
	s_min_u32 s15, s15, 32
	s_sub_i32 s16, s15, 29
	s_lshl_b32 s16, s3, s16
	s_lshl_b32 s12, s3, 24
	s_bfe_u32 s14, s3, 0x50002
	s_sub_i32 s15, 30, s15
	s_and_b32 s16, s16, 3
	s_cmp_eq_u32 s14, 0
	s_cselect_b32 s14, s15, s14
	s_cselect_b32 s13, s16, s13
	s_lshl_b32 s14, s14, 23
	s_and_b32 s12, s12, 0x80000000
	s_add_i32 s14, s14, 0x37800000
	s_lshl_b32 s13, s13, 21
	s_or_b32 s12, s12, s14
	s_or_b32 s16, s12, s13
	s_and_b32 s14, s16, 0x7fffffff
	s_cmp_lt_u32 s14, 0x47800000
	s_cbranch_scc1 .LBB126_1565
.LBB126_1569:
	s_mov_b64 s[12:13], -1
                                        ; implicit-def: $vgpr0
	s_branch .LBB126_1574
.LBB126_1570:
	s_mov_b64 s[12:13], -1
                                        ; implicit-def: $sgpr15
.LBB126_1571:
	s_andn2_b64 vcc, exec, s[12:13]
	v_mov_b32_e32 v0, s15
	s_cbranch_vccnz .LBB126_1573
; %bb.1572:
	v_mov_b32_e32 v0, 0x43000000
	v_add_f32_e64 v0, |s16|, v0
.LBB126_1573:
	s_mov_b64 s[12:13], 0
.LBB126_1574:
	s_andn2_b64 vcc, exec, s[12:13]
	s_cbranch_vccnz .LBB126_1576
; %bb.1575:
	s_cmp_gt_u32 s14, 0x7f800000
	s_movk_i32 s12, 0x7f
	s_cselect_b32 s12, s12, 0x7c
	v_mov_b32_e32 v0, s12
.LBB126_1576:
	s_lshr_b32 s12, s16, 24
	s_and_b32 s12, s12, 0x80
	v_or_b32_e32 v0, s12, v0
	global_store_byte v[4:5], v0, off
.LBB126_1577:
	s_mov_b64 s[12:13], 0
	s_mov_b64 s[14:15], -1
.LBB126_1578:
	s_andn2_b64 vcc, exec, s[12:13]
	s_mov_b64 s[12:13], 0
	s_cbranch_vccnz .LBB126_1593
; %bb.1579:
	s_cmp_gt_i32 s18, 14
	s_mov_b64 s[16:17], -1
	s_cbranch_scc0 .LBB126_1591
; %bb.1580:
	s_cmp_eq_u32 s18, 15
	s_mov_b64 s[8:9], -1
	s_cbranch_scc0 .LBB126_1590
; %bb.1581:
	s_and_b32 s14, s3, 0xff
	s_cmpk_lt_i32 s14, 0x80
	s_cbranch_scc1 .LBB126_1586
; %bb.1582:
	s_and_b32 s8, 0xffff, s14
	s_cmpk_eq_i32 s8, 0x80
	s_mov_b64 s[8:9], -1
	s_cbranch_scc0 .LBB126_1584
; %bb.1583:
	s_mov_b64 s[8:9], 0
	s_mov_b32 s15, 0x7f800001
	s_and_b64 vcc, exec, s[12:13]
	s_cbranch_vccz .LBB126_1587
	s_branch .LBB126_1585
.LBB126_1584:
	s_mov_b32 s15, 0x7f800001
	s_and_b64 vcc, exec, s[12:13]
	s_cbranch_vccz .LBB126_1587
.LBB126_1585:
	s_and_b32 s8, 0xffff, s14
	s_cmp_lg_u32 s8, 0
	s_mov_b32 s15, 0
	s_cselect_b64 s[8:9], -1, 0
	s_andn2_b64 vcc, exec, s[8:9]
	s_cbranch_vccz .LBB126_1588
	s_branch .LBB126_1589
.LBB126_1586:
	s_mov_b64 s[8:9], 0
	s_mov_b32 s15, 0x7f800001
	s_cbranch_execnz .LBB126_1585
.LBB126_1587:
	s_andn2_b64 vcc, exec, s[8:9]
	s_cbranch_vccnz .LBB126_1589
.LBB126_1588:
	s_and_b32 s9, s3, 3
	s_flbit_i32_b32 s13, s9
	s_min_u32 s13, s13, 32
	s_sub_i32 s14, s13, 29
	s_lshl_b32 s14, s3, s14
	s_lshl_b32 s8, s3, 24
	s_bfe_u32 s12, s3, 0x50002
	s_sub_i32 s13, 30, s13
	s_and_b32 s14, s14, 3
	s_cmp_eq_u32 s12, 0
	s_cselect_b32 s12, s13, s12
	s_cselect_b32 s9, s14, s9
	s_lshl_b32 s12, s12, 23
	s_and_b32 s8, s8, 0x80000000
	s_add_i32 s12, s12, 0x37800000
	s_lshl_b32 s9, s9, 21
	s_or_b32 s8, s8, s12
	s_or_b32 s15, s8, s9
.LBB126_1589:
	s_bfe_u32 s8, s15, 0x10010
	s_add_i32 s8, s15, s8
	s_addk_i32 s8, 0x7fff
	s_lshr_b32 s12, s8, 16
	v_cmp_o_f32_e64 s[8:9], s15, s15
	s_and_b64 s[8:9], s[8:9], exec
	s_cselect_b32 s8, s12, 0x7fc0
	v_mov_b32_e32 v0, s8
	global_store_short v[4:5], v0, off
	s_mov_b64 s[8:9], 0
	s_mov_b64 s[14:15], -1
.LBB126_1590:
	s_mov_b64 s[16:17], 0
.LBB126_1591:
	s_mov_b64 s[12:13], 0
	s_and_b64 vcc, exec, s[16:17]
	s_cbranch_vccz .LBB126_1593
; %bb.1592:
	s_cmp_lg_u32 s18, 11
	s_mov_b64 s[12:13], -1
	s_cselect_b64 s[8:9], -1, 0
.LBB126_1593:
	s_and_b64 vcc, exec, s[8:9]
	s_cbranch_vccnz .LBB126_1605
; %bb.1594:
	s_andn2_b64 vcc, exec, s[12:13]
	s_cbranch_vccnz .LBB126_1596
.LBB126_1595:
	s_and_b32 s8, s3, 0xff
	s_cmp_lg_u32 s8, 0
	s_cselect_b64 s[8:9], -1, 0
	v_cndmask_b32_e64 v0, 0, 1, s[8:9]
	s_mov_b64 s[14:15], -1
	global_store_byte v[4:5], v0, off
.LBB126_1596:
	s_branch .LBB126_1454
.LBB126_1597:
	s_cmp_lt_i32 s18, 5
	s_mov_b64 s[8:9], -1
	s_cbranch_scc1 .LBB126_1675
; %bb.1598:
	s_cmp_lt_i32 s18, 8
	s_cbranch_scc1 .LBB126_1637
; %bb.1599:
	s_cmp_lt_i32 s18, 9
	s_cbranch_scc1 .LBB126_1625
; %bb.1600:
	s_cmp_gt_i32 s18, 9
	s_cbranch_scc0 .LBB126_1613
; %bb.1601:
	s_and_b32 s14, s3, 0xff
	s_cmpk_lt_i32 s14, 0x80
	s_cbranch_scc1 .LBB126_1606
; %bb.1602:
	s_and_b32 s8, 0xffff, s14
	s_cmpk_eq_i32 s8, 0x80
	s_mov_b64 s[8:9], -1
	s_cbranch_scc0 .LBB126_1604
; %bb.1603:
	s_mov_b64 s[8:9], 0
.LBB126_1604:
	s_mov_b64 s[12:13], 0
	s_branch .LBB126_1607
.LBB126_1605:
	s_trap 2
	s_or_b64 s[10:11], s[10:11], exec
	s_cbranch_execz .LBB126_1595
	s_branch .LBB126_1596
.LBB126_1606:
	s_mov_b64 s[12:13], -1
	s_mov_b64 s[8:9], 0
.LBB126_1607:
	s_and_b64 vcc, exec, s[12:13]
	s_cbranch_vccz .LBB126_1609
; %bb.1608:
	s_and_b32 s8, 0xffff, s14
	s_cmp_lg_u32 s8, 0
	s_mov_b64 s[12:13], 0
	s_cselect_b64 s[8:9], -1, 0
	s_branch .LBB126_1610
.LBB126_1609:
	s_mov_b32 s13, 0x7ff80000
	s_brev_b32 s12, 4
.LBB126_1610:
	v_mov_b32_e32 v0, s12
	s_andn2_b64 vcc, exec, s[8:9]
	v_mov_b32_e32 v1, s13
	s_cbranch_vccnz .LBB126_1612
; %bb.1611:
	s_and_b32 s9, s3, 3
	s_flbit_i32_b32 s13, s9
	s_min_u32 s13, s13, 32
	s_sub_i32 s14, s13, 29
	s_lshl_b32 s14, s3, s14
	s_lshl_b32 s8, s3, 24
	s_bfe_u32 s12, s3, 0x50002
	s_sub_i32 s13, 30, s13
	s_and_b32 s14, s14, 3
	s_cmp_eq_u32 s12, 0
	s_cselect_b32 s12, s13, s12
	s_cselect_b32 s9, s14, s9
	s_lshl_b32 s12, s12, 23
	s_and_b32 s8, s8, 0x80000000
	s_add_i32 s12, s12, 0x37800000
	s_lshl_b32 s9, s9, 21
	s_or_b32 s8, s8, s12
	s_or_b32 s8, s8, s9
	v_cvt_f64_f32_e32 v[0:1], s8
.LBB126_1612:
	v_mov_b32_e32 v2, 0
	v_mov_b32_e32 v3, v2
	global_store_dwordx4 v[4:5], v[0:3], off
	s_mov_b64 s[8:9], 0
.LBB126_1613:
	s_and_b64 vcc, exec, s[8:9]
	s_cbranch_vccz .LBB126_1624
; %bb.1614:
	s_and_b32 s14, s3, 0xff
	s_cmpk_lt_i32 s14, 0x80
	s_cbranch_scc1 .LBB126_1618
; %bb.1615:
	s_and_b32 s8, 0xffff, s14
	s_cmpk_eq_i32 s8, 0x80
	s_mov_b64 s[8:9], -1
	s_cbranch_scc0 .LBB126_1617
; %bb.1616:
	s_mov_b64 s[8:9], 0
.LBB126_1617:
	s_mov_b64 s[12:13], 0
	s_branch .LBB126_1619
.LBB126_1618:
	s_mov_b64 s[12:13], -1
	s_mov_b64 s[8:9], 0
.LBB126_1619:
	s_mov_b32 s15, 0x7f800001
	s_and_b64 vcc, exec, s[12:13]
	s_cbranch_vccz .LBB126_1621
; %bb.1620:
	s_and_b32 s15, 0xffff, s14
	s_cmp_lg_u32 s15, 0
	s_cselect_b64 s[8:9], -1, 0
.LBB126_1621:
	s_andn2_b64 vcc, exec, s[8:9]
	s_cbranch_vccnz .LBB126_1623
; %bb.1622:
	s_and_b32 s9, s3, 3
	s_flbit_i32_b32 s13, s9
	s_min_u32 s13, s13, 32
	s_sub_i32 s14, s13, 29
	s_lshl_b32 s14, s3, s14
	s_lshl_b32 s8, s3, 24
	s_bfe_u32 s12, s3, 0x50002
	s_sub_i32 s13, 30, s13
	s_and_b32 s14, s14, 3
	s_cmp_eq_u32 s12, 0
	s_cselect_b32 s12, s13, s12
	s_cselect_b32 s9, s14, s9
	s_lshl_b32 s12, s12, 23
	s_and_b32 s8, s8, 0x80000000
	s_add_i32 s12, s12, 0x37800000
	s_lshl_b32 s9, s9, 21
	s_or_b32 s8, s8, s12
	s_or_b32 s15, s8, s9
.LBB126_1623:
	v_mov_b32_e32 v0, s15
	v_mov_b32_e32 v1, 0
	global_store_dwordx2 v[4:5], v[0:1], off
.LBB126_1624:
	s_mov_b64 s[8:9], 0
.LBB126_1625:
	s_andn2_b64 vcc, exec, s[8:9]
	s_cbranch_vccnz .LBB126_1636
; %bb.1626:
	s_and_b32 s14, s3, 0xff
	s_cmpk_lt_i32 s14, 0x80
	s_cbranch_scc1 .LBB126_1630
; %bb.1627:
	s_and_b32 s8, 0xffff, s14
	s_cmpk_eq_i32 s8, 0x80
	s_mov_b64 s[8:9], -1
	s_cbranch_scc0 .LBB126_1629
; %bb.1628:
	s_mov_b64 s[8:9], 0
.LBB126_1629:
	s_mov_b64 s[12:13], 0
	s_branch .LBB126_1631
.LBB126_1630:
	s_mov_b64 s[12:13], -1
	s_mov_b64 s[8:9], 0
.LBB126_1631:
	s_movk_i32 s15, 0x7e00
	s_and_b64 vcc, exec, s[12:13]
	s_cbranch_vccz .LBB126_1633
; %bb.1632:
	s_and_b32 s15, 0xffff, s14
	s_cmp_lg_u32 s15, 0
	s_cselect_b64 s[8:9], -1, 0
.LBB126_1633:
	s_andn2_b64 vcc, exec, s[8:9]
	v_mov_b32_e32 v0, s15
	s_cbranch_vccnz .LBB126_1635
; %bb.1634:
	s_and_b32 s9, s3, 3
	s_flbit_i32_b32 s13, s9
	s_min_u32 s13, s13, 32
	s_sub_i32 s14, s13, 29
	s_lshl_b32 s14, s3, s14
	s_lshl_b32 s8, s3, 24
	s_bfe_u32 s12, s3, 0x50002
	s_sub_i32 s13, 30, s13
	s_and_b32 s14, s14, 3
	s_cmp_eq_u32 s12, 0
	s_cselect_b32 s12, s13, s12
	s_cselect_b32 s9, s14, s9
	s_lshl_b32 s12, s12, 23
	s_and_b32 s8, s8, 0x80000000
	s_add_i32 s12, s12, 0x37800000
	s_lshl_b32 s9, s9, 21
	s_or_b32 s8, s8, s12
	s_or_b32 s8, s8, s9
	v_cvt_f16_f32_e32 v0, s8
.LBB126_1635:
	global_store_dword v[4:5], v0, off
.LBB126_1636:
	s_mov_b64 s[8:9], 0
.LBB126_1637:
	s_andn2_b64 vcc, exec, s[8:9]
	s_cbranch_vccnz .LBB126_1674
; %bb.1638:
	s_cmp_lt_i32 s18, 6
	s_mov_b64 s[8:9], -1
	s_cbranch_scc1 .LBB126_1663
; %bb.1639:
	s_cmp_gt_i32 s18, 6
	s_cbranch_scc0 .LBB126_1651
; %bb.1640:
	s_and_b32 s14, s3, 0xff
	s_cmpk_lt_i32 s14, 0x80
	s_cbranch_scc1 .LBB126_1644
; %bb.1641:
	s_and_b32 s8, 0xffff, s14
	s_cmpk_eq_i32 s8, 0x80
	s_mov_b64 s[8:9], -1
	s_cbranch_scc0 .LBB126_1643
; %bb.1642:
	s_mov_b64 s[8:9], 0
.LBB126_1643:
	s_mov_b64 s[12:13], 0
	s_branch .LBB126_1645
.LBB126_1644:
	s_mov_b64 s[12:13], -1
	s_mov_b64 s[8:9], 0
.LBB126_1645:
	s_and_b64 vcc, exec, s[12:13]
	s_cbranch_vccz .LBB126_1647
; %bb.1646:
	s_and_b32 s8, 0xffff, s14
	s_cmp_lg_u32 s8, 0
	s_mov_b64 s[12:13], 0
	s_cselect_b64 s[8:9], -1, 0
	s_branch .LBB126_1648
.LBB126_1647:
	s_mov_b32 s13, 0x7ff80000
	s_brev_b32 s12, 4
.LBB126_1648:
	v_mov_b32_e32 v0, s12
	s_andn2_b64 vcc, exec, s[8:9]
	v_mov_b32_e32 v1, s13
	s_cbranch_vccnz .LBB126_1650
; %bb.1649:
	s_and_b32 s9, s3, 3
	s_flbit_i32_b32 s13, s9
	s_min_u32 s13, s13, 32
	s_sub_i32 s14, s13, 29
	s_lshl_b32 s14, s3, s14
	s_lshl_b32 s8, s3, 24
	s_bfe_u32 s12, s3, 0x50002
	s_sub_i32 s13, 30, s13
	s_and_b32 s14, s14, 3
	s_cmp_eq_u32 s12, 0
	s_cselect_b32 s12, s13, s12
	s_cselect_b32 s9, s14, s9
	s_lshl_b32 s12, s12, 23
	s_and_b32 s8, s8, 0x80000000
	s_add_i32 s12, s12, 0x37800000
	s_lshl_b32 s9, s9, 21
	s_or_b32 s8, s8, s12
	s_or_b32 s8, s8, s9
	v_cvt_f64_f32_e32 v[0:1], s8
.LBB126_1650:
	global_store_dwordx2 v[4:5], v[0:1], off
	s_mov_b64 s[8:9], 0
.LBB126_1651:
	s_and_b64 vcc, exec, s[8:9]
	s_cbranch_vccz .LBB126_1662
; %bb.1652:
	s_and_b32 s14, s3, 0xff
	s_cmpk_lt_i32 s14, 0x80
	s_cbranch_scc1 .LBB126_1656
; %bb.1653:
	s_and_b32 s8, 0xffff, s14
	s_cmpk_eq_i32 s8, 0x80
	s_mov_b64 s[8:9], -1
	s_cbranch_scc0 .LBB126_1655
; %bb.1654:
	s_mov_b64 s[8:9], 0
.LBB126_1655:
	s_mov_b64 s[12:13], 0
	s_branch .LBB126_1657
.LBB126_1656:
	s_mov_b64 s[12:13], -1
	s_mov_b64 s[8:9], 0
.LBB126_1657:
	s_mov_b32 s15, 0x7f800001
	s_and_b64 vcc, exec, s[12:13]
	s_cbranch_vccz .LBB126_1659
; %bb.1658:
	s_and_b32 s15, 0xffff, s14
	s_cmp_lg_u32 s15, 0
	s_cselect_b64 s[8:9], -1, 0
.LBB126_1659:
	s_andn2_b64 vcc, exec, s[8:9]
	s_cbranch_vccnz .LBB126_1661
; %bb.1660:
	s_and_b32 s9, s3, 3
	s_flbit_i32_b32 s13, s9
	s_min_u32 s13, s13, 32
	s_sub_i32 s14, s13, 29
	s_lshl_b32 s14, s3, s14
	s_lshl_b32 s8, s3, 24
	s_bfe_u32 s12, s3, 0x50002
	s_sub_i32 s13, 30, s13
	s_and_b32 s14, s14, 3
	s_cmp_eq_u32 s12, 0
	s_cselect_b32 s12, s13, s12
	s_cselect_b32 s9, s14, s9
	s_lshl_b32 s12, s12, 23
	s_and_b32 s8, s8, 0x80000000
	s_add_i32 s12, s12, 0x37800000
	s_lshl_b32 s9, s9, 21
	s_or_b32 s8, s8, s12
	s_or_b32 s15, s8, s9
.LBB126_1661:
	v_mov_b32_e32 v0, s15
	global_store_dword v[4:5], v0, off
.LBB126_1662:
	s_mov_b64 s[8:9], 0
.LBB126_1663:
	s_andn2_b64 vcc, exec, s[8:9]
	s_cbranch_vccnz .LBB126_1674
; %bb.1664:
	s_and_b32 s14, s3, 0xff
	s_cmpk_lt_i32 s14, 0x80
	s_cbranch_scc1 .LBB126_1668
; %bb.1665:
	s_and_b32 s8, 0xffff, s14
	s_cmpk_eq_i32 s8, 0x80
	s_mov_b64 s[8:9], -1
	s_cbranch_scc0 .LBB126_1667
; %bb.1666:
	s_mov_b64 s[8:9], 0
.LBB126_1667:
	s_mov_b64 s[12:13], 0
	s_branch .LBB126_1669
.LBB126_1668:
	s_mov_b64 s[12:13], -1
	s_mov_b64 s[8:9], 0
.LBB126_1669:
	s_movk_i32 s15, 0x7e00
	s_and_b64 vcc, exec, s[12:13]
	s_cbranch_vccz .LBB126_1671
; %bb.1670:
	s_and_b32 s8, 0xffff, s14
	s_cmp_lg_u32 s8, 0
	s_cselect_b64 s[8:9], -1, 0
	s_mov_b32 s15, s14
.LBB126_1671:
	s_andn2_b64 vcc, exec, s[8:9]
	v_mov_b32_e32 v0, s15
	s_cbranch_vccnz .LBB126_1673
; %bb.1672:
	s_and_b32 s9, s3, 3
	s_flbit_i32_b32 s13, s9
	s_min_u32 s13, s13, 32
	s_sub_i32 s14, s13, 29
	s_lshl_b32 s14, s3, s14
	s_lshl_b32 s8, s3, 24
	s_bfe_u32 s12, s3, 0x50002
	s_sub_i32 s13, 30, s13
	s_and_b32 s14, s14, 3
	s_cmp_eq_u32 s12, 0
	s_cselect_b32 s12, s13, s12
	s_cselect_b32 s9, s14, s9
	s_lshl_b32 s12, s12, 23
	s_and_b32 s8, s8, 0x80000000
	s_add_i32 s12, s12, 0x37800000
	s_lshl_b32 s9, s9, 21
	s_or_b32 s8, s8, s12
	s_or_b32 s8, s8, s9
	v_cvt_f16_f32_e32 v0, s8
.LBB126_1673:
	global_store_short v[4:5], v0, off
.LBB126_1674:
	s_mov_b64 s[8:9], 0
.LBB126_1675:
	s_andn2_b64 vcc, exec, s[8:9]
	s_cbranch_vccnz .LBB126_1726
; %bb.1676:
	s_cmp_lt_i32 s18, 2
	s_mov_b64 s[8:9], -1
	s_cbranch_scc1 .LBB126_1707
; %bb.1677:
	s_cmp_lt_i32 s18, 3
	s_cbranch_scc1 .LBB126_1697
; %bb.1678:
	s_cmp_gt_i32 s18, 3
	s_cbranch_scc0 .LBB126_1687
; %bb.1679:
	s_and_b32 s14, s3, 0xff
	s_cmpk_lt_i32 s14, 0x80
	s_cbranch_scc1 .LBB126_1681
; %bb.1680:
	s_and_b32 s8, 0xffff, s14
	s_cmpk_lg_i32 s8, 0x80
	s_mov_b64 s[12:13], 0
	s_cselect_b64 s[8:9], -1, 0
	s_branch .LBB126_1682
.LBB126_1681:
	s_mov_b64 s[12:13], -1
	s_mov_b64 s[8:9], 0
.LBB126_1682:
	s_andn2_b64 vcc, exec, s[12:13]
	s_cbranch_vccnz .LBB126_1684
; %bb.1683:
	s_and_b32 s8, 0xffff, s14
	s_cmp_lg_u32 s8, 0
	s_cselect_b64 s[8:9], -1, 0
.LBB126_1684:
	v_mov_b32_e32 v0, 0
	s_andn2_b64 vcc, exec, s[8:9]
	v_mov_b32_e32 v1, 0
	s_cbranch_vccnz .LBB126_1686
; %bb.1685:
	s_and_b32 s9, s3, 3
	s_flbit_i32_b32 s13, s9
	s_min_u32 s13, s13, 32
	s_sub_i32 s14, s13, 29
	s_lshl_b32 s14, s3, s14
	s_lshl_b32 s8, s3, 24
	s_bfe_u32 s12, s3, 0x50002
	s_sub_i32 s13, 30, s13
	s_and_b32 s14, s14, 3
	s_cmp_eq_u32 s12, 0
	s_cselect_b32 s12, s13, s12
	s_cselect_b32 s9, s14, s9
	s_lshl_b32 s12, s12, 23
	s_and_b32 s8, s8, 0x80000000
	s_add_i32 s12, s12, 0x37800000
	s_lshl_b32 s9, s9, 21
	s_or_b32 s8, s8, s12
	s_or_b32 s8, s8, s9
	v_trunc_f32_e32 v0, s8
	s_mov_b32 s8, 0x2f800000
	v_mul_f32_e64 v1, |v0|, s8
	v_floor_f32_e32 v1, v1
	s_mov_b32 s8, 0xcf800000
	v_fma_f32 v2, v1, s8, |v0|
	v_cvt_u32_f32_e32 v2, v2
	v_cvt_u32_f32_e32 v1, v1
	v_ashrrev_i32_e32 v3, 31, v0
	v_xor_b32_e32 v0, v2, v3
	v_xor_b32_e32 v1, v1, v3
	v_sub_co_u32_e32 v0, vcc, v0, v3
	v_subb_co_u32_e32 v1, vcc, v1, v3, vcc
.LBB126_1686:
	global_store_dwordx2 v[4:5], v[0:1], off
	s_mov_b64 s[8:9], 0
.LBB126_1687:
	s_and_b64 vcc, exec, s[8:9]
	s_cbranch_vccz .LBB126_1696
; %bb.1688:
	s_and_b32 s14, s3, 0xff
	s_cmpk_lt_i32 s14, 0x80
	s_cbranch_scc1 .LBB126_1690
; %bb.1689:
	s_and_b32 s8, 0xffff, s14
	s_cmpk_lg_i32 s8, 0x80
	s_mov_b64 s[12:13], 0
	s_cselect_b64 s[8:9], -1, 0
	s_branch .LBB126_1691
.LBB126_1690:
	s_mov_b64 s[12:13], -1
	s_mov_b64 s[8:9], 0
.LBB126_1691:
	s_andn2_b64 vcc, exec, s[12:13]
	s_cbranch_vccnz .LBB126_1693
; %bb.1692:
	s_and_b32 s8, 0xffff, s14
	s_cmp_lg_u32 s8, 0
	s_cselect_b64 s[8:9], -1, 0
.LBB126_1693:
	s_andn2_b64 vcc, exec, s[8:9]
	v_mov_b32_e32 v0, 0
	s_cbranch_vccnz .LBB126_1695
; %bb.1694:
	s_and_b32 s9, s3, 3
	s_flbit_i32_b32 s13, s9
	s_min_u32 s13, s13, 32
	s_sub_i32 s14, s13, 29
	s_lshl_b32 s14, s3, s14
	s_lshl_b32 s8, s3, 24
	s_bfe_u32 s12, s3, 0x50002
	s_sub_i32 s13, 30, s13
	s_and_b32 s14, s14, 3
	s_cmp_eq_u32 s12, 0
	s_cselect_b32 s12, s13, s12
	s_cselect_b32 s9, s14, s9
	s_lshl_b32 s12, s12, 23
	s_and_b32 s8, s8, 0x80000000
	s_add_i32 s12, s12, 0x37800000
	s_lshl_b32 s9, s9, 21
	s_or_b32 s8, s8, s12
	s_or_b32 s8, s8, s9
	v_cvt_i32_f32_e32 v0, s8
.LBB126_1695:
	global_store_dword v[4:5], v0, off
.LBB126_1696:
	s_mov_b64 s[8:9], 0
.LBB126_1697:
	s_andn2_b64 vcc, exec, s[8:9]
	s_cbranch_vccnz .LBB126_1706
; %bb.1698:
	s_and_b32 s14, s3, 0xff
	s_cmpk_lt_i32 s14, 0x80
	s_cbranch_scc1 .LBB126_1700
; %bb.1699:
	s_and_b32 s8, 0xffff, s14
	s_cmpk_lg_i32 s8, 0x80
	s_mov_b64 s[12:13], 0
	s_cselect_b64 s[8:9], -1, 0
	s_branch .LBB126_1701
.LBB126_1700:
	s_mov_b64 s[12:13], -1
	s_mov_b64 s[8:9], 0
.LBB126_1701:
	s_andn2_b64 vcc, exec, s[12:13]
	s_cbranch_vccnz .LBB126_1703
; %bb.1702:
	s_and_b32 s8, 0xffff, s14
	s_cmp_lg_u32 s8, 0
	s_cselect_b64 s[8:9], -1, 0
.LBB126_1703:
	s_andn2_b64 vcc, exec, s[8:9]
	v_mov_b32_e32 v0, 0
	s_cbranch_vccnz .LBB126_1705
; %bb.1704:
	s_and_b32 s9, s3, 3
	s_flbit_i32_b32 s13, s9
	s_min_u32 s13, s13, 32
	s_sub_i32 s14, s13, 29
	s_lshl_b32 s14, s3, s14
	s_lshl_b32 s8, s3, 24
	s_bfe_u32 s12, s3, 0x50002
	s_sub_i32 s13, 30, s13
	s_and_b32 s14, s14, 3
	s_cmp_eq_u32 s12, 0
	s_cselect_b32 s12, s13, s12
	s_cselect_b32 s9, s14, s9
	s_lshl_b32 s12, s12, 23
	s_and_b32 s8, s8, 0x80000000
	s_add_i32 s12, s12, 0x37800000
	s_lshl_b32 s9, s9, 21
	s_or_b32 s8, s8, s12
	s_or_b32 s8, s8, s9
	v_cvt_i32_f32_e32 v0, s8
.LBB126_1705:
	global_store_short v[4:5], v0, off
.LBB126_1706:
	s_mov_b64 s[8:9], 0
.LBB126_1707:
	s_andn2_b64 vcc, exec, s[8:9]
	s_cbranch_vccnz .LBB126_1726
; %bb.1708:
	s_cmp_gt_i32 s18, 0
	s_mov_b64 s[8:9], -1
	s_cbranch_scc0 .LBB126_1717
; %bb.1709:
	s_and_b32 s14, s3, 0xff
	s_cmpk_lt_i32 s14, 0x80
	s_cbranch_scc1 .LBB126_1711
; %bb.1710:
	s_and_b32 s8, 0xffff, s14
	s_cmpk_lg_i32 s8, 0x80
	s_mov_b64 s[12:13], 0
	s_cselect_b64 s[8:9], -1, 0
	s_branch .LBB126_1712
.LBB126_1711:
	s_mov_b64 s[12:13], -1
	s_mov_b64 s[8:9], 0
.LBB126_1712:
	s_andn2_b64 vcc, exec, s[12:13]
	s_cbranch_vccnz .LBB126_1714
; %bb.1713:
	s_and_b32 s8, 0xffff, s14
	s_cmp_lg_u32 s8, 0
	s_cselect_b64 s[8:9], -1, 0
.LBB126_1714:
	s_andn2_b64 vcc, exec, s[8:9]
	v_mov_b32_e32 v0, 0
	s_cbranch_vccnz .LBB126_1716
; %bb.1715:
	s_and_b32 s9, s3, 3
	s_flbit_i32_b32 s13, s9
	s_min_u32 s13, s13, 32
	s_sub_i32 s14, s13, 29
	s_lshl_b32 s14, s3, s14
	s_lshl_b32 s8, s3, 24
	s_bfe_u32 s12, s3, 0x50002
	s_sub_i32 s13, 30, s13
	s_and_b32 s14, s14, 3
	s_cmp_eq_u32 s12, 0
	s_cselect_b32 s12, s13, s12
	s_cselect_b32 s9, s14, s9
	s_lshl_b32 s12, s12, 23
	s_and_b32 s8, s8, 0x80000000
	s_add_i32 s12, s12, 0x37800000
	s_lshl_b32 s9, s9, 21
	s_or_b32 s8, s8, s12
	s_or_b32 s8, s8, s9
	v_cvt_i32_f32_e32 v0, s8
.LBB126_1716:
	global_store_byte v[4:5], v0, off
	s_mov_b64 s[8:9], 0
.LBB126_1717:
	s_and_b64 vcc, exec, s[8:9]
	s_cbranch_vccz .LBB126_1726
; %bb.1718:
	s_and_b32 s14, s3, 0xff
	s_cmpk_lt_i32 s14, 0x80
	s_cbranch_scc1 .LBB126_1720
; %bb.1719:
	s_and_b32 s8, 0xffff, s14
	s_cmpk_lg_i32 s8, 0x80
	s_mov_b64 s[12:13], 0
	s_cselect_b64 s[8:9], -1, 0
	s_branch .LBB126_1721
.LBB126_1720:
	s_mov_b64 s[12:13], -1
	s_mov_b64 s[8:9], 0
.LBB126_1721:
	s_andn2_b64 vcc, exec, s[12:13]
	s_cbranch_vccnz .LBB126_1723
; %bb.1722:
	s_and_b32 s8, 0xffff, s14
	s_cmp_lg_u32 s8, 0
	s_cselect_b64 s[8:9], -1, 0
.LBB126_1723:
	s_andn2_b64 vcc, exec, s[8:9]
	v_mov_b32_e32 v0, 0
	s_cbranch_vccnz .LBB126_1725
; %bb.1724:
	s_and_b32 s9, s3, 3
	s_flbit_i32_b32 s13, s9
	s_min_u32 s13, s13, 32
	s_sub_i32 s14, s13, 29
	s_lshl_b32 s14, s3, s14
	s_lshl_b32 s8, s3, 24
	s_bfe_u32 s12, s3, 0x50002
	s_sub_i32 s13, 30, s13
	s_and_b32 s14, s14, 3
	s_cmp_eq_u32 s12, 0
	s_cselect_b32 s12, s13, s12
	s_cselect_b32 s9, s14, s9
	s_lshl_b32 s12, s12, 23
	s_and_b32 s8, s8, 0x80000000
	s_add_i32 s12, s12, 0x37800000
	s_lshl_b32 s9, s9, 21
	s_or_b32 s8, s8, s12
	s_or_b32 s8, s8, s9
	v_trunc_f32_e32 v0, s8
	s_mov_b32 s8, 0x2f800000
	v_mul_f32_e64 v1, |v0|, s8
	v_floor_f32_e32 v1, v1
	s_mov_b32 s8, 0xcf800000
	v_fma_f32 v1, v1, s8, |v0|
	v_cvt_u32_f32_e32 v1, v1
	v_ashrrev_i32_e32 v0, 31, v0
	v_xor_b32_e32 v1, v1, v0
	v_sub_u32_e32 v0, v1, v0
.LBB126_1725:
	global_store_byte v[4:5], v0, off
.LBB126_1726:
.LBB126_1727:
	v_add_u32_e32 v6, s2, v6
	v_ashrrev_i32_e32 v0, 31, v6
	v_mov_b32_e32 v1, s1
	v_add_co_u32_e32 v4, vcc, s0, v6
	s_cmp_lt_i32 s18, 11
	v_addc_co_u32_e32 v5, vcc, v1, v0, vcc
	s_cbranch_scc1 .LBB126_1736
; %bb.1728:
	s_mov_b64 s[16:17], -1
	s_mov_b64 s[12:13], 0
	s_cmp_gt_i32 s18, 25
	s_mov_b64 s[14:15], 0
	s_mov_b64 s[8:9], 0
	s_cbranch_scc0 .LBB126_1823
; %bb.1729:
	s_cmp_gt_i32 s18, 28
	s_cbranch_scc0 .LBB126_1781
; %bb.1730:
	s_cmp_gt_i32 s18, 43
	;; [unrolled: 3-line block ×3, first 2 shown]
	s_cbranch_scc0 .LBB126_1755
; %bb.1732:
	s_mov_b64 s[8:9], -1
	s_mov_b64 s[16:17], 0
	s_cmp_eq_u32 s18, 46
	s_cbranch_scc0 .LBB126_1755
; %bb.1733:
	s_and_b32 s19, s3, 0xff
	s_cmpk_lt_i32 s19, 0x80
	s_cbranch_scc1 .LBB126_1751
; %bb.1734:
	s_and_b32 s8, 0xffff, s19
	s_cmpk_eq_i32 s8, 0x80
	s_mov_b64 s[8:9], -1
	s_cbranch_scc0 .LBB126_1749
; %bb.1735:
	s_mov_b64 s[8:9], 0
	s_mov_b32 s20, 0x7f800001
	s_and_b64 vcc, exec, s[14:15]
	s_cbranch_vccz .LBB126_1752
	s_branch .LBB126_1750
.LBB126_1736:
	s_mov_b64 s[14:15], 0
	s_cbranch_execnz .LBB126_1891
.LBB126_1737:
	s_andn2_b64 vcc, exec, s[14:15]
	s_cbranch_vccnz .LBB126_2021
.LBB126_1738:
	v_add_u32_e32 v0, s2, v6
	v_ashrrev_i32_e32 v1, 31, v0
	v_mov_b32_e32 v2, s1
	v_add_co_u32_e32 v4, vcc, s0, v0
	s_cmp_lt_i32 s18, 11
	v_addc_co_u32_e32 v5, vcc, v2, v1, vcc
	s_cbranch_scc1 .LBB126_1748
; %bb.1739:
	s_mov_b64 s[12:13], -1
	s_mov_b64 s[8:9], 0
	s_cmp_gt_i32 s18, 25
	s_mov_b64 s[0:1], 0
	s_cbranch_scc0 .LBB126_2231
; %bb.1740:
	s_cmp_gt_i32 s18, 28
	s_cbranch_scc0 .LBB126_2190
; %bb.1741:
	s_cmp_gt_i32 s18, 43
	;; [unrolled: 3-line block ×3, first 2 shown]
	s_cbranch_scc0 .LBB126_2164
; %bb.1743:
	s_cmp_eq_u32 s18, 46
	s_mov_b64 s[0:1], -1
	s_cbranch_scc0 .LBB126_2163
; %bb.1744:
	s_and_b32 s2, s3, 0xff
	s_cmpk_lt_i32 s2, 0x80
	s_cbranch_scc1 .LBB126_2157
; %bb.1745:
	s_and_b32 s0, 0xffff, s2
	s_cmpk_eq_i32 s0, 0x80
	s_mov_b64 s[0:1], -1
	s_cbranch_scc0 .LBB126_1747
; %bb.1746:
	s_mov_b64 s[0:1], 0
.LBB126_1747:
	s_mov_b64 s[12:13], 0
	s_branch .LBB126_2158
.LBB126_1748:
	s_mov_b64 s[8:9], 0
	s_mov_b64 s[0:1], -1
	s_branch .LBB126_2022
.LBB126_1749:
	s_mov_b32 s20, 0x7f800001
	s_and_b64 vcc, exec, s[14:15]
	s_cbranch_vccz .LBB126_1752
.LBB126_1750:
	s_and_b32 s8, 0xffff, s19
	s_cmp_lg_u32 s8, 0
	s_mov_b32 s20, 0
	s_cselect_b64 s[8:9], -1, 0
	s_andn2_b64 vcc, exec, s[8:9]
	s_cbranch_vccz .LBB126_1753
	s_branch .LBB126_1754
.LBB126_1751:
	s_mov_b64 s[8:9], 0
	s_mov_b32 s20, 0x7f800001
	s_cbranch_execnz .LBB126_1750
.LBB126_1752:
	s_andn2_b64 vcc, exec, s[8:9]
	s_cbranch_vccnz .LBB126_1754
.LBB126_1753:
	s_and_b32 s9, s3, 3
	s_flbit_i32_b32 s15, s9
	s_min_u32 s15, s15, 32
	s_sub_i32 s19, s15, 29
	s_lshl_b32 s19, s3, s19
	s_lshl_b32 s8, s3, 24
	s_bfe_u32 s14, s3, 0x50002
	s_sub_i32 s15, 30, s15
	s_and_b32 s19, s19, 3
	s_cmp_eq_u32 s14, 0
	s_cselect_b32 s14, s15, s14
	s_cselect_b32 s9, s19, s9
	s_lshl_b32 s14, s14, 23
	s_and_b32 s8, s8, 0x80000000
	s_add_i32 s14, s14, 0x37800000
	s_lshl_b32 s9, s9, 21
	s_or_b32 s8, s8, s14
	s_or_b32 s20, s8, s9
.LBB126_1754:
	s_bfe_u32 s8, s20, 0x10010
	s_add_i32 s8, s20, s8
	s_addk_i32 s8, 0x7fff
	s_lshr_b32 s14, s8, 16
	v_cmp_o_f32_e64 s[8:9], s20, s20
	s_and_b64 s[8:9], s[8:9], exec
	s_cselect_b32 s8, s14, 0x7fc0
	v_mov_b32_e32 v0, s8
	s_mov_b64 s[8:9], 0
	s_mov_b64 s[14:15], -1
	global_store_dword v[4:5], v0, off
.LBB126_1755:
	s_and_b64 vcc, exec, s[16:17]
	s_cbranch_vccz .LBB126_1767
; %bb.1756:
	s_cmp_eq_u32 s18, 44
	s_mov_b64 s[8:9], -1
	s_cbranch_scc0 .LBB126_1767
; %bb.1757:
	s_and_b32 s16, s3, 0xff
	s_cmpk_lt_i32 s16, 0x80
	s_cbranch_scc1 .LBB126_1761
; %bb.1758:
	s_and_b32 s8, 0xffff, s16
	s_cmpk_eq_i32 s8, 0x80
	s_mov_b64 s[8:9], -1
	s_cbranch_scc0 .LBB126_1760
; %bb.1759:
	s_mov_b64 s[8:9], 0
.LBB126_1760:
	s_mov_b64 s[14:15], 0
	s_branch .LBB126_1762
.LBB126_1761:
	s_mov_b64 s[14:15], -1
	s_mov_b64 s[8:9], 0
.LBB126_1762:
	s_mov_b32 s17, 0x7f800001
	s_and_b64 vcc, exec, s[14:15]
	s_cbranch_vccz .LBB126_1772
; %bb.1763:
	s_and_b32 s17, 0xffff, s16
	s_cmp_lg_u32 s17, 0
	s_cselect_b64 s[8:9], -1, 0
	s_andn2_b64 vcc, exec, s[8:9]
	s_cbranch_vccz .LBB126_1773
.LBB126_1764:
	s_lshr_b32 s8, s17, 23
	s_cmpk_eq_i32 s8, 0xff
	v_mov_b32_e32 v0, 0xff
	s_cbranch_scc1 .LBB126_1766
.LBB126_1765:
	s_bitcmp1_b32 s17, 22
	s_cselect_b64 s[14:15], -1, 0
	s_and_b32 s9, s17, 0x3fffff
	s_or_b32 s9, s8, s9
	s_cmp_lg_u32 s9, 0
	s_cselect_b64 s[16:17], -1, 0
	s_and_b64 s[14:15], s[14:15], s[16:17]
	v_cndmask_b32_e64 v0, 0, 1, s[14:15]
	v_add_u32_e32 v0, s8, v0
.LBB126_1766:
	s_mov_b64 s[8:9], 0
	s_mov_b64 s[14:15], -1
	global_store_byte v[4:5], v0, off
.LBB126_1767:
	s_mov_b64 s[16:17], 0
.LBB126_1768:
	s_and_b64 vcc, exec, s[16:17]
	s_cbranch_vccz .LBB126_1780
; %bb.1769:
	s_cmp_eq_u32 s18, 29
	s_mov_b64 s[8:9], -1
	s_cbranch_scc0 .LBB126_1780
; %bb.1770:
	s_and_b32 s16, s3, 0xff
	s_cmpk_lt_i32 s16, 0x80
	s_cbranch_scc1 .LBB126_1774
; %bb.1771:
	s_and_b32 s8, 0xffff, s16
	s_cmpk_lg_i32 s8, 0x80
	s_mov_b64 s[14:15], 0
	s_cselect_b64 s[8:9], -1, 0
	s_branch .LBB126_1775
.LBB126_1772:
	s_andn2_b64 vcc, exec, s[8:9]
	s_cbranch_vccnz .LBB126_1764
.LBB126_1773:
	s_and_b32 s8, s3, 3
	s_flbit_i32_b32 s14, s8
	s_min_u32 s14, s14, 32
	s_sub_i32 s15, s14, 29
	s_lshl_b32 s15, s3, s15
	s_bfe_u32 s9, s3, 0x50002
	s_sub_i32 s14, 30, s14
	s_and_b32 s15, s15, 3
	s_cmp_eq_u32 s9, 0
	s_cselect_b32 s9, s14, s9
	s_cselect_b32 s8, s15, s8
	s_lshl_b32 s8, s8, 21
	s_lshl_b32 s9, s9, 23
	s_or_b32 s8, s9, s8
	s_add_i32 s17, s8, 0x37800000
	s_lshr_b32 s8, s17, 23
	s_cmpk_eq_i32 s8, 0xff
	v_mov_b32_e32 v0, 0xff
	s_cbranch_scc0 .LBB126_1765
	s_branch .LBB126_1766
.LBB126_1774:
	s_mov_b64 s[14:15], -1
	s_mov_b64 s[8:9], 0
.LBB126_1775:
	s_andn2_b64 vcc, exec, s[14:15]
	s_cbranch_vccnz .LBB126_1777
; %bb.1776:
	s_and_b32 s8, 0xffff, s16
	s_cmp_lg_u32 s8, 0
	s_cselect_b64 s[8:9], -1, 0
.LBB126_1777:
	v_mov_b32_e32 v0, 0
	s_andn2_b64 vcc, exec, s[8:9]
	v_mov_b32_e32 v1, 0
	s_cbranch_vccnz .LBB126_1779
; %bb.1778:
	s_and_b32 s9, s3, 3
	s_flbit_i32_b32 s15, s9
	s_min_u32 s15, s15, 32
	s_sub_i32 s16, s15, 29
	s_lshl_b32 s16, s3, s16
	s_lshl_b32 s8, s3, 24
	s_bfe_u32 s14, s3, 0x50002
	s_sub_i32 s15, 30, s15
	s_and_b32 s16, s16, 3
	s_cmp_eq_u32 s14, 0
	s_cselect_b32 s14, s15, s14
	s_cselect_b32 s9, s16, s9
	s_lshl_b32 s14, s14, 23
	s_and_b32 s8, s8, 0x80000000
	s_add_i32 s14, s14, 0x37800000
	s_lshl_b32 s9, s9, 21
	s_or_b32 s8, s8, s14
	s_or_b32 s8, s8, s9
	v_trunc_f32_e32 v0, s8
	v_mul_f32_e32 v1, 0x2f800000, v0
	v_floor_f32_e32 v1, v1
	v_fmac_f32_e32 v0, 0xcf800000, v1
	v_cvt_u32_f32_e32 v0, v0
	v_cvt_u32_f32_e32 v1, v1
.LBB126_1779:
	global_store_dwordx2 v[4:5], v[0:1], off
	s_mov_b64 s[8:9], 0
	s_mov_b64 s[14:15], -1
.LBB126_1780:
	s_mov_b64 s[16:17], 0
.LBB126_1781:
	s_and_b64 vcc, exec, s[16:17]
	s_cbranch_vccz .LBB126_1822
; %bb.1782:
	s_cmp_lt_i32 s18, 27
	s_mov_b64 s[14:15], -1
	s_cbranch_scc1 .LBB126_1802
; %bb.1783:
	s_cmp_gt_i32 s18, 27
	s_cbranch_scc0 .LBB126_1792
; %bb.1784:
	s_and_b32 s19, s3, 0xff
	s_cmpk_lt_i32 s19, 0x80
	s_cbranch_scc1 .LBB126_1786
; %bb.1785:
	s_and_b32 s14, 0xffff, s19
	s_cmpk_lg_i32 s14, 0x80
	s_mov_b64 s[16:17], 0
	s_cselect_b64 s[14:15], -1, 0
	s_branch .LBB126_1787
.LBB126_1786:
	s_mov_b64 s[16:17], -1
	s_mov_b64 s[14:15], 0
.LBB126_1787:
	s_andn2_b64 vcc, exec, s[16:17]
	s_cbranch_vccnz .LBB126_1789
; %bb.1788:
	s_and_b32 s14, 0xffff, s19
	s_cmp_lg_u32 s14, 0
	s_cselect_b64 s[14:15], -1, 0
.LBB126_1789:
	s_andn2_b64 vcc, exec, s[14:15]
	v_mov_b32_e32 v0, 0
	s_cbranch_vccnz .LBB126_1791
; %bb.1790:
	s_and_b32 s15, s3, 3
	s_flbit_i32_b32 s17, s15
	s_min_u32 s17, s17, 32
	s_sub_i32 s19, s17, 29
	s_lshl_b32 s19, s3, s19
	s_lshl_b32 s14, s3, 24
	s_bfe_u32 s16, s3, 0x50002
	s_sub_i32 s17, 30, s17
	s_and_b32 s19, s19, 3
	s_cmp_eq_u32 s16, 0
	s_cselect_b32 s16, s17, s16
	s_cselect_b32 s15, s19, s15
	s_lshl_b32 s16, s16, 23
	s_and_b32 s14, s14, 0x80000000
	s_add_i32 s16, s16, 0x37800000
	s_lshl_b32 s15, s15, 21
	s_or_b32 s14, s14, s16
	s_or_b32 s14, s14, s15
	v_cvt_u32_f32_e32 v0, s14
.LBB126_1791:
	global_store_dword v[4:5], v0, off
	s_mov_b64 s[14:15], 0
.LBB126_1792:
	s_and_b64 vcc, exec, s[14:15]
	s_cbranch_vccz .LBB126_1801
; %bb.1793:
	s_and_b32 s19, s3, 0xff
	s_cmpk_lt_i32 s19, 0x80
	s_cbranch_scc1 .LBB126_1795
; %bb.1794:
	s_and_b32 s14, 0xffff, s19
	s_cmpk_lg_i32 s14, 0x80
	s_mov_b64 s[16:17], 0
	s_cselect_b64 s[14:15], -1, 0
	s_branch .LBB126_1796
.LBB126_1795:
	s_mov_b64 s[16:17], -1
	s_mov_b64 s[14:15], 0
.LBB126_1796:
	s_andn2_b64 vcc, exec, s[16:17]
	s_cbranch_vccnz .LBB126_1798
; %bb.1797:
	s_and_b32 s14, 0xffff, s19
	s_cmp_lg_u32 s14, 0
	s_cselect_b64 s[14:15], -1, 0
.LBB126_1798:
	s_andn2_b64 vcc, exec, s[14:15]
	v_mov_b32_e32 v0, 0
	s_cbranch_vccnz .LBB126_1800
; %bb.1799:
	s_and_b32 s15, s3, 3
	s_flbit_i32_b32 s17, s15
	s_min_u32 s17, s17, 32
	s_sub_i32 s19, s17, 29
	s_lshl_b32 s19, s3, s19
	s_lshl_b32 s14, s3, 24
	s_bfe_u32 s16, s3, 0x50002
	s_sub_i32 s17, 30, s17
	s_and_b32 s19, s19, 3
	s_cmp_eq_u32 s16, 0
	s_cselect_b32 s16, s17, s16
	s_cselect_b32 s15, s19, s15
	s_lshl_b32 s16, s16, 23
	s_and_b32 s14, s14, 0x80000000
	s_add_i32 s16, s16, 0x37800000
	s_lshl_b32 s15, s15, 21
	s_or_b32 s14, s14, s16
	s_or_b32 s14, s14, s15
	v_cvt_u32_f32_e32 v0, s14
.LBB126_1800:
	global_store_short v[4:5], v0, off
.LBB126_1801:
	s_mov_b64 s[14:15], 0
.LBB126_1802:
	s_andn2_b64 vcc, exec, s[14:15]
	s_cbranch_vccnz .LBB126_1821
; %bb.1803:
	s_and_b32 s20, s3, 0xff
	s_cmpk_lt_i32 s20, 0x80
	s_cbranch_scc1 .LBB126_1807
; %bb.1804:
	s_and_b32 s14, 0xffff, s20
	s_cmpk_eq_i32 s14, 0x80
	s_mov_b64 s[14:15], -1
	s_cbranch_scc0 .LBB126_1806
; %bb.1805:
	s_mov_b64 s[14:15], 0
.LBB126_1806:
	s_mov_b64 s[16:17], 0
	s_branch .LBB126_1808
.LBB126_1807:
	s_mov_b64 s[16:17], -1
	s_mov_b64 s[14:15], 0
.LBB126_1808:
	s_mov_b32 s19, 0x7f800001
	s_and_b64 vcc, exec, s[16:17]
	s_cbranch_vccz .LBB126_1811
; %bb.1809:
	s_and_b32 s14, 0xffff, s20
	s_cmp_lg_u32 s14, 0
	s_mov_b32 s19, 0
	s_cselect_b64 s[14:15], -1, 0
	s_andn2_b64 vcc, exec, s[14:15]
	s_cbranch_vccz .LBB126_1812
.LBB126_1810:
	s_and_b32 s14, s19, 0x7fffffff
	s_cmp_gt_u32 s14, 0x437fffff
	v_mov_b32_e32 v1, 0x80
	s_cbranch_scc0 .LBB126_1813
	s_branch .LBB126_1820
.LBB126_1811:
	s_andn2_b64 vcc, exec, s[14:15]
	s_cbranch_vccnz .LBB126_1810
.LBB126_1812:
	s_and_b32 s15, s3, 3
	s_flbit_i32_b32 s17, s15
	s_min_u32 s17, s17, 32
	s_sub_i32 s19, s17, 29
	s_lshl_b32 s19, s3, s19
	s_lshl_b32 s14, s3, 24
	s_bfe_u32 s16, s3, 0x50002
	s_sub_i32 s17, 30, s17
	s_and_b32 s19, s19, 3
	s_cmp_eq_u32 s16, 0
	s_cselect_b32 s16, s17, s16
	s_cselect_b32 s15, s19, s15
	s_lshl_b32 s16, s16, 23
	s_and_b32 s14, s14, 0x80000000
	s_add_i32 s16, s16, 0x37800000
	s_lshl_b32 s15, s15, 21
	s_or_b32 s14, s14, s16
	s_or_b32 s19, s14, s15
	s_and_b32 s14, s19, 0x7fffffff
	s_cmp_gt_u32 s14, 0x437fffff
	v_mov_b32_e32 v1, 0x80
	s_cbranch_scc1 .LBB126_1820
.LBB126_1813:
	s_cmp_gt_u32 s14, 0x3bffffff
	s_cbranch_scc0 .LBB126_1815
; %bb.1814:
	s_bfe_u32 s14, s19, 0x10014
	s_add_i32 s14, s19, s14
	s_add_i32 s14, s14, 0x487ffff
	s_lshr_b32 s20, s14, 20
	s_mov_b64 s[16:17], 0
	s_mov_b64 s[14:15], -1
	s_branch .LBB126_1816
.LBB126_1815:
	s_mov_b64 s[16:17], -1
	s_mov_b64 s[14:15], 0
                                        ; implicit-def: $sgpr20
.LBB126_1816:
	s_andn2_b64 vcc, exec, s[16:17]
	v_mov_b32_e32 v0, s20
	s_cbranch_vccnz .LBB126_1818
; %bb.1817:
	v_mov_b32_e32 v0, 0x46000000
	v_add_f32_e64 v0, |s19|, v0
	v_and_b32_e32 v0, 0xff, v0
	v_cmp_ne_u32_e64 s[14:15], 0, v0
.LBB126_1818:
	s_andn2_b64 vcc, exec, s[14:15]
	v_mov_b32_e32 v1, 0
	s_cbranch_vccnz .LBB126_1820
; %bb.1819:
	s_lshr_b32 s14, s19, 24
	s_and_b32 s14, s14, 0x80
	v_or_b32_e32 v1, s14, v0
.LBB126_1820:
	global_store_byte v[4:5], v1, off
.LBB126_1821:
	s_mov_b64 s[14:15], -1
.LBB126_1822:
	s_mov_b64 s[16:17], 0
.LBB126_1823:
	s_and_b64 vcc, exec, s[16:17]
	s_cbranch_vccz .LBB126_1887
; %bb.1824:
	s_cmp_gt_i32 s18, 22
	s_mov_b64 s[12:13], -1
	s_cbranch_scc0 .LBB126_1872
; %bb.1825:
	s_cmp_lt_i32 s18, 24
	s_cbranch_scc1 .LBB126_1850
; %bb.1826:
	s_cmp_gt_i32 s18, 24
	s_cbranch_scc0 .LBB126_1828
; %bb.1827:
	v_mov_b32_e32 v0, s3
	global_store_byte v[4:5], v0, off
	s_mov_b64 s[12:13], 0
.LBB126_1828:
	s_andn2_b64 vcc, exec, s[12:13]
	s_cbranch_vccnz .LBB126_1849
; %bb.1829:
	s_and_b32 s17, s3, 0xff
	s_cmpk_lt_i32 s17, 0x80
	s_cbranch_scc1 .LBB126_1833
; %bb.1830:
	s_and_b32 s12, 0xffff, s17
	s_cmpk_eq_i32 s12, 0x80
	s_mov_b64 s[12:13], -1
	s_cbranch_scc0 .LBB126_1832
; %bb.1831:
	s_mov_b64 s[12:13], 0
.LBB126_1832:
	s_mov_b64 s[14:15], 0
	s_branch .LBB126_1834
.LBB126_1833:
	s_mov_b64 s[14:15], -1
	s_mov_b64 s[12:13], 0
.LBB126_1834:
	s_mov_b32 s16, 0x7f800001
	s_and_b64 vcc, exec, s[14:15]
	s_cbranch_vccz .LBB126_1839
; %bb.1835:
	s_and_b32 s12, 0xffff, s17
	s_cmp_lg_u32 s12, 0
	s_mov_b32 s16, 0
	s_cselect_b64 s[12:13], -1, 0
	s_andn2_b64 vcc, exec, s[12:13]
	s_cbranch_vccz .LBB126_1840
.LBB126_1836:
	s_and_b32 s14, s16, 0x7fffffff
	s_cmp_lt_u32 s14, 0x43f00000
	s_cbranch_scc0 .LBB126_1841
.LBB126_1837:
	s_cmp_gt_u32 s14, 0x3c7fffff
	s_cbranch_scc0 .LBB126_1842
; %bb.1838:
	s_bfe_u32 s12, s16, 0x10014
	s_add_i32 s12, s16, s12
	s_add_i32 s12, s12, 0x407ffff
	s_lshr_b32 s13, s12, 20
	s_and_b32 s12, s12, 0xff00000
	s_cmp_lg_u32 s12, 0x7f00000
	s_cselect_b32 s15, s13, 0x7e
	s_mov_b64 s[12:13], 0
	s_branch .LBB126_1843
.LBB126_1839:
	s_andn2_b64 vcc, exec, s[12:13]
	s_cbranch_vccnz .LBB126_1836
.LBB126_1840:
	s_and_b32 s13, s3, 3
	s_flbit_i32_b32 s15, s13
	s_min_u32 s15, s15, 32
	s_sub_i32 s16, s15, 29
	s_lshl_b32 s16, s3, s16
	s_lshl_b32 s12, s3, 24
	s_bfe_u32 s14, s3, 0x50002
	s_sub_i32 s15, 30, s15
	s_and_b32 s16, s16, 3
	s_cmp_eq_u32 s14, 0
	s_cselect_b32 s14, s15, s14
	s_cselect_b32 s13, s16, s13
	s_lshl_b32 s14, s14, 23
	s_and_b32 s12, s12, 0x80000000
	s_add_i32 s14, s14, 0x37800000
	s_lshl_b32 s13, s13, 21
	s_or_b32 s12, s12, s14
	s_or_b32 s16, s12, s13
	s_and_b32 s14, s16, 0x7fffffff
	s_cmp_lt_u32 s14, 0x43f00000
	s_cbranch_scc1 .LBB126_1837
.LBB126_1841:
	s_mov_b64 s[12:13], -1
                                        ; implicit-def: $vgpr0
	s_branch .LBB126_1846
.LBB126_1842:
	s_mov_b64 s[12:13], -1
                                        ; implicit-def: $sgpr15
.LBB126_1843:
	s_andn2_b64 vcc, exec, s[12:13]
	v_mov_b32_e32 v0, s15
	s_cbranch_vccnz .LBB126_1845
; %bb.1844:
	v_mov_b32_e32 v0, 0x46800000
	v_add_f32_e64 v0, |s16|, v0
.LBB126_1845:
	s_mov_b64 s[12:13], 0
.LBB126_1846:
	s_andn2_b64 vcc, exec, s[12:13]
	s_cbranch_vccnz .LBB126_1848
; %bb.1847:
	s_cmp_gt_u32 s14, 0x7f800000
	s_movk_i32 s12, 0x7f
	s_cselect_b32 s12, s12, 0x7e
	v_mov_b32_e32 v0, s12
.LBB126_1848:
	s_lshr_b32 s12, s16, 24
	s_and_b32 s12, s12, 0x80
	v_or_b32_e32 v0, s12, v0
	global_store_byte v[4:5], v0, off
.LBB126_1849:
	s_mov_b64 s[12:13], 0
.LBB126_1850:
	s_andn2_b64 vcc, exec, s[12:13]
	s_cbranch_vccnz .LBB126_1871
; %bb.1851:
	s_and_b32 s17, s3, 0xff
	s_cmpk_lt_i32 s17, 0x80
	s_cbranch_scc1 .LBB126_1855
; %bb.1852:
	s_and_b32 s12, 0xffff, s17
	s_cmpk_eq_i32 s12, 0x80
	s_mov_b64 s[12:13], -1
	s_cbranch_scc0 .LBB126_1854
; %bb.1853:
	s_mov_b64 s[12:13], 0
.LBB126_1854:
	s_mov_b64 s[14:15], 0
	s_branch .LBB126_1856
.LBB126_1855:
	s_mov_b64 s[14:15], -1
	s_mov_b64 s[12:13], 0
.LBB126_1856:
	s_mov_b32 s16, 0x7f800001
	s_and_b64 vcc, exec, s[14:15]
	s_cbranch_vccz .LBB126_1861
; %bb.1857:
	s_and_b32 s12, 0xffff, s17
	s_cmp_lg_u32 s12, 0
	s_mov_b32 s16, 0
	s_cselect_b64 s[12:13], -1, 0
	s_andn2_b64 vcc, exec, s[12:13]
	s_cbranch_vccz .LBB126_1862
.LBB126_1858:
	s_and_b32 s14, s16, 0x7fffffff
	s_cmp_lt_u32 s14, 0x47800000
	s_cbranch_scc0 .LBB126_1863
.LBB126_1859:
	s_cmp_gt_u32 s14, 0x387fffff
	s_cbranch_scc0 .LBB126_1864
; %bb.1860:
	s_bfe_u32 s12, s16, 0x10015
	s_add_i32 s12, s16, s12
	s_add_i32 s12, s12, 0x80fffff
	s_lshr_b32 s15, s12, 21
	s_mov_b64 s[12:13], 0
	s_branch .LBB126_1865
.LBB126_1861:
	s_andn2_b64 vcc, exec, s[12:13]
	s_cbranch_vccnz .LBB126_1858
.LBB126_1862:
	s_and_b32 s13, s3, 3
	s_flbit_i32_b32 s15, s13
	s_min_u32 s15, s15, 32
	s_sub_i32 s16, s15, 29
	s_lshl_b32 s16, s3, s16
	s_lshl_b32 s12, s3, 24
	s_bfe_u32 s14, s3, 0x50002
	s_sub_i32 s15, 30, s15
	s_and_b32 s16, s16, 3
	s_cmp_eq_u32 s14, 0
	s_cselect_b32 s14, s15, s14
	s_cselect_b32 s13, s16, s13
	s_lshl_b32 s14, s14, 23
	s_and_b32 s12, s12, 0x80000000
	s_add_i32 s14, s14, 0x37800000
	s_lshl_b32 s13, s13, 21
	s_or_b32 s12, s12, s14
	s_or_b32 s16, s12, s13
	s_and_b32 s14, s16, 0x7fffffff
	s_cmp_lt_u32 s14, 0x47800000
	s_cbranch_scc1 .LBB126_1859
.LBB126_1863:
	s_mov_b64 s[12:13], -1
                                        ; implicit-def: $vgpr0
	s_branch .LBB126_1868
.LBB126_1864:
	s_mov_b64 s[12:13], -1
                                        ; implicit-def: $sgpr15
.LBB126_1865:
	s_andn2_b64 vcc, exec, s[12:13]
	v_mov_b32_e32 v0, s15
	s_cbranch_vccnz .LBB126_1867
; %bb.1866:
	v_mov_b32_e32 v0, 0x43000000
	v_add_f32_e64 v0, |s16|, v0
.LBB126_1867:
	s_mov_b64 s[12:13], 0
.LBB126_1868:
	s_andn2_b64 vcc, exec, s[12:13]
	s_cbranch_vccnz .LBB126_1870
; %bb.1869:
	s_cmp_gt_u32 s14, 0x7f800000
	s_movk_i32 s12, 0x7f
	s_cselect_b32 s12, s12, 0x7c
	v_mov_b32_e32 v0, s12
.LBB126_1870:
	s_lshr_b32 s12, s16, 24
	s_and_b32 s12, s12, 0x80
	v_or_b32_e32 v0, s12, v0
	global_store_byte v[4:5], v0, off
.LBB126_1871:
	s_mov_b64 s[12:13], 0
	s_mov_b64 s[14:15], -1
.LBB126_1872:
	s_andn2_b64 vcc, exec, s[12:13]
	s_mov_b64 s[12:13], 0
	s_cbranch_vccnz .LBB126_1887
; %bb.1873:
	s_cmp_gt_i32 s18, 14
	s_mov_b64 s[16:17], -1
	s_cbranch_scc0 .LBB126_1885
; %bb.1874:
	s_cmp_eq_u32 s18, 15
	s_mov_b64 s[8:9], -1
	s_cbranch_scc0 .LBB126_1884
; %bb.1875:
	s_and_b32 s14, s3, 0xff
	s_cmpk_lt_i32 s14, 0x80
	s_cbranch_scc1 .LBB126_1880
; %bb.1876:
	s_and_b32 s8, 0xffff, s14
	s_cmpk_eq_i32 s8, 0x80
	s_mov_b64 s[8:9], -1
	s_cbranch_scc0 .LBB126_1878
; %bb.1877:
	s_mov_b64 s[8:9], 0
	s_mov_b32 s15, 0x7f800001
	s_and_b64 vcc, exec, s[12:13]
	s_cbranch_vccz .LBB126_1881
	s_branch .LBB126_1879
.LBB126_1878:
	s_mov_b32 s15, 0x7f800001
	s_and_b64 vcc, exec, s[12:13]
	s_cbranch_vccz .LBB126_1881
.LBB126_1879:
	s_and_b32 s8, 0xffff, s14
	s_cmp_lg_u32 s8, 0
	s_mov_b32 s15, 0
	s_cselect_b64 s[8:9], -1, 0
	s_andn2_b64 vcc, exec, s[8:9]
	s_cbranch_vccz .LBB126_1882
	s_branch .LBB126_1883
.LBB126_1880:
	s_mov_b64 s[8:9], 0
	s_mov_b32 s15, 0x7f800001
	s_cbranch_execnz .LBB126_1879
.LBB126_1881:
	s_andn2_b64 vcc, exec, s[8:9]
	s_cbranch_vccnz .LBB126_1883
.LBB126_1882:
	s_and_b32 s9, s3, 3
	s_flbit_i32_b32 s13, s9
	s_min_u32 s13, s13, 32
	s_sub_i32 s14, s13, 29
	s_lshl_b32 s14, s3, s14
	s_lshl_b32 s8, s3, 24
	s_bfe_u32 s12, s3, 0x50002
	s_sub_i32 s13, 30, s13
	s_and_b32 s14, s14, 3
	s_cmp_eq_u32 s12, 0
	s_cselect_b32 s12, s13, s12
	s_cselect_b32 s9, s14, s9
	s_lshl_b32 s12, s12, 23
	s_and_b32 s8, s8, 0x80000000
	s_add_i32 s12, s12, 0x37800000
	s_lshl_b32 s9, s9, 21
	s_or_b32 s8, s8, s12
	s_or_b32 s15, s8, s9
.LBB126_1883:
	s_bfe_u32 s8, s15, 0x10010
	s_add_i32 s8, s15, s8
	s_addk_i32 s8, 0x7fff
	s_lshr_b32 s12, s8, 16
	v_cmp_o_f32_e64 s[8:9], s15, s15
	s_and_b64 s[8:9], s[8:9], exec
	s_cselect_b32 s8, s12, 0x7fc0
	v_mov_b32_e32 v0, s8
	global_store_short v[4:5], v0, off
	s_mov_b64 s[8:9], 0
	s_mov_b64 s[14:15], -1
.LBB126_1884:
	s_mov_b64 s[16:17], 0
.LBB126_1885:
	s_mov_b64 s[12:13], 0
	s_and_b64 vcc, exec, s[16:17]
	s_cbranch_vccz .LBB126_1887
; %bb.1886:
	s_cmp_lg_u32 s18, 11
	s_mov_b64 s[12:13], -1
	s_cselect_b64 s[8:9], -1, 0
.LBB126_1887:
	s_and_b64 vcc, exec, s[8:9]
	s_cbranch_vccnz .LBB126_1899
; %bb.1888:
	s_andn2_b64 vcc, exec, s[12:13]
	s_cbranch_vccnz .LBB126_1890
.LBB126_1889:
	s_and_b32 s8, s3, 0xff
	s_cmp_lg_u32 s8, 0
	s_cselect_b64 s[8:9], -1, 0
	v_cndmask_b32_e64 v0, 0, 1, s[8:9]
	s_mov_b64 s[14:15], -1
	global_store_byte v[4:5], v0, off
.LBB126_1890:
	s_branch .LBB126_1737
.LBB126_1891:
	s_cmp_lt_i32 s18, 5
	s_mov_b64 s[8:9], -1
	s_cbranch_scc1 .LBB126_1969
; %bb.1892:
	s_cmp_lt_i32 s18, 8
	s_cbranch_scc1 .LBB126_1931
; %bb.1893:
	s_cmp_lt_i32 s18, 9
	s_cbranch_scc1 .LBB126_1919
; %bb.1894:
	s_cmp_gt_i32 s18, 9
	s_cbranch_scc0 .LBB126_1907
; %bb.1895:
	s_and_b32 s14, s3, 0xff
	s_cmpk_lt_i32 s14, 0x80
	s_cbranch_scc1 .LBB126_1900
; %bb.1896:
	s_and_b32 s8, 0xffff, s14
	s_cmpk_eq_i32 s8, 0x80
	s_mov_b64 s[8:9], -1
	s_cbranch_scc0 .LBB126_1898
; %bb.1897:
	s_mov_b64 s[8:9], 0
.LBB126_1898:
	s_mov_b64 s[12:13], 0
	s_branch .LBB126_1901
.LBB126_1899:
	s_trap 2
	s_or_b64 s[10:11], s[10:11], exec
	s_cbranch_execz .LBB126_1889
	s_branch .LBB126_1890
.LBB126_1900:
	s_mov_b64 s[12:13], -1
	s_mov_b64 s[8:9], 0
.LBB126_1901:
	s_and_b64 vcc, exec, s[12:13]
	s_cbranch_vccz .LBB126_1903
; %bb.1902:
	s_and_b32 s8, 0xffff, s14
	s_cmp_lg_u32 s8, 0
	s_mov_b64 s[12:13], 0
	s_cselect_b64 s[8:9], -1, 0
	s_branch .LBB126_1904
.LBB126_1903:
	s_mov_b32 s13, 0x7ff80000
	s_brev_b32 s12, 4
.LBB126_1904:
	v_mov_b32_e32 v0, s12
	s_andn2_b64 vcc, exec, s[8:9]
	v_mov_b32_e32 v1, s13
	s_cbranch_vccnz .LBB126_1906
; %bb.1905:
	s_and_b32 s9, s3, 3
	s_flbit_i32_b32 s13, s9
	s_min_u32 s13, s13, 32
	s_sub_i32 s14, s13, 29
	s_lshl_b32 s14, s3, s14
	s_lshl_b32 s8, s3, 24
	s_bfe_u32 s12, s3, 0x50002
	s_sub_i32 s13, 30, s13
	s_and_b32 s14, s14, 3
	s_cmp_eq_u32 s12, 0
	s_cselect_b32 s12, s13, s12
	s_cselect_b32 s9, s14, s9
	s_lshl_b32 s12, s12, 23
	s_and_b32 s8, s8, 0x80000000
	s_add_i32 s12, s12, 0x37800000
	s_lshl_b32 s9, s9, 21
	s_or_b32 s8, s8, s12
	s_or_b32 s8, s8, s9
	v_cvt_f64_f32_e32 v[0:1], s8
.LBB126_1906:
	v_mov_b32_e32 v2, 0
	v_mov_b32_e32 v3, v2
	global_store_dwordx4 v[4:5], v[0:3], off
	s_mov_b64 s[8:9], 0
.LBB126_1907:
	s_and_b64 vcc, exec, s[8:9]
	s_cbranch_vccz .LBB126_1918
; %bb.1908:
	s_and_b32 s14, s3, 0xff
	s_cmpk_lt_i32 s14, 0x80
	s_cbranch_scc1 .LBB126_1912
; %bb.1909:
	s_and_b32 s8, 0xffff, s14
	s_cmpk_eq_i32 s8, 0x80
	s_mov_b64 s[8:9], -1
	s_cbranch_scc0 .LBB126_1911
; %bb.1910:
	s_mov_b64 s[8:9], 0
.LBB126_1911:
	s_mov_b64 s[12:13], 0
	s_branch .LBB126_1913
.LBB126_1912:
	s_mov_b64 s[12:13], -1
	s_mov_b64 s[8:9], 0
.LBB126_1913:
	s_mov_b32 s15, 0x7f800001
	s_and_b64 vcc, exec, s[12:13]
	s_cbranch_vccz .LBB126_1915
; %bb.1914:
	s_and_b32 s15, 0xffff, s14
	s_cmp_lg_u32 s15, 0
	s_cselect_b64 s[8:9], -1, 0
.LBB126_1915:
	s_andn2_b64 vcc, exec, s[8:9]
	s_cbranch_vccnz .LBB126_1917
; %bb.1916:
	s_and_b32 s9, s3, 3
	s_flbit_i32_b32 s13, s9
	s_min_u32 s13, s13, 32
	s_sub_i32 s14, s13, 29
	s_lshl_b32 s14, s3, s14
	s_lshl_b32 s8, s3, 24
	s_bfe_u32 s12, s3, 0x50002
	s_sub_i32 s13, 30, s13
	s_and_b32 s14, s14, 3
	s_cmp_eq_u32 s12, 0
	s_cselect_b32 s12, s13, s12
	s_cselect_b32 s9, s14, s9
	s_lshl_b32 s12, s12, 23
	s_and_b32 s8, s8, 0x80000000
	s_add_i32 s12, s12, 0x37800000
	s_lshl_b32 s9, s9, 21
	s_or_b32 s8, s8, s12
	s_or_b32 s15, s8, s9
.LBB126_1917:
	v_mov_b32_e32 v0, s15
	v_mov_b32_e32 v1, 0
	global_store_dwordx2 v[4:5], v[0:1], off
.LBB126_1918:
	s_mov_b64 s[8:9], 0
.LBB126_1919:
	s_andn2_b64 vcc, exec, s[8:9]
	s_cbranch_vccnz .LBB126_1930
; %bb.1920:
	s_and_b32 s14, s3, 0xff
	s_cmpk_lt_i32 s14, 0x80
	s_cbranch_scc1 .LBB126_1924
; %bb.1921:
	s_and_b32 s8, 0xffff, s14
	s_cmpk_eq_i32 s8, 0x80
	s_mov_b64 s[8:9], -1
	s_cbranch_scc0 .LBB126_1923
; %bb.1922:
	s_mov_b64 s[8:9], 0
.LBB126_1923:
	s_mov_b64 s[12:13], 0
	s_branch .LBB126_1925
.LBB126_1924:
	s_mov_b64 s[12:13], -1
	s_mov_b64 s[8:9], 0
.LBB126_1925:
	s_movk_i32 s15, 0x7e00
	s_and_b64 vcc, exec, s[12:13]
	s_cbranch_vccz .LBB126_1927
; %bb.1926:
	s_and_b32 s15, 0xffff, s14
	s_cmp_lg_u32 s15, 0
	s_cselect_b64 s[8:9], -1, 0
.LBB126_1927:
	s_andn2_b64 vcc, exec, s[8:9]
	v_mov_b32_e32 v0, s15
	s_cbranch_vccnz .LBB126_1929
; %bb.1928:
	s_and_b32 s9, s3, 3
	s_flbit_i32_b32 s13, s9
	s_min_u32 s13, s13, 32
	s_sub_i32 s14, s13, 29
	s_lshl_b32 s14, s3, s14
	s_lshl_b32 s8, s3, 24
	s_bfe_u32 s12, s3, 0x50002
	s_sub_i32 s13, 30, s13
	s_and_b32 s14, s14, 3
	s_cmp_eq_u32 s12, 0
	s_cselect_b32 s12, s13, s12
	s_cselect_b32 s9, s14, s9
	s_lshl_b32 s12, s12, 23
	s_and_b32 s8, s8, 0x80000000
	s_add_i32 s12, s12, 0x37800000
	s_lshl_b32 s9, s9, 21
	s_or_b32 s8, s8, s12
	s_or_b32 s8, s8, s9
	v_cvt_f16_f32_e32 v0, s8
.LBB126_1929:
	global_store_dword v[4:5], v0, off
.LBB126_1930:
	s_mov_b64 s[8:9], 0
.LBB126_1931:
	s_andn2_b64 vcc, exec, s[8:9]
	s_cbranch_vccnz .LBB126_1968
; %bb.1932:
	s_cmp_lt_i32 s18, 6
	s_mov_b64 s[8:9], -1
	s_cbranch_scc1 .LBB126_1957
; %bb.1933:
	s_cmp_gt_i32 s18, 6
	s_cbranch_scc0 .LBB126_1945
; %bb.1934:
	s_and_b32 s14, s3, 0xff
	s_cmpk_lt_i32 s14, 0x80
	s_cbranch_scc1 .LBB126_1938
; %bb.1935:
	s_and_b32 s8, 0xffff, s14
	s_cmpk_eq_i32 s8, 0x80
	s_mov_b64 s[8:9], -1
	s_cbranch_scc0 .LBB126_1937
; %bb.1936:
	s_mov_b64 s[8:9], 0
.LBB126_1937:
	s_mov_b64 s[12:13], 0
	s_branch .LBB126_1939
.LBB126_1938:
	s_mov_b64 s[12:13], -1
	s_mov_b64 s[8:9], 0
.LBB126_1939:
	s_and_b64 vcc, exec, s[12:13]
	s_cbranch_vccz .LBB126_1941
; %bb.1940:
	s_and_b32 s8, 0xffff, s14
	s_cmp_lg_u32 s8, 0
	s_mov_b64 s[12:13], 0
	s_cselect_b64 s[8:9], -1, 0
	s_branch .LBB126_1942
.LBB126_1941:
	s_mov_b32 s13, 0x7ff80000
	s_brev_b32 s12, 4
.LBB126_1942:
	v_mov_b32_e32 v0, s12
	s_andn2_b64 vcc, exec, s[8:9]
	v_mov_b32_e32 v1, s13
	s_cbranch_vccnz .LBB126_1944
; %bb.1943:
	s_and_b32 s9, s3, 3
	s_flbit_i32_b32 s13, s9
	s_min_u32 s13, s13, 32
	s_sub_i32 s14, s13, 29
	s_lshl_b32 s14, s3, s14
	s_lshl_b32 s8, s3, 24
	s_bfe_u32 s12, s3, 0x50002
	s_sub_i32 s13, 30, s13
	s_and_b32 s14, s14, 3
	s_cmp_eq_u32 s12, 0
	s_cselect_b32 s12, s13, s12
	s_cselect_b32 s9, s14, s9
	s_lshl_b32 s12, s12, 23
	s_and_b32 s8, s8, 0x80000000
	s_add_i32 s12, s12, 0x37800000
	s_lshl_b32 s9, s9, 21
	s_or_b32 s8, s8, s12
	s_or_b32 s8, s8, s9
	v_cvt_f64_f32_e32 v[0:1], s8
.LBB126_1944:
	global_store_dwordx2 v[4:5], v[0:1], off
	s_mov_b64 s[8:9], 0
.LBB126_1945:
	s_and_b64 vcc, exec, s[8:9]
	s_cbranch_vccz .LBB126_1956
; %bb.1946:
	s_and_b32 s14, s3, 0xff
	s_cmpk_lt_i32 s14, 0x80
	s_cbranch_scc1 .LBB126_1950
; %bb.1947:
	s_and_b32 s8, 0xffff, s14
	s_cmpk_eq_i32 s8, 0x80
	s_mov_b64 s[8:9], -1
	s_cbranch_scc0 .LBB126_1949
; %bb.1948:
	s_mov_b64 s[8:9], 0
.LBB126_1949:
	s_mov_b64 s[12:13], 0
	s_branch .LBB126_1951
.LBB126_1950:
	s_mov_b64 s[12:13], -1
	s_mov_b64 s[8:9], 0
.LBB126_1951:
	s_mov_b32 s15, 0x7f800001
	s_and_b64 vcc, exec, s[12:13]
	s_cbranch_vccz .LBB126_1953
; %bb.1952:
	s_and_b32 s15, 0xffff, s14
	s_cmp_lg_u32 s15, 0
	s_cselect_b64 s[8:9], -1, 0
.LBB126_1953:
	s_andn2_b64 vcc, exec, s[8:9]
	s_cbranch_vccnz .LBB126_1955
; %bb.1954:
	s_and_b32 s9, s3, 3
	s_flbit_i32_b32 s13, s9
	s_min_u32 s13, s13, 32
	s_sub_i32 s14, s13, 29
	s_lshl_b32 s14, s3, s14
	s_lshl_b32 s8, s3, 24
	s_bfe_u32 s12, s3, 0x50002
	s_sub_i32 s13, 30, s13
	s_and_b32 s14, s14, 3
	s_cmp_eq_u32 s12, 0
	s_cselect_b32 s12, s13, s12
	s_cselect_b32 s9, s14, s9
	s_lshl_b32 s12, s12, 23
	s_and_b32 s8, s8, 0x80000000
	s_add_i32 s12, s12, 0x37800000
	s_lshl_b32 s9, s9, 21
	s_or_b32 s8, s8, s12
	s_or_b32 s15, s8, s9
.LBB126_1955:
	v_mov_b32_e32 v0, s15
	global_store_dword v[4:5], v0, off
.LBB126_1956:
	s_mov_b64 s[8:9], 0
.LBB126_1957:
	s_andn2_b64 vcc, exec, s[8:9]
	s_cbranch_vccnz .LBB126_1968
; %bb.1958:
	s_and_b32 s14, s3, 0xff
	s_cmpk_lt_i32 s14, 0x80
	s_cbranch_scc1 .LBB126_1962
; %bb.1959:
	s_and_b32 s8, 0xffff, s14
	s_cmpk_eq_i32 s8, 0x80
	s_mov_b64 s[8:9], -1
	s_cbranch_scc0 .LBB126_1961
; %bb.1960:
	s_mov_b64 s[8:9], 0
.LBB126_1961:
	s_mov_b64 s[12:13], 0
	s_branch .LBB126_1963
.LBB126_1962:
	s_mov_b64 s[12:13], -1
	s_mov_b64 s[8:9], 0
.LBB126_1963:
	s_movk_i32 s15, 0x7e00
	s_and_b64 vcc, exec, s[12:13]
	s_cbranch_vccz .LBB126_1965
; %bb.1964:
	s_and_b32 s8, 0xffff, s14
	s_cmp_lg_u32 s8, 0
	s_cselect_b64 s[8:9], -1, 0
	s_mov_b32 s15, s14
.LBB126_1965:
	s_andn2_b64 vcc, exec, s[8:9]
	v_mov_b32_e32 v0, s15
	s_cbranch_vccnz .LBB126_1967
; %bb.1966:
	s_and_b32 s9, s3, 3
	s_flbit_i32_b32 s13, s9
	s_min_u32 s13, s13, 32
	s_sub_i32 s14, s13, 29
	s_lshl_b32 s14, s3, s14
	s_lshl_b32 s8, s3, 24
	s_bfe_u32 s12, s3, 0x50002
	s_sub_i32 s13, 30, s13
	s_and_b32 s14, s14, 3
	s_cmp_eq_u32 s12, 0
	s_cselect_b32 s12, s13, s12
	s_cselect_b32 s9, s14, s9
	s_lshl_b32 s12, s12, 23
	s_and_b32 s8, s8, 0x80000000
	s_add_i32 s12, s12, 0x37800000
	s_lshl_b32 s9, s9, 21
	s_or_b32 s8, s8, s12
	s_or_b32 s8, s8, s9
	v_cvt_f16_f32_e32 v0, s8
.LBB126_1967:
	global_store_short v[4:5], v0, off
.LBB126_1968:
	s_mov_b64 s[8:9], 0
.LBB126_1969:
	s_andn2_b64 vcc, exec, s[8:9]
	s_cbranch_vccnz .LBB126_2020
; %bb.1970:
	s_cmp_lt_i32 s18, 2
	s_mov_b64 s[8:9], -1
	s_cbranch_scc1 .LBB126_2001
; %bb.1971:
	s_cmp_lt_i32 s18, 3
	s_cbranch_scc1 .LBB126_1991
; %bb.1972:
	s_cmp_gt_i32 s18, 3
	s_cbranch_scc0 .LBB126_1981
; %bb.1973:
	s_and_b32 s14, s3, 0xff
	s_cmpk_lt_i32 s14, 0x80
	s_cbranch_scc1 .LBB126_1975
; %bb.1974:
	s_and_b32 s8, 0xffff, s14
	s_cmpk_lg_i32 s8, 0x80
	s_mov_b64 s[12:13], 0
	s_cselect_b64 s[8:9], -1, 0
	s_branch .LBB126_1976
.LBB126_1975:
	s_mov_b64 s[12:13], -1
	s_mov_b64 s[8:9], 0
.LBB126_1976:
	s_andn2_b64 vcc, exec, s[12:13]
	s_cbranch_vccnz .LBB126_1978
; %bb.1977:
	s_and_b32 s8, 0xffff, s14
	s_cmp_lg_u32 s8, 0
	s_cselect_b64 s[8:9], -1, 0
.LBB126_1978:
	v_mov_b32_e32 v0, 0
	s_andn2_b64 vcc, exec, s[8:9]
	v_mov_b32_e32 v1, 0
	s_cbranch_vccnz .LBB126_1980
; %bb.1979:
	s_and_b32 s9, s3, 3
	s_flbit_i32_b32 s13, s9
	s_min_u32 s13, s13, 32
	s_sub_i32 s14, s13, 29
	s_lshl_b32 s14, s3, s14
	s_lshl_b32 s8, s3, 24
	s_bfe_u32 s12, s3, 0x50002
	s_sub_i32 s13, 30, s13
	s_and_b32 s14, s14, 3
	s_cmp_eq_u32 s12, 0
	s_cselect_b32 s12, s13, s12
	s_cselect_b32 s9, s14, s9
	s_lshl_b32 s12, s12, 23
	s_and_b32 s8, s8, 0x80000000
	s_add_i32 s12, s12, 0x37800000
	s_lshl_b32 s9, s9, 21
	s_or_b32 s8, s8, s12
	s_or_b32 s8, s8, s9
	v_trunc_f32_e32 v0, s8
	s_mov_b32 s8, 0x2f800000
	v_mul_f32_e64 v1, |v0|, s8
	v_floor_f32_e32 v1, v1
	s_mov_b32 s8, 0xcf800000
	v_fma_f32 v2, v1, s8, |v0|
	v_cvt_u32_f32_e32 v2, v2
	v_cvt_u32_f32_e32 v1, v1
	v_ashrrev_i32_e32 v3, 31, v0
	v_xor_b32_e32 v0, v2, v3
	v_xor_b32_e32 v1, v1, v3
	v_sub_co_u32_e32 v0, vcc, v0, v3
	v_subb_co_u32_e32 v1, vcc, v1, v3, vcc
.LBB126_1980:
	global_store_dwordx2 v[4:5], v[0:1], off
	s_mov_b64 s[8:9], 0
.LBB126_1981:
	s_and_b64 vcc, exec, s[8:9]
	s_cbranch_vccz .LBB126_1990
; %bb.1982:
	s_and_b32 s14, s3, 0xff
	s_cmpk_lt_i32 s14, 0x80
	s_cbranch_scc1 .LBB126_1984
; %bb.1983:
	s_and_b32 s8, 0xffff, s14
	s_cmpk_lg_i32 s8, 0x80
	s_mov_b64 s[12:13], 0
	s_cselect_b64 s[8:9], -1, 0
	s_branch .LBB126_1985
.LBB126_1984:
	s_mov_b64 s[12:13], -1
	s_mov_b64 s[8:9], 0
.LBB126_1985:
	s_andn2_b64 vcc, exec, s[12:13]
	s_cbranch_vccnz .LBB126_1987
; %bb.1986:
	s_and_b32 s8, 0xffff, s14
	s_cmp_lg_u32 s8, 0
	s_cselect_b64 s[8:9], -1, 0
.LBB126_1987:
	s_andn2_b64 vcc, exec, s[8:9]
	v_mov_b32_e32 v0, 0
	s_cbranch_vccnz .LBB126_1989
; %bb.1988:
	s_and_b32 s9, s3, 3
	s_flbit_i32_b32 s13, s9
	s_min_u32 s13, s13, 32
	s_sub_i32 s14, s13, 29
	s_lshl_b32 s14, s3, s14
	s_lshl_b32 s8, s3, 24
	s_bfe_u32 s12, s3, 0x50002
	s_sub_i32 s13, 30, s13
	s_and_b32 s14, s14, 3
	s_cmp_eq_u32 s12, 0
	s_cselect_b32 s12, s13, s12
	s_cselect_b32 s9, s14, s9
	s_lshl_b32 s12, s12, 23
	s_and_b32 s8, s8, 0x80000000
	s_add_i32 s12, s12, 0x37800000
	s_lshl_b32 s9, s9, 21
	s_or_b32 s8, s8, s12
	s_or_b32 s8, s8, s9
	v_cvt_i32_f32_e32 v0, s8
.LBB126_1989:
	global_store_dword v[4:5], v0, off
.LBB126_1990:
	s_mov_b64 s[8:9], 0
.LBB126_1991:
	s_andn2_b64 vcc, exec, s[8:9]
	s_cbranch_vccnz .LBB126_2000
; %bb.1992:
	s_and_b32 s14, s3, 0xff
	s_cmpk_lt_i32 s14, 0x80
	s_cbranch_scc1 .LBB126_1994
; %bb.1993:
	s_and_b32 s8, 0xffff, s14
	s_cmpk_lg_i32 s8, 0x80
	s_mov_b64 s[12:13], 0
	s_cselect_b64 s[8:9], -1, 0
	s_branch .LBB126_1995
.LBB126_1994:
	s_mov_b64 s[12:13], -1
	s_mov_b64 s[8:9], 0
.LBB126_1995:
	s_andn2_b64 vcc, exec, s[12:13]
	s_cbranch_vccnz .LBB126_1997
; %bb.1996:
	s_and_b32 s8, 0xffff, s14
	s_cmp_lg_u32 s8, 0
	s_cselect_b64 s[8:9], -1, 0
.LBB126_1997:
	s_andn2_b64 vcc, exec, s[8:9]
	v_mov_b32_e32 v0, 0
	s_cbranch_vccnz .LBB126_1999
; %bb.1998:
	s_and_b32 s9, s3, 3
	s_flbit_i32_b32 s13, s9
	s_min_u32 s13, s13, 32
	s_sub_i32 s14, s13, 29
	s_lshl_b32 s14, s3, s14
	s_lshl_b32 s8, s3, 24
	s_bfe_u32 s12, s3, 0x50002
	s_sub_i32 s13, 30, s13
	s_and_b32 s14, s14, 3
	s_cmp_eq_u32 s12, 0
	s_cselect_b32 s12, s13, s12
	s_cselect_b32 s9, s14, s9
	s_lshl_b32 s12, s12, 23
	s_and_b32 s8, s8, 0x80000000
	s_add_i32 s12, s12, 0x37800000
	s_lshl_b32 s9, s9, 21
	s_or_b32 s8, s8, s12
	s_or_b32 s8, s8, s9
	v_cvt_i32_f32_e32 v0, s8
.LBB126_1999:
	global_store_short v[4:5], v0, off
.LBB126_2000:
	s_mov_b64 s[8:9], 0
.LBB126_2001:
	s_andn2_b64 vcc, exec, s[8:9]
	s_cbranch_vccnz .LBB126_2020
; %bb.2002:
	s_cmp_gt_i32 s18, 0
	s_mov_b64 s[8:9], -1
	s_cbranch_scc0 .LBB126_2011
; %bb.2003:
	s_and_b32 s14, s3, 0xff
	s_cmpk_lt_i32 s14, 0x80
	s_cbranch_scc1 .LBB126_2005
; %bb.2004:
	s_and_b32 s8, 0xffff, s14
	s_cmpk_lg_i32 s8, 0x80
	s_mov_b64 s[12:13], 0
	s_cselect_b64 s[8:9], -1, 0
	s_branch .LBB126_2006
.LBB126_2005:
	s_mov_b64 s[12:13], -1
	s_mov_b64 s[8:9], 0
.LBB126_2006:
	s_andn2_b64 vcc, exec, s[12:13]
	s_cbranch_vccnz .LBB126_2008
; %bb.2007:
	s_and_b32 s8, 0xffff, s14
	s_cmp_lg_u32 s8, 0
	s_cselect_b64 s[8:9], -1, 0
.LBB126_2008:
	s_andn2_b64 vcc, exec, s[8:9]
	v_mov_b32_e32 v0, 0
	s_cbranch_vccnz .LBB126_2010
; %bb.2009:
	s_and_b32 s9, s3, 3
	s_flbit_i32_b32 s13, s9
	s_min_u32 s13, s13, 32
	s_sub_i32 s14, s13, 29
	s_lshl_b32 s14, s3, s14
	s_lshl_b32 s8, s3, 24
	s_bfe_u32 s12, s3, 0x50002
	s_sub_i32 s13, 30, s13
	s_and_b32 s14, s14, 3
	s_cmp_eq_u32 s12, 0
	s_cselect_b32 s12, s13, s12
	s_cselect_b32 s9, s14, s9
	s_lshl_b32 s12, s12, 23
	s_and_b32 s8, s8, 0x80000000
	s_add_i32 s12, s12, 0x37800000
	s_lshl_b32 s9, s9, 21
	s_or_b32 s8, s8, s12
	s_or_b32 s8, s8, s9
	v_cvt_i32_f32_e32 v0, s8
.LBB126_2010:
	global_store_byte v[4:5], v0, off
	s_mov_b64 s[8:9], 0
.LBB126_2011:
	s_and_b64 vcc, exec, s[8:9]
	s_cbranch_vccz .LBB126_2020
; %bb.2012:
	s_and_b32 s14, s3, 0xff
	s_cmpk_lt_i32 s14, 0x80
	s_cbranch_scc1 .LBB126_2014
; %bb.2013:
	s_and_b32 s8, 0xffff, s14
	s_cmpk_lg_i32 s8, 0x80
	s_mov_b64 s[12:13], 0
	s_cselect_b64 s[8:9], -1, 0
	s_branch .LBB126_2015
.LBB126_2014:
	s_mov_b64 s[12:13], -1
	s_mov_b64 s[8:9], 0
.LBB126_2015:
	s_andn2_b64 vcc, exec, s[12:13]
	s_cbranch_vccnz .LBB126_2017
; %bb.2016:
	s_and_b32 s8, 0xffff, s14
	s_cmp_lg_u32 s8, 0
	s_cselect_b64 s[8:9], -1, 0
.LBB126_2017:
	s_andn2_b64 vcc, exec, s[8:9]
	v_mov_b32_e32 v0, 0
	s_cbranch_vccnz .LBB126_2019
; %bb.2018:
	s_and_b32 s9, s3, 3
	s_flbit_i32_b32 s13, s9
	s_min_u32 s13, s13, 32
	s_sub_i32 s14, s13, 29
	s_lshl_b32 s14, s3, s14
	s_lshl_b32 s8, s3, 24
	s_bfe_u32 s12, s3, 0x50002
	s_sub_i32 s13, 30, s13
	s_and_b32 s14, s14, 3
	s_cmp_eq_u32 s12, 0
	s_cselect_b32 s12, s13, s12
	s_cselect_b32 s9, s14, s9
	s_lshl_b32 s12, s12, 23
	s_and_b32 s8, s8, 0x80000000
	s_add_i32 s12, s12, 0x37800000
	s_lshl_b32 s9, s9, 21
	s_or_b32 s8, s8, s12
	s_or_b32 s8, s8, s9
	v_trunc_f32_e32 v0, s8
	s_mov_b32 s8, 0x2f800000
	v_mul_f32_e64 v1, |v0|, s8
	v_floor_f32_e32 v1, v1
	s_mov_b32 s8, 0xcf800000
	v_fma_f32 v1, v1, s8, |v0|
	v_cvt_u32_f32_e32 v1, v1
	v_ashrrev_i32_e32 v0, 31, v0
	v_xor_b32_e32 v1, v1, v0
	v_sub_u32_e32 v0, v1, v0
.LBB126_2019:
	global_store_byte v[4:5], v0, off
.LBB126_2020:
	s_branch .LBB126_1738
.LBB126_2021:
	s_mov_b64 s[0:1], 0
	s_mov_b64 s[8:9], 0
                                        ; implicit-def: $sgpr30
                                        ; implicit-def: $vgpr4_vgpr5
.LBB126_2022:
	s_and_b64 s[12:13], s[0:1], exec
	s_andn2_b64 s[0:1], s[4:5], exec
	s_and_b64 s[4:5], s[10:11], exec
	s_and_b64 s[8:9], s[8:9], exec
	s_or_b64 s[4:5], s[0:1], s[4:5]
.LBB126_2023:
	s_or_b64 exec, exec, s[6:7]
	s_and_saveexec_b64 s[0:1], s[4:5]
	s_cbranch_execz .LBB126_2026
; %bb.2024:
	; divergent unreachable
	s_or_b64 exec, exec, s[0:1]
	s_and_saveexec_b64 s[0:1], s[8:9]
	s_xor_b64 s[0:1], exec, s[0:1]
	s_cbranch_execnz .LBB126_2027
.LBB126_2025:
	s_or_b64 exec, exec, s[0:1]
	s_and_saveexec_b64 s[0:1], s[12:13]
	s_cbranch_execnz .LBB126_2028
	s_branch .LBB126_2150
.LBB126_2026:
	s_or_b64 exec, exec, s[0:1]
	s_and_saveexec_b64 s[0:1], s[8:9]
	s_xor_b64 s[0:1], exec, s[0:1]
	s_cbranch_execz .LBB126_2025
.LBB126_2027:
	s_and_b32 s2, s3, 0xff
	s_cmp_lg_u32 s2, 0
	s_cselect_b64 s[4:5], -1, 0
	v_cndmask_b32_e64 v0, 0, 1, s[4:5]
	global_store_byte v[4:5], v0, off
	s_or_b64 exec, exec, s[0:1]
	s_and_saveexec_b64 s[0:1], s[12:13]
	s_cbranch_execz .LBB126_2150
.LBB126_2028:
	s_sext_i32_i16 s2, s30
	s_cmp_lt_i32 s2, 5
	s_mov_b64 s[0:1], -1
	s_cbranch_scc1 .LBB126_2105
; %bb.2029:
	s_cmp_lt_i32 s2, 8
	s_cbranch_scc1 .LBB126_2061
; %bb.2030:
	s_cmp_lt_i32 s2, 9
	s_cbranch_scc1 .LBB126_2055
; %bb.2031:
	s_cmp_gt_i32 s2, 9
	s_cbranch_scc0 .LBB126_2043
; %bb.2032:
	s_and_b32 s2, s3, 0xff
	s_cmpk_lt_i32 s2, 0x80
	s_cbranch_scc1 .LBB126_2036
; %bb.2033:
	s_and_b32 s0, 0xffff, s2
	s_cmpk_eq_i32 s0, 0x80
	s_mov_b64 s[0:1], -1
	s_cbranch_scc0 .LBB126_2035
; %bb.2034:
	s_mov_b64 s[0:1], 0
.LBB126_2035:
	s_mov_b64 s[4:5], 0
	s_branch .LBB126_2037
.LBB126_2036:
	s_mov_b64 s[4:5], -1
	s_mov_b64 s[0:1], 0
.LBB126_2037:
	s_and_b64 vcc, exec, s[4:5]
	s_cbranch_vccz .LBB126_2039
; %bb.2038:
	s_and_b32 s0, 0xffff, s2
	s_cmp_lg_u32 s0, 0
	s_mov_b64 s[4:5], 0
	s_cselect_b64 s[0:1], -1, 0
	s_branch .LBB126_2040
.LBB126_2039:
	s_mov_b32 s5, 0x7ff80000
	s_brev_b32 s4, 4
.LBB126_2040:
	v_mov_b32_e32 v0, s4
	s_andn2_b64 vcc, exec, s[0:1]
	v_mov_b32_e32 v1, s5
	s_cbranch_vccnz .LBB126_2042
; %bb.2041:
	s_and_b32 s1, s3, 3
	s_flbit_i32_b32 s4, s1
	s_min_u32 s4, s4, 32
	s_sub_i32 s5, s4, 29
	s_lshl_b32 s5, s3, s5
	s_lshl_b32 s0, s3, 24
	s_bfe_u32 s2, s3, 0x50002
	s_sub_i32 s4, 30, s4
	s_and_b32 s5, s5, 3
	s_cmp_eq_u32 s2, 0
	s_cselect_b32 s2, s4, s2
	s_cselect_b32 s1, s5, s1
	s_lshl_b32 s2, s2, 23
	s_and_b32 s0, s0, 0x80000000
	s_add_i32 s2, s2, 0x37800000
	s_lshl_b32 s1, s1, 21
	s_or_b32 s0, s0, s2
	s_or_b32 s0, s0, s1
	v_cvt_f64_f32_e32 v[0:1], s0
.LBB126_2042:
	v_mov_b32_e32 v2, 0
	v_mov_b32_e32 v3, v2
	global_store_dwordx4 v[4:5], v[0:3], off
	s_mov_b64 s[0:1], 0
.LBB126_2043:
	s_and_b64 vcc, exec, s[0:1]
	s_cbranch_vccz .LBB126_2054
; %bb.2044:
	s_and_b32 s2, s3, 0xff
	s_cmpk_lt_i32 s2, 0x80
	s_cbranch_scc1 .LBB126_2048
; %bb.2045:
	s_and_b32 s0, 0xffff, s2
	s_cmpk_eq_i32 s0, 0x80
	s_mov_b64 s[0:1], -1
	s_cbranch_scc0 .LBB126_2047
; %bb.2046:
	s_mov_b64 s[0:1], 0
.LBB126_2047:
	s_mov_b64 s[4:5], 0
	s_branch .LBB126_2049
.LBB126_2048:
	s_mov_b64 s[4:5], -1
	s_mov_b64 s[0:1], 0
.LBB126_2049:
	s_mov_b32 s6, 0x7f800001
	s_and_b64 vcc, exec, s[4:5]
	s_cbranch_vccz .LBB126_2051
; %bb.2050:
	s_and_b32 s6, 0xffff, s2
	s_cmp_lg_u32 s6, 0
	s_cselect_b64 s[0:1], -1, 0
.LBB126_2051:
	s_andn2_b64 vcc, exec, s[0:1]
	s_cbranch_vccnz .LBB126_2053
; %bb.2052:
	s_and_b32 s1, s3, 3
	s_flbit_i32_b32 s4, s1
	s_min_u32 s4, s4, 32
	s_sub_i32 s5, s4, 29
	s_lshl_b32 s5, s3, s5
	s_lshl_b32 s0, s3, 24
	s_bfe_u32 s2, s3, 0x50002
	s_sub_i32 s4, 30, s4
	s_and_b32 s5, s5, 3
	s_cmp_eq_u32 s2, 0
	s_cselect_b32 s2, s4, s2
	s_cselect_b32 s1, s5, s1
	s_lshl_b32 s2, s2, 23
	s_and_b32 s0, s0, 0x80000000
	s_add_i32 s2, s2, 0x37800000
	s_lshl_b32 s1, s1, 21
	s_or_b32 s0, s0, s2
	s_or_b32 s6, s0, s1
.LBB126_2053:
	v_mov_b32_e32 v0, s6
	v_mov_b32_e32 v1, 0
	global_store_dwordx2 v[4:5], v[0:1], off
.LBB126_2054:
	s_mov_b64 s[0:1], 0
.LBB126_2055:
	s_andn2_b64 vcc, exec, s[0:1]
	s_cbranch_vccnz .LBB126_2060
; %bb.2056:
	s_and_b32 s2, s3, 0xff
	s_cmpk_lt_i32 s2, 0x80
	s_cbranch_scc1 .LBB126_2068
; %bb.2057:
	s_and_b32 s0, 0xffff, s2
	s_cmpk_eq_i32 s0, 0x80
	s_mov_b64 s[0:1], -1
	s_cbranch_scc0 .LBB126_2059
; %bb.2058:
	s_mov_b64 s[0:1], 0
.LBB126_2059:
	s_mov_b64 s[4:5], 0
	s_branch .LBB126_2069
.LBB126_2060:
	s_mov_b64 s[0:1], 0
.LBB126_2061:
	s_andn2_b64 vcc, exec, s[0:1]
	s_cbranch_vccnz .LBB126_2104
.LBB126_2062:
	s_sext_i32_i16 s2, s30
	s_cmp_lt_i32 s2, 6
	s_mov_b64 s[0:1], -1
	s_cbranch_scc1 .LBB126_2093
; %bb.2063:
	s_cmp_gt_i32 s2, 6
	s_cbranch_scc0 .LBB126_2081
; %bb.2064:
	s_and_b32 s2, s3, 0xff
	s_cmpk_lt_i32 s2, 0x80
	s_cbranch_scc1 .LBB126_2074
; %bb.2065:
	s_and_b32 s0, 0xffff, s2
	s_cmpk_eq_i32 s0, 0x80
	s_mov_b64 s[0:1], -1
	s_cbranch_scc0 .LBB126_2067
; %bb.2066:
	s_mov_b64 s[0:1], 0
.LBB126_2067:
	s_mov_b64 s[4:5], 0
	s_branch .LBB126_2075
.LBB126_2068:
	s_mov_b64 s[4:5], -1
	s_mov_b64 s[0:1], 0
.LBB126_2069:
	s_movk_i32 s6, 0x7e00
	s_and_b64 vcc, exec, s[4:5]
	s_cbranch_vccz .LBB126_2071
; %bb.2070:
	s_and_b32 s6, 0xffff, s2
	s_cmp_lg_u32 s6, 0
	s_cselect_b64 s[0:1], -1, 0
.LBB126_2071:
	s_andn2_b64 vcc, exec, s[0:1]
	v_mov_b32_e32 v0, s6
	s_cbranch_vccnz .LBB126_2073
; %bb.2072:
	s_and_b32 s1, s3, 3
	s_flbit_i32_b32 s4, s1
	s_min_u32 s4, s4, 32
	s_sub_i32 s5, s4, 29
	s_lshl_b32 s5, s3, s5
	s_lshl_b32 s0, s3, 24
	s_bfe_u32 s2, s3, 0x50002
	s_sub_i32 s4, 30, s4
	s_and_b32 s5, s5, 3
	s_cmp_eq_u32 s2, 0
	s_cselect_b32 s2, s4, s2
	s_cselect_b32 s1, s5, s1
	s_lshl_b32 s2, s2, 23
	s_and_b32 s0, s0, 0x80000000
	s_add_i32 s2, s2, 0x37800000
	s_lshl_b32 s1, s1, 21
	s_or_b32 s0, s0, s2
	s_or_b32 s0, s0, s1
	v_cvt_f16_f32_e32 v0, s0
.LBB126_2073:
	global_store_dword v[4:5], v0, off
	s_cbranch_execz .LBB126_2062
	s_branch .LBB126_2104
.LBB126_2074:
	s_mov_b64 s[4:5], -1
	s_mov_b64 s[0:1], 0
.LBB126_2075:
	s_and_b64 vcc, exec, s[4:5]
	s_cbranch_vccz .LBB126_2077
; %bb.2076:
	s_and_b32 s0, 0xffff, s2
	s_cmp_lg_u32 s0, 0
	s_mov_b64 s[4:5], 0
	s_cselect_b64 s[0:1], -1, 0
	s_branch .LBB126_2078
.LBB126_2077:
	s_mov_b32 s5, 0x7ff80000
	s_brev_b32 s4, 4
.LBB126_2078:
	v_mov_b32_e32 v0, s4
	s_andn2_b64 vcc, exec, s[0:1]
	v_mov_b32_e32 v1, s5
	s_cbranch_vccnz .LBB126_2080
; %bb.2079:
	s_and_b32 s1, s3, 3
	s_flbit_i32_b32 s4, s1
	s_min_u32 s4, s4, 32
	s_sub_i32 s5, s4, 29
	s_lshl_b32 s5, s3, s5
	s_lshl_b32 s0, s3, 24
	s_bfe_u32 s2, s3, 0x50002
	s_sub_i32 s4, 30, s4
	s_and_b32 s5, s5, 3
	s_cmp_eq_u32 s2, 0
	s_cselect_b32 s2, s4, s2
	s_cselect_b32 s1, s5, s1
	s_lshl_b32 s2, s2, 23
	s_and_b32 s0, s0, 0x80000000
	s_add_i32 s2, s2, 0x37800000
	s_lshl_b32 s1, s1, 21
	s_or_b32 s0, s0, s2
	s_or_b32 s0, s0, s1
	v_cvt_f64_f32_e32 v[0:1], s0
.LBB126_2080:
	global_store_dwordx2 v[4:5], v[0:1], off
	s_mov_b64 s[0:1], 0
.LBB126_2081:
	s_and_b64 vcc, exec, s[0:1]
	s_cbranch_vccz .LBB126_2092
; %bb.2082:
	s_and_b32 s2, s3, 0xff
	s_cmpk_lt_i32 s2, 0x80
	s_cbranch_scc1 .LBB126_2086
; %bb.2083:
	s_and_b32 s0, 0xffff, s2
	s_cmpk_eq_i32 s0, 0x80
	s_mov_b64 s[0:1], -1
	s_cbranch_scc0 .LBB126_2085
; %bb.2084:
	s_mov_b64 s[0:1], 0
.LBB126_2085:
	s_mov_b64 s[4:5], 0
	s_branch .LBB126_2087
.LBB126_2086:
	s_mov_b64 s[4:5], -1
	s_mov_b64 s[0:1], 0
.LBB126_2087:
	s_mov_b32 s6, 0x7f800001
	s_and_b64 vcc, exec, s[4:5]
	s_cbranch_vccz .LBB126_2089
; %bb.2088:
	s_and_b32 s6, 0xffff, s2
	s_cmp_lg_u32 s6, 0
	s_cselect_b64 s[0:1], -1, 0
.LBB126_2089:
	s_andn2_b64 vcc, exec, s[0:1]
	s_cbranch_vccnz .LBB126_2091
; %bb.2090:
	s_and_b32 s1, s3, 3
	s_flbit_i32_b32 s4, s1
	s_min_u32 s4, s4, 32
	s_sub_i32 s5, s4, 29
	s_lshl_b32 s5, s3, s5
	s_lshl_b32 s0, s3, 24
	s_bfe_u32 s2, s3, 0x50002
	s_sub_i32 s4, 30, s4
	s_and_b32 s5, s5, 3
	s_cmp_eq_u32 s2, 0
	s_cselect_b32 s2, s4, s2
	s_cselect_b32 s1, s5, s1
	s_lshl_b32 s2, s2, 23
	s_and_b32 s0, s0, 0x80000000
	s_add_i32 s2, s2, 0x37800000
	s_lshl_b32 s1, s1, 21
	s_or_b32 s0, s0, s2
	s_or_b32 s6, s0, s1
.LBB126_2091:
	v_mov_b32_e32 v0, s6
	global_store_dword v[4:5], v0, off
.LBB126_2092:
	s_mov_b64 s[0:1], 0
.LBB126_2093:
	s_andn2_b64 vcc, exec, s[0:1]
	s_cbranch_vccnz .LBB126_2104
; %bb.2094:
	s_and_b32 s2, s3, 0xff
	s_cmpk_lt_i32 s2, 0x80
	s_cbranch_scc1 .LBB126_2098
; %bb.2095:
	s_and_b32 s0, 0xffff, s2
	s_cmpk_eq_i32 s0, 0x80
	s_mov_b64 s[0:1], -1
	s_cbranch_scc0 .LBB126_2097
; %bb.2096:
	s_mov_b64 s[0:1], 0
.LBB126_2097:
	s_mov_b64 s[4:5], 0
	s_branch .LBB126_2099
.LBB126_2098:
	s_mov_b64 s[4:5], -1
	s_mov_b64 s[0:1], 0
.LBB126_2099:
	s_movk_i32 s6, 0x7e00
	s_and_b64 vcc, exec, s[4:5]
	s_cbranch_vccz .LBB126_2101
; %bb.2100:
	s_and_b32 s0, 0xffff, s2
	s_cmp_lg_u32 s0, 0
	s_cselect_b64 s[0:1], -1, 0
	s_mov_b32 s6, s2
.LBB126_2101:
	s_andn2_b64 vcc, exec, s[0:1]
	v_mov_b32_e32 v0, s6
	s_cbranch_vccnz .LBB126_2103
; %bb.2102:
	s_and_b32 s1, s3, 3
	s_flbit_i32_b32 s4, s1
	s_min_u32 s4, s4, 32
	s_sub_i32 s5, s4, 29
	s_lshl_b32 s5, s3, s5
	s_lshl_b32 s0, s3, 24
	s_bfe_u32 s2, s3, 0x50002
	s_sub_i32 s4, 30, s4
	s_and_b32 s5, s5, 3
	s_cmp_eq_u32 s2, 0
	s_cselect_b32 s2, s4, s2
	s_cselect_b32 s1, s5, s1
	s_lshl_b32 s2, s2, 23
	s_and_b32 s0, s0, 0x80000000
	s_add_i32 s2, s2, 0x37800000
	s_lshl_b32 s1, s1, 21
	s_or_b32 s0, s0, s2
	s_or_b32 s0, s0, s1
	v_cvt_f16_f32_e32 v0, s0
.LBB126_2103:
	global_store_short v[4:5], v0, off
.LBB126_2104:
	s_mov_b64 s[0:1], 0
.LBB126_2105:
	s_andn2_b64 vcc, exec, s[0:1]
	s_cbranch_vccnz .LBB126_2150
; %bb.2106:
	s_sext_i32_i16 s2, s30
	s_cmp_lt_i32 s2, 2
	s_mov_b64 s[0:1], -1
	s_cbranch_scc1 .LBB126_2131
; %bb.2107:
	s_cmp_lt_i32 s2, 3
	s_cbranch_scc1 .LBB126_2127
; %bb.2108:
	s_cmp_gt_i32 s2, 3
	s_cbranch_scc0 .LBB126_2117
; %bb.2109:
	s_and_b32 s2, s3, 0xff
	s_cmpk_lt_i32 s2, 0x80
	s_cbranch_scc1 .LBB126_2111
; %bb.2110:
	s_and_b32 s0, 0xffff, s2
	s_cmpk_lg_i32 s0, 0x80
	s_mov_b64 s[4:5], 0
	s_cselect_b64 s[0:1], -1, 0
	s_branch .LBB126_2112
.LBB126_2111:
	s_mov_b64 s[4:5], -1
	s_mov_b64 s[0:1], 0
.LBB126_2112:
	s_andn2_b64 vcc, exec, s[4:5]
	s_cbranch_vccnz .LBB126_2114
; %bb.2113:
	s_and_b32 s0, 0xffff, s2
	s_cmp_lg_u32 s0, 0
	s_cselect_b64 s[0:1], -1, 0
.LBB126_2114:
	v_mov_b32_e32 v0, 0
	s_andn2_b64 vcc, exec, s[0:1]
	v_mov_b32_e32 v1, 0
	s_cbranch_vccnz .LBB126_2116
; %bb.2115:
	s_and_b32 s1, s3, 3
	s_flbit_i32_b32 s4, s1
	s_min_u32 s4, s4, 32
	s_sub_i32 s5, s4, 29
	s_lshl_b32 s5, s3, s5
	s_lshl_b32 s0, s3, 24
	s_bfe_u32 s2, s3, 0x50002
	s_sub_i32 s4, 30, s4
	s_and_b32 s5, s5, 3
	s_cmp_eq_u32 s2, 0
	s_cselect_b32 s2, s4, s2
	s_cselect_b32 s1, s5, s1
	s_lshl_b32 s2, s2, 23
	s_and_b32 s0, s0, 0x80000000
	s_add_i32 s2, s2, 0x37800000
	s_lshl_b32 s1, s1, 21
	s_or_b32 s0, s0, s2
	s_or_b32 s0, s0, s1
	v_trunc_f32_e32 v0, s0
	s_mov_b32 s0, 0x2f800000
	v_mul_f32_e64 v1, |v0|, s0
	v_floor_f32_e32 v1, v1
	s_mov_b32 s0, 0xcf800000
	v_fma_f32 v2, v1, s0, |v0|
	v_cvt_u32_f32_e32 v2, v2
	v_cvt_u32_f32_e32 v1, v1
	v_ashrrev_i32_e32 v3, 31, v0
	v_xor_b32_e32 v0, v2, v3
	v_xor_b32_e32 v1, v1, v3
	v_sub_co_u32_e32 v0, vcc, v0, v3
	v_subb_co_u32_e32 v1, vcc, v1, v3, vcc
.LBB126_2116:
	global_store_dwordx2 v[4:5], v[0:1], off
	s_mov_b64 s[0:1], 0
.LBB126_2117:
	s_and_b64 vcc, exec, s[0:1]
	s_cbranch_vccz .LBB126_2126
; %bb.2118:
	s_and_b32 s2, s3, 0xff
	s_cmpk_lt_i32 s2, 0x80
	s_cbranch_scc1 .LBB126_2120
; %bb.2119:
	s_and_b32 s0, 0xffff, s2
	s_cmpk_lg_i32 s0, 0x80
	s_mov_b64 s[4:5], 0
	s_cselect_b64 s[0:1], -1, 0
	s_branch .LBB126_2121
.LBB126_2120:
	s_mov_b64 s[4:5], -1
	s_mov_b64 s[0:1], 0
.LBB126_2121:
	s_andn2_b64 vcc, exec, s[4:5]
	s_cbranch_vccnz .LBB126_2123
; %bb.2122:
	s_and_b32 s0, 0xffff, s2
	s_cmp_lg_u32 s0, 0
	s_cselect_b64 s[0:1], -1, 0
.LBB126_2123:
	s_andn2_b64 vcc, exec, s[0:1]
	v_mov_b32_e32 v0, 0
	s_cbranch_vccnz .LBB126_2125
; %bb.2124:
	s_and_b32 s1, s3, 3
	s_flbit_i32_b32 s4, s1
	s_min_u32 s4, s4, 32
	s_sub_i32 s5, s4, 29
	s_lshl_b32 s5, s3, s5
	s_lshl_b32 s0, s3, 24
	s_bfe_u32 s2, s3, 0x50002
	s_sub_i32 s4, 30, s4
	s_and_b32 s5, s5, 3
	s_cmp_eq_u32 s2, 0
	s_cselect_b32 s2, s4, s2
	s_cselect_b32 s1, s5, s1
	s_lshl_b32 s2, s2, 23
	s_and_b32 s0, s0, 0x80000000
	s_add_i32 s2, s2, 0x37800000
	s_lshl_b32 s1, s1, 21
	s_or_b32 s0, s0, s2
	s_or_b32 s0, s0, s1
	v_cvt_i32_f32_e32 v0, s0
.LBB126_2125:
	global_store_dword v[4:5], v0, off
.LBB126_2126:
	s_mov_b64 s[0:1], 0
.LBB126_2127:
	s_andn2_b64 vcc, exec, s[0:1]
	s_cbranch_vccnz .LBB126_2130
; %bb.2128:
	s_and_b32 s2, s3, 0xff
	s_cmpk_lt_i32 s2, 0x80
	s_cbranch_scc1 .LBB126_2135
; %bb.2129:
	s_and_b32 s0, 0xffff, s2
	s_cmpk_lg_i32 s0, 0x80
	s_mov_b64 s[4:5], 0
	s_cselect_b64 s[0:1], -1, 0
	s_branch .LBB126_2136
.LBB126_2130:
	s_mov_b64 s[0:1], 0
.LBB126_2131:
	s_andn2_b64 vcc, exec, s[0:1]
	s_cbranch_vccnz .LBB126_2150
.LBB126_2132:
	s_sext_i32_i16 s0, s30
	s_cmp_gt_i32 s0, 0
	s_mov_b64 s[0:1], -1
	s_cbranch_scc0 .LBB126_2147
; %bb.2133:
	s_and_b32 s2, s3, 0xff
	s_cmpk_lt_i32 s2, 0x80
	s_cbranch_scc1 .LBB126_2141
; %bb.2134:
	s_and_b32 s0, 0xffff, s2
	s_cmpk_lg_i32 s0, 0x80
	s_mov_b64 s[4:5], 0
	s_cselect_b64 s[0:1], -1, 0
	s_branch .LBB126_2142
.LBB126_2135:
	s_mov_b64 s[4:5], -1
	s_mov_b64 s[0:1], 0
.LBB126_2136:
	s_andn2_b64 vcc, exec, s[4:5]
	s_cbranch_vccnz .LBB126_2138
; %bb.2137:
	s_and_b32 s0, 0xffff, s2
	s_cmp_lg_u32 s0, 0
	s_cselect_b64 s[0:1], -1, 0
.LBB126_2138:
	s_andn2_b64 vcc, exec, s[0:1]
	v_mov_b32_e32 v0, 0
	s_cbranch_vccnz .LBB126_2140
; %bb.2139:
	s_and_b32 s1, s3, 3
	s_flbit_i32_b32 s4, s1
	s_min_u32 s4, s4, 32
	s_sub_i32 s5, s4, 29
	s_lshl_b32 s5, s3, s5
	s_lshl_b32 s0, s3, 24
	s_bfe_u32 s2, s3, 0x50002
	s_sub_i32 s4, 30, s4
	s_and_b32 s5, s5, 3
	s_cmp_eq_u32 s2, 0
	s_cselect_b32 s2, s4, s2
	s_cselect_b32 s1, s5, s1
	s_lshl_b32 s2, s2, 23
	s_and_b32 s0, s0, 0x80000000
	s_add_i32 s2, s2, 0x37800000
	s_lshl_b32 s1, s1, 21
	s_or_b32 s0, s0, s2
	s_or_b32 s0, s0, s1
	v_cvt_i32_f32_e32 v0, s0
.LBB126_2140:
	global_store_short v[4:5], v0, off
	s_cbranch_execnz .LBB126_2150
	s_branch .LBB126_2132
.LBB126_2141:
	s_mov_b64 s[4:5], -1
	s_mov_b64 s[0:1], 0
.LBB126_2142:
	s_andn2_b64 vcc, exec, s[4:5]
	s_cbranch_vccnz .LBB126_2144
; %bb.2143:
	s_and_b32 s0, 0xffff, s2
	s_cmp_lg_u32 s0, 0
	s_cselect_b64 s[0:1], -1, 0
.LBB126_2144:
	s_andn2_b64 vcc, exec, s[0:1]
	v_mov_b32_e32 v0, 0
	s_cbranch_vccnz .LBB126_2146
; %bb.2145:
	s_and_b32 s1, s3, 3
	s_flbit_i32_b32 s4, s1
	s_min_u32 s4, s4, 32
	s_sub_i32 s5, s4, 29
	s_lshl_b32 s5, s3, s5
	s_lshl_b32 s0, s3, 24
	s_bfe_u32 s2, s3, 0x50002
	s_sub_i32 s4, 30, s4
	s_and_b32 s5, s5, 3
	s_cmp_eq_u32 s2, 0
	s_cselect_b32 s2, s4, s2
	s_cselect_b32 s1, s5, s1
	s_lshl_b32 s2, s2, 23
	s_and_b32 s0, s0, 0x80000000
	s_add_i32 s2, s2, 0x37800000
	s_lshl_b32 s1, s1, 21
	s_or_b32 s0, s0, s2
	s_or_b32 s0, s0, s1
	v_cvt_i32_f32_e32 v0, s0
.LBB126_2146:
	global_store_byte v[4:5], v0, off
	s_mov_b64 s[0:1], 0
.LBB126_2147:
	s_and_b64 vcc, exec, s[0:1]
	s_cbranch_vccz .LBB126_2150
; %bb.2148:
	s_and_b32 s2, s3, 0xff
	s_cmpk_lt_i32 s2, 0x80
	s_cbranch_scc1 .LBB126_2151
; %bb.2149:
	s_and_b32 s0, 0xffff, s2
	s_cmpk_lg_i32 s0, 0x80
	s_mov_b64 s[4:5], 0
	s_cselect_b64 s[0:1], -1, 0
	s_branch .LBB126_2152
.LBB126_2150:
	s_endpgm
.LBB126_2151:
	s_mov_b64 s[4:5], -1
	s_mov_b64 s[0:1], 0
.LBB126_2152:
	s_andn2_b64 vcc, exec, s[4:5]
	s_cbranch_vccnz .LBB126_2154
; %bb.2153:
	s_and_b32 s0, 0xffff, s2
	s_cmp_lg_u32 s0, 0
	s_cselect_b64 s[0:1], -1, 0
.LBB126_2154:
	s_andn2_b64 vcc, exec, s[0:1]
	v_mov_b32_e32 v0, 0
	s_cbranch_vccnz .LBB126_2156
; %bb.2155:
	s_and_b32 s1, s3, 3
	s_flbit_i32_b32 s4, s1
	s_min_u32 s4, s4, 32
	s_sub_i32 s5, s4, 29
	s_lshl_b32 s0, s3, 24
	s_bfe_u32 s2, s3, 0x50002
	s_lshl_b32 s3, s3, s5
	s_sub_i32 s4, 30, s4
	s_and_b32 s3, s3, 3
	s_cmp_eq_u32 s2, 0
	s_cselect_b32 s2, s4, s2
	s_cselect_b32 s1, s3, s1
	s_lshl_b32 s2, s2, 23
	s_and_b32 s0, s0, 0x80000000
	s_add_i32 s2, s2, 0x37800000
	s_lshl_b32 s1, s1, 21
	s_or_b32 s0, s0, s2
	s_or_b32 s0, s0, s1
	v_trunc_f32_e32 v0, s0
	s_mov_b32 s0, 0x2f800000
	v_mul_f32_e64 v1, |v0|, s0
	v_floor_f32_e32 v1, v1
	s_mov_b32 s0, 0xcf800000
	v_fma_f32 v1, v1, s0, |v0|
	v_cvt_u32_f32_e32 v1, v1
	v_ashrrev_i32_e32 v0, 31, v0
	v_xor_b32_e32 v1, v1, v0
	v_sub_u32_e32 v0, v1, v0
.LBB126_2156:
	global_store_byte v[4:5], v0, off
	s_endpgm
.LBB126_2157:
	s_mov_b64 s[0:1], 0
.LBB126_2158:
	s_mov_b32 s14, 0x7f800001
	s_and_b64 vcc, exec, s[12:13]
	s_cbranch_vccz .LBB126_2160
; %bb.2159:
	s_and_b32 s0, 0xffff, s2
	s_cmp_lg_u32 s0, 0
	s_mov_b32 s14, 0
	s_cselect_b64 s[0:1], -1, 0
.LBB126_2160:
	s_andn2_b64 vcc, exec, s[0:1]
	s_cbranch_vccnz .LBB126_2162
; %bb.2161:
	s_and_b32 s1, s3, 3
	s_flbit_i32_b32 s12, s1
	s_min_u32 s12, s12, 32
	s_sub_i32 s13, s12, 29
	s_lshl_b32 s13, s3, s13
	s_lshl_b32 s0, s3, 24
	s_bfe_u32 s2, s3, 0x50002
	s_sub_i32 s12, 30, s12
	s_and_b32 s13, s13, 3
	s_cmp_eq_u32 s2, 0
	s_cselect_b32 s2, s12, s2
	s_cselect_b32 s1, s13, s1
	s_lshl_b32 s2, s2, 23
	s_and_b32 s0, s0, 0x80000000
	s_add_i32 s2, s2, 0x37800000
	s_lshl_b32 s1, s1, 21
	s_or_b32 s0, s0, s2
	s_or_b32 s14, s0, s1
.LBB126_2162:
	s_bfe_u32 s0, s14, 0x10010
	s_add_i32 s0, s14, s0
	s_addk_i32 s0, 0x7fff
	s_lshr_b32 s2, s0, 16
	v_cmp_o_f32_e64 s[0:1], s14, s14
	s_and_b64 s[0:1], s[0:1], exec
	s_cselect_b32 s0, s2, 0x7fc0
	v_mov_b32_e32 v0, s0
	global_store_dword v[4:5], v0, off
	s_mov_b64 s[0:1], 0
.LBB126_2163:
	s_mov_b64 s[12:13], 0
.LBB126_2164:
	s_and_b64 vcc, exec, s[12:13]
	s_cbranch_vccz .LBB126_2176
; %bb.2165:
	s_cmp_eq_u32 s18, 44
	s_mov_b64 s[0:1], -1
	s_cbranch_scc0 .LBB126_2176
; %bb.2166:
	s_and_b32 s2, s3, 0xff
	s_cmpk_lt_i32 s2, 0x80
	s_cbranch_scc1 .LBB126_2170
; %bb.2167:
	s_and_b32 s0, 0xffff, s2
	s_cmpk_eq_i32 s0, 0x80
	s_mov_b64 s[0:1], -1
	s_cbranch_scc0 .LBB126_2169
; %bb.2168:
	s_mov_b64 s[0:1], 0
.LBB126_2169:
	s_mov_b64 s[12:13], 0
	s_branch .LBB126_2171
.LBB126_2170:
	s_mov_b64 s[12:13], -1
	s_mov_b64 s[0:1], 0
.LBB126_2171:
	s_mov_b32 s14, 0x7f800001
	s_and_b64 vcc, exec, s[12:13]
	s_cbranch_vccz .LBB126_2181
; %bb.2172:
	s_and_b32 s14, 0xffff, s2
	s_cmp_lg_u32 s14, 0
	s_cselect_b64 s[0:1], -1, 0
	s_andn2_b64 vcc, exec, s[0:1]
	s_cbranch_vccz .LBB126_2182
.LBB126_2173:
	s_lshr_b32 s0, s14, 23
	s_cmpk_eq_i32 s0, 0xff
	v_mov_b32_e32 v0, 0xff
	s_cbranch_scc1 .LBB126_2175
.LBB126_2174:
	s_bitcmp1_b32 s14, 22
	s_cselect_b64 s[12:13], -1, 0
	s_and_b32 s1, s14, 0x3fffff
	s_or_b32 s1, s0, s1
	s_cmp_lg_u32 s1, 0
	s_cselect_b64 s[14:15], -1, 0
	s_and_b64 s[12:13], s[12:13], s[14:15]
	v_cndmask_b32_e64 v0, 0, 1, s[12:13]
	v_add_u32_e32 v0, s0, v0
.LBB126_2175:
	global_store_byte v[4:5], v0, off
	s_mov_b64 s[0:1], 0
.LBB126_2176:
	s_mov_b64 s[12:13], 0
.LBB126_2177:
	s_and_b64 vcc, exec, s[12:13]
	s_cbranch_vccz .LBB126_2189
; %bb.2178:
	s_cmp_eq_u32 s18, 29
	s_mov_b64 s[0:1], -1
	s_cbranch_scc0 .LBB126_2189
; %bb.2179:
	s_and_b32 s2, s3, 0xff
	s_cmpk_lt_i32 s2, 0x80
	s_cbranch_scc1 .LBB126_2183
; %bb.2180:
	s_and_b32 s0, 0xffff, s2
	s_cmpk_lg_i32 s0, 0x80
	s_mov_b64 s[12:13], 0
	s_cselect_b64 s[0:1], -1, 0
	s_branch .LBB126_2184
.LBB126_2181:
	s_andn2_b64 vcc, exec, s[0:1]
	s_cbranch_vccnz .LBB126_2173
.LBB126_2182:
	s_and_b32 s0, s3, 3
	s_flbit_i32_b32 s2, s0
	s_min_u32 s2, s2, 32
	s_sub_i32 s12, s2, 29
	s_lshl_b32 s12, s3, s12
	s_bfe_u32 s1, s3, 0x50002
	s_sub_i32 s2, 30, s2
	s_and_b32 s12, s12, 3
	s_cmp_eq_u32 s1, 0
	s_cselect_b32 s1, s2, s1
	s_cselect_b32 s0, s12, s0
	s_lshl_b32 s0, s0, 21
	s_lshl_b32 s1, s1, 23
	s_or_b32 s0, s1, s0
	s_add_i32 s14, s0, 0x37800000
	s_lshr_b32 s0, s14, 23
	s_cmpk_eq_i32 s0, 0xff
	v_mov_b32_e32 v0, 0xff
	s_cbranch_scc0 .LBB126_2174
	s_branch .LBB126_2175
.LBB126_2183:
	s_mov_b64 s[12:13], -1
	s_mov_b64 s[0:1], 0
.LBB126_2184:
	s_andn2_b64 vcc, exec, s[12:13]
	s_cbranch_vccnz .LBB126_2186
; %bb.2185:
	s_and_b32 s0, 0xffff, s2
	s_cmp_lg_u32 s0, 0
	s_cselect_b64 s[0:1], -1, 0
.LBB126_2186:
	v_mov_b32_e32 v0, 0
	s_andn2_b64 vcc, exec, s[0:1]
	v_mov_b32_e32 v1, 0
	s_cbranch_vccnz .LBB126_2188
; %bb.2187:
	s_and_b32 s1, s3, 3
	s_flbit_i32_b32 s12, s1
	s_min_u32 s12, s12, 32
	s_sub_i32 s13, s12, 29
	s_lshl_b32 s13, s3, s13
	s_lshl_b32 s0, s3, 24
	s_bfe_u32 s2, s3, 0x50002
	s_sub_i32 s12, 30, s12
	s_and_b32 s13, s13, 3
	s_cmp_eq_u32 s2, 0
	s_cselect_b32 s2, s12, s2
	s_cselect_b32 s1, s13, s1
	s_lshl_b32 s2, s2, 23
	s_and_b32 s0, s0, 0x80000000
	s_add_i32 s2, s2, 0x37800000
	s_lshl_b32 s1, s1, 21
	s_or_b32 s0, s0, s2
	s_or_b32 s0, s0, s1
	v_trunc_f32_e32 v0, s0
	v_mul_f32_e32 v1, 0x2f800000, v0
	v_floor_f32_e32 v1, v1
	v_fmac_f32_e32 v0, 0xcf800000, v1
	v_cvt_u32_f32_e32 v0, v0
	v_cvt_u32_f32_e32 v1, v1
.LBB126_2188:
	global_store_dwordx2 v[4:5], v[0:1], off
	s_mov_b64 s[0:1], 0
.LBB126_2189:
	s_mov_b64 s[12:13], 0
.LBB126_2190:
	s_and_b64 vcc, exec, s[12:13]
	s_cbranch_vccz .LBB126_2230
; %bb.2191:
	s_cmp_lt_i32 s18, 27
	s_mov_b64 s[12:13], -1
	s_cbranch_scc1 .LBB126_2211
; %bb.2192:
	s_cmp_gt_i32 s18, 27
	s_cbranch_scc0 .LBB126_2201
; %bb.2193:
	s_and_b32 s2, s3, 0xff
	s_cmpk_lt_i32 s2, 0x80
	s_cbranch_scc1 .LBB126_2195
; %bb.2194:
	s_and_b32 s12, 0xffff, s2
	s_cmpk_lg_i32 s12, 0x80
	s_mov_b64 s[14:15], 0
	s_cselect_b64 s[12:13], -1, 0
	s_branch .LBB126_2196
.LBB126_2195:
	s_mov_b64 s[14:15], -1
	s_mov_b64 s[12:13], 0
.LBB126_2196:
	s_andn2_b64 vcc, exec, s[14:15]
	s_cbranch_vccnz .LBB126_2198
; %bb.2197:
	s_and_b32 s2, 0xffff, s2
	s_cmp_lg_u32 s2, 0
	s_cselect_b64 s[12:13], -1, 0
.LBB126_2198:
	s_andn2_b64 vcc, exec, s[12:13]
	v_mov_b32_e32 v0, 0
	s_cbranch_vccnz .LBB126_2200
; %bb.2199:
	s_and_b32 s12, s3, 3
	s_flbit_i32_b32 s14, s12
	s_min_u32 s14, s14, 32
	s_sub_i32 s15, s14, 29
	s_lshl_b32 s15, s3, s15
	s_lshl_b32 s2, s3, 24
	s_bfe_u32 s13, s3, 0x50002
	s_sub_i32 s14, 30, s14
	s_and_b32 s15, s15, 3
	s_cmp_eq_u32 s13, 0
	s_cselect_b32 s13, s14, s13
	s_cselect_b32 s12, s15, s12
	s_lshl_b32 s13, s13, 23
	s_and_b32 s2, s2, 0x80000000
	s_add_i32 s13, s13, 0x37800000
	s_lshl_b32 s12, s12, 21
	s_or_b32 s2, s2, s13
	s_or_b32 s2, s2, s12
	v_cvt_u32_f32_e32 v0, s2
.LBB126_2200:
	global_store_dword v[4:5], v0, off
	s_mov_b64 s[12:13], 0
.LBB126_2201:
	s_and_b64 vcc, exec, s[12:13]
	s_cbranch_vccz .LBB126_2210
; %bb.2202:
	s_and_b32 s2, s3, 0xff
	s_cmpk_lt_i32 s2, 0x80
	s_cbranch_scc1 .LBB126_2204
; %bb.2203:
	s_and_b32 s12, 0xffff, s2
	s_cmpk_lg_i32 s12, 0x80
	s_mov_b64 s[14:15], 0
	s_cselect_b64 s[12:13], -1, 0
	s_branch .LBB126_2205
.LBB126_2204:
	s_mov_b64 s[14:15], -1
	s_mov_b64 s[12:13], 0
.LBB126_2205:
	s_andn2_b64 vcc, exec, s[14:15]
	s_cbranch_vccnz .LBB126_2207
; %bb.2206:
	s_and_b32 s2, 0xffff, s2
	s_cmp_lg_u32 s2, 0
	s_cselect_b64 s[12:13], -1, 0
.LBB126_2207:
	s_andn2_b64 vcc, exec, s[12:13]
	v_mov_b32_e32 v0, 0
	s_cbranch_vccnz .LBB126_2209
; %bb.2208:
	s_and_b32 s12, s3, 3
	s_flbit_i32_b32 s14, s12
	s_min_u32 s14, s14, 32
	s_sub_i32 s15, s14, 29
	s_lshl_b32 s15, s3, s15
	s_lshl_b32 s2, s3, 24
	s_bfe_u32 s13, s3, 0x50002
	s_sub_i32 s14, 30, s14
	s_and_b32 s15, s15, 3
	s_cmp_eq_u32 s13, 0
	s_cselect_b32 s13, s14, s13
	s_cselect_b32 s12, s15, s12
	s_lshl_b32 s13, s13, 23
	s_and_b32 s2, s2, 0x80000000
	s_add_i32 s13, s13, 0x37800000
	s_lshl_b32 s12, s12, 21
	s_or_b32 s2, s2, s13
	s_or_b32 s2, s2, s12
	v_cvt_u32_f32_e32 v0, s2
.LBB126_2209:
	global_store_short v[4:5], v0, off
.LBB126_2210:
	s_mov_b64 s[12:13], 0
.LBB126_2211:
	s_andn2_b64 vcc, exec, s[12:13]
	s_cbranch_vccnz .LBB126_2230
; %bb.2212:
	s_and_b32 s16, s3, 0xff
	s_cmpk_lt_i32 s16, 0x80
	s_cbranch_scc1 .LBB126_2216
; %bb.2213:
	s_and_b32 s2, 0xffff, s16
	s_cmpk_eq_i32 s2, 0x80
	s_mov_b64 s[12:13], -1
	s_cbranch_scc0 .LBB126_2215
; %bb.2214:
	s_mov_b64 s[12:13], 0
.LBB126_2215:
	s_mov_b64 s[14:15], 0
	s_branch .LBB126_2217
.LBB126_2216:
	s_mov_b64 s[14:15], -1
	s_mov_b64 s[12:13], 0
.LBB126_2217:
	s_mov_b32 s2, 0x7f800001
	s_and_b64 vcc, exec, s[14:15]
	s_cbranch_vccz .LBB126_2220
; %bb.2218:
	s_and_b32 s12, 0xffff, s16
	s_cmp_lg_u32 s12, 0
	s_mov_b32 s2, 0
	s_cselect_b64 s[12:13], -1, 0
	s_andn2_b64 vcc, exec, s[12:13]
	s_cbranch_vccz .LBB126_2221
.LBB126_2219:
	s_and_b32 s12, s2, 0x7fffffff
	s_cmp_gt_u32 s12, 0x437fffff
	v_mov_b32_e32 v1, 0x80
	s_cbranch_scc0 .LBB126_2222
	s_branch .LBB126_2229
.LBB126_2220:
	s_andn2_b64 vcc, exec, s[12:13]
	s_cbranch_vccnz .LBB126_2219
.LBB126_2221:
	s_and_b32 s12, s3, 3
	s_flbit_i32_b32 s14, s12
	s_min_u32 s14, s14, 32
	s_sub_i32 s15, s14, 29
	s_lshl_b32 s15, s3, s15
	s_lshl_b32 s2, s3, 24
	s_bfe_u32 s13, s3, 0x50002
	s_sub_i32 s14, 30, s14
	s_and_b32 s15, s15, 3
	s_cmp_eq_u32 s13, 0
	s_cselect_b32 s13, s14, s13
	s_cselect_b32 s12, s15, s12
	s_lshl_b32 s13, s13, 23
	s_and_b32 s2, s2, 0x80000000
	s_add_i32 s13, s13, 0x37800000
	s_lshl_b32 s12, s12, 21
	s_or_b32 s2, s2, s13
	s_or_b32 s2, s2, s12
	s_and_b32 s12, s2, 0x7fffffff
	s_cmp_gt_u32 s12, 0x437fffff
	v_mov_b32_e32 v1, 0x80
	s_cbranch_scc1 .LBB126_2229
.LBB126_2222:
	s_cmp_gt_u32 s12, 0x3bffffff
	s_cbranch_scc0 .LBB126_2224
; %bb.2223:
	s_bfe_u32 s12, s2, 0x10014
	s_add_i32 s12, s2, s12
	s_add_i32 s12, s12, 0x487ffff
	s_lshr_b32 s16, s12, 20
	s_mov_b64 s[14:15], 0
	s_mov_b64 s[12:13], -1
	s_branch .LBB126_2225
.LBB126_2224:
	s_mov_b64 s[14:15], -1
	s_mov_b64 s[12:13], 0
                                        ; implicit-def: $sgpr16
.LBB126_2225:
	s_andn2_b64 vcc, exec, s[14:15]
	v_mov_b32_e32 v0, s16
	s_cbranch_vccnz .LBB126_2227
; %bb.2226:
	v_mov_b32_e32 v0, 0x46000000
	v_add_f32_e64 v0, |s2|, v0
	v_and_b32_e32 v0, 0xff, v0
	v_cmp_ne_u32_e64 s[12:13], 0, v0
.LBB126_2227:
	s_andn2_b64 vcc, exec, s[12:13]
	v_mov_b32_e32 v1, 0
	s_cbranch_vccnz .LBB126_2229
; %bb.2228:
	s_lshr_b32 s2, s2, 24
	s_and_b32 s2, s2, 0x80
	v_or_b32_e32 v1, s2, v0
.LBB126_2229:
	global_store_byte v[4:5], v1, off
.LBB126_2230:
	s_mov_b64 s[12:13], 0
.LBB126_2231:
	s_and_b64 vcc, exec, s[12:13]
	s_cbranch_vccz .LBB126_2295
; %bb.2232:
	s_cmp_gt_i32 s18, 22
	s_mov_b64 s[8:9], -1
	s_cbranch_scc0 .LBB126_2280
; %bb.2233:
	s_cmp_lt_i32 s18, 24
	s_cbranch_scc1 .LBB126_2258
; %bb.2234:
	s_cmp_gt_i32 s18, 24
	s_cbranch_scc0 .LBB126_2236
; %bb.2235:
	v_mov_b32_e32 v0, s3
	global_store_byte v[4:5], v0, off
	s_mov_b64 s[8:9], 0
.LBB126_2236:
	s_andn2_b64 vcc, exec, s[8:9]
	s_cbranch_vccnz .LBB126_2257
; %bb.2237:
	s_and_b32 s14, s3, 0xff
	s_cmpk_lt_i32 s14, 0x80
	s_cbranch_scc1 .LBB126_2241
; %bb.2238:
	s_and_b32 s2, 0xffff, s14
	s_cmpk_eq_i32 s2, 0x80
	s_mov_b64 s[8:9], -1
	s_cbranch_scc0 .LBB126_2240
; %bb.2239:
	s_mov_b64 s[8:9], 0
.LBB126_2240:
	s_mov_b64 s[12:13], 0
	s_branch .LBB126_2242
.LBB126_2241:
	s_mov_b64 s[12:13], -1
	s_mov_b64 s[8:9], 0
.LBB126_2242:
	s_mov_b32 s2, 0x7f800001
	s_and_b64 vcc, exec, s[12:13]
	s_cbranch_vccz .LBB126_2247
; %bb.2243:
	s_and_b32 s8, 0xffff, s14
	s_cmp_lg_u32 s8, 0
	s_mov_b32 s2, 0
	s_cselect_b64 s[8:9], -1, 0
	s_andn2_b64 vcc, exec, s[8:9]
	s_cbranch_vccz .LBB126_2248
.LBB126_2244:
	s_and_b32 s12, s2, 0x7fffffff
	s_cmp_lt_u32 s12, 0x43f00000
	s_cbranch_scc0 .LBB126_2249
.LBB126_2245:
	s_cmp_gt_u32 s12, 0x3c7fffff
	s_cbranch_scc0 .LBB126_2250
; %bb.2246:
	s_bfe_u32 s8, s2, 0x10014
	s_add_i32 s8, s2, s8
	s_add_i32 s8, s8, 0x407ffff
	s_lshr_b32 s9, s8, 20
	s_and_b32 s8, s8, 0xff00000
	s_cmp_lg_u32 s8, 0x7f00000
	s_cselect_b32 s13, s9, 0x7e
	s_mov_b64 s[8:9], 0
	s_branch .LBB126_2251
.LBB126_2247:
	s_andn2_b64 vcc, exec, s[8:9]
	s_cbranch_vccnz .LBB126_2244
.LBB126_2248:
	s_and_b32 s8, s3, 3
	s_flbit_i32_b32 s12, s8
	s_min_u32 s12, s12, 32
	s_sub_i32 s13, s12, 29
	s_lshl_b32 s13, s3, s13
	s_lshl_b32 s2, s3, 24
	s_bfe_u32 s9, s3, 0x50002
	s_sub_i32 s12, 30, s12
	s_and_b32 s13, s13, 3
	s_cmp_eq_u32 s9, 0
	s_cselect_b32 s9, s12, s9
	s_cselect_b32 s8, s13, s8
	s_lshl_b32 s9, s9, 23
	s_and_b32 s2, s2, 0x80000000
	s_add_i32 s9, s9, 0x37800000
	s_lshl_b32 s8, s8, 21
	s_or_b32 s2, s2, s9
	s_or_b32 s2, s2, s8
	s_and_b32 s12, s2, 0x7fffffff
	s_cmp_lt_u32 s12, 0x43f00000
	s_cbranch_scc1 .LBB126_2245
.LBB126_2249:
	s_mov_b64 s[8:9], -1
                                        ; implicit-def: $vgpr0
	s_branch .LBB126_2254
.LBB126_2250:
	s_mov_b64 s[8:9], -1
                                        ; implicit-def: $sgpr13
.LBB126_2251:
	s_andn2_b64 vcc, exec, s[8:9]
	v_mov_b32_e32 v0, s13
	s_cbranch_vccnz .LBB126_2253
; %bb.2252:
	v_mov_b32_e32 v0, 0x46800000
	v_add_f32_e64 v0, |s2|, v0
.LBB126_2253:
	s_mov_b64 s[8:9], 0
.LBB126_2254:
	s_andn2_b64 vcc, exec, s[8:9]
	s_cbranch_vccnz .LBB126_2256
; %bb.2255:
	s_cmp_gt_u32 s12, 0x7f800000
	s_movk_i32 s8, 0x7f
	s_cselect_b32 s8, s8, 0x7e
	v_mov_b32_e32 v0, s8
.LBB126_2256:
	s_lshr_b32 s2, s2, 24
	s_and_b32 s2, s2, 0x80
	v_or_b32_e32 v0, s2, v0
	global_store_byte v[4:5], v0, off
.LBB126_2257:
	s_mov_b64 s[8:9], 0
.LBB126_2258:
	s_andn2_b64 vcc, exec, s[8:9]
	s_cbranch_vccnz .LBB126_2279
; %bb.2259:
	s_and_b32 s14, s3, 0xff
	s_cmpk_lt_i32 s14, 0x80
	s_cbranch_scc1 .LBB126_2263
; %bb.2260:
	s_and_b32 s2, 0xffff, s14
	s_cmpk_eq_i32 s2, 0x80
	s_mov_b64 s[8:9], -1
	s_cbranch_scc0 .LBB126_2262
; %bb.2261:
	s_mov_b64 s[8:9], 0
.LBB126_2262:
	s_mov_b64 s[12:13], 0
	s_branch .LBB126_2264
.LBB126_2263:
	s_mov_b64 s[12:13], -1
	s_mov_b64 s[8:9], 0
.LBB126_2264:
	s_mov_b32 s2, 0x7f800001
	s_and_b64 vcc, exec, s[12:13]
	s_cbranch_vccz .LBB126_2269
; %bb.2265:
	s_and_b32 s8, 0xffff, s14
	s_cmp_lg_u32 s8, 0
	s_mov_b32 s2, 0
	s_cselect_b64 s[8:9], -1, 0
	s_andn2_b64 vcc, exec, s[8:9]
	s_cbranch_vccz .LBB126_2270
.LBB126_2266:
	s_and_b32 s12, s2, 0x7fffffff
	s_cmp_lt_u32 s12, 0x47800000
	s_cbranch_scc0 .LBB126_2271
.LBB126_2267:
	s_cmp_gt_u32 s12, 0x387fffff
	s_cbranch_scc0 .LBB126_2272
; %bb.2268:
	s_bfe_u32 s8, s2, 0x10015
	s_add_i32 s8, s2, s8
	s_add_i32 s8, s8, 0x80fffff
	s_lshr_b32 s13, s8, 21
	s_mov_b64 s[8:9], 0
	s_branch .LBB126_2273
.LBB126_2269:
	s_andn2_b64 vcc, exec, s[8:9]
	s_cbranch_vccnz .LBB126_2266
.LBB126_2270:
	s_and_b32 s8, s3, 3
	s_flbit_i32_b32 s12, s8
	s_min_u32 s12, s12, 32
	s_sub_i32 s13, s12, 29
	s_lshl_b32 s13, s3, s13
	s_lshl_b32 s2, s3, 24
	s_bfe_u32 s9, s3, 0x50002
	s_sub_i32 s12, 30, s12
	s_and_b32 s13, s13, 3
	s_cmp_eq_u32 s9, 0
	s_cselect_b32 s9, s12, s9
	s_cselect_b32 s8, s13, s8
	s_lshl_b32 s9, s9, 23
	s_and_b32 s2, s2, 0x80000000
	s_add_i32 s9, s9, 0x37800000
	s_lshl_b32 s8, s8, 21
	s_or_b32 s2, s2, s9
	s_or_b32 s2, s2, s8
	s_and_b32 s12, s2, 0x7fffffff
	s_cmp_lt_u32 s12, 0x47800000
	s_cbranch_scc1 .LBB126_2267
.LBB126_2271:
	s_mov_b64 s[8:9], -1
                                        ; implicit-def: $vgpr0
	s_branch .LBB126_2276
.LBB126_2272:
	s_mov_b64 s[8:9], -1
                                        ; implicit-def: $sgpr13
.LBB126_2273:
	s_andn2_b64 vcc, exec, s[8:9]
	v_mov_b32_e32 v0, s13
	s_cbranch_vccnz .LBB126_2275
; %bb.2274:
	v_mov_b32_e32 v0, 0x43000000
	v_add_f32_e64 v0, |s2|, v0
.LBB126_2275:
	s_mov_b64 s[8:9], 0
.LBB126_2276:
	s_andn2_b64 vcc, exec, s[8:9]
	s_cbranch_vccnz .LBB126_2278
; %bb.2277:
	s_cmp_gt_u32 s12, 0x7f800000
	s_movk_i32 s8, 0x7f
	s_cselect_b32 s8, s8, 0x7c
	v_mov_b32_e32 v0, s8
.LBB126_2278:
	s_lshr_b32 s2, s2, 24
	s_and_b32 s2, s2, 0x80
	v_or_b32_e32 v0, s2, v0
	global_store_byte v[4:5], v0, off
.LBB126_2279:
	s_mov_b64 s[8:9], 0
.LBB126_2280:
	s_andn2_b64 vcc, exec, s[8:9]
	s_mov_b64 s[8:9], 0
	s_cbranch_vccnz .LBB126_2295
; %bb.2281:
	s_cmp_gt_i32 s18, 14
	s_mov_b64 s[12:13], -1
	s_cbranch_scc0 .LBB126_2293
; %bb.2282:
	s_cmp_eq_u32 s18, 15
	s_mov_b64 s[0:1], -1
	s_cbranch_scc0 .LBB126_2292
; %bb.2283:
	s_and_b32 s2, s3, 0xff
	s_cmpk_lt_i32 s2, 0x80
	s_cbranch_scc1 .LBB126_2287
; %bb.2284:
	s_and_b32 s0, 0xffff, s2
	s_cmpk_eq_i32 s0, 0x80
	s_mov_b64 s[0:1], -1
	s_cbranch_scc1 .LBB126_2288
; %bb.2285:
	s_mov_b32 s12, 0x7f800001
	s_and_b64 vcc, exec, s[8:9]
	s_cbranch_vccz .LBB126_2289
.LBB126_2286:
	s_and_b32 s0, 0xffff, s2
	s_cmp_lg_u32 s0, 0
	s_mov_b32 s12, 0
	s_cselect_b64 s[0:1], -1, 0
	s_andn2_b64 vcc, exec, s[0:1]
	s_cbranch_vccz .LBB126_2290
	s_branch .LBB126_2291
.LBB126_2287:
	s_mov_b64 s[8:9], -1
.LBB126_2288:
	s_mov_b64 s[0:1], 0
	s_mov_b32 s12, 0x7f800001
	s_and_b64 vcc, exec, s[8:9]
	s_cbranch_vccnz .LBB126_2286
.LBB126_2289:
	s_andn2_b64 vcc, exec, s[0:1]
	s_cbranch_vccnz .LBB126_2291
.LBB126_2290:
	s_and_b32 s1, s3, 3
	s_flbit_i32_b32 s8, s1
	s_min_u32 s8, s8, 32
	s_sub_i32 s9, s8, 29
	s_lshl_b32 s9, s3, s9
	s_lshl_b32 s0, s3, 24
	s_bfe_u32 s2, s3, 0x50002
	s_sub_i32 s8, 30, s8
	s_and_b32 s9, s9, 3
	s_cmp_eq_u32 s2, 0
	s_cselect_b32 s2, s8, s2
	s_cselect_b32 s1, s9, s1
	s_lshl_b32 s2, s2, 23
	s_and_b32 s0, s0, 0x80000000
	s_add_i32 s2, s2, 0x37800000
	s_lshl_b32 s1, s1, 21
	s_or_b32 s0, s0, s2
	s_or_b32 s12, s0, s1
.LBB126_2291:
	s_bfe_u32 s0, s12, 0x10010
	s_add_i32 s0, s12, s0
	s_addk_i32 s0, 0x7fff
	s_lshr_b32 s2, s0, 16
	v_cmp_o_f32_e64 s[0:1], s12, s12
	s_and_b64 s[0:1], s[0:1], exec
	s_cselect_b32 s0, s2, 0x7fc0
	v_mov_b32_e32 v0, s0
	global_store_short v[4:5], v0, off
	s_mov_b64 s[0:1], 0
.LBB126_2292:
	s_mov_b64 s[12:13], 0
.LBB126_2293:
	s_mov_b64 s[8:9], 0
	s_and_b64 vcc, exec, s[12:13]
	s_cbranch_vccz .LBB126_2295
; %bb.2294:
	s_cmp_lg_u32 s18, 11
	s_mov_b64 s[8:9], -1
	s_cselect_b64 s[0:1], -1, 0
.LBB126_2295:
	s_and_b64 vcc, exec, s[0:1]
	s_cbranch_vccnz .LBB126_2297
.LBB126_2296:
	s_mov_b64 s[0:1], 0
	s_branch .LBB126_2022
.LBB126_2297:
	s_mov_b64 s[8:9], 0
	s_or_b64 s[10:11], s[10:11], exec
	s_trap 2
	s_branch .LBB126_2296
	.section	.rodata,"a",@progbits
	.p2align	6, 0x0
	.amdhsa_kernel _ZN2at6native32elementwise_kernel_manual_unrollILi128ELi4EZNS0_15gpu_kernel_implINS0_11FillFunctorIN3c1015Float8_e5m2fnuzEEEEEvRNS_18TensorIteratorBaseERKT_EUlibE_EEviT1_
		.amdhsa_group_segment_fixed_size 0
		.amdhsa_private_segment_fixed_size 0
		.amdhsa_kernarg_size 24
		.amdhsa_user_sgpr_count 6
		.amdhsa_user_sgpr_private_segment_buffer 1
		.amdhsa_user_sgpr_dispatch_ptr 0
		.amdhsa_user_sgpr_queue_ptr 0
		.amdhsa_user_sgpr_kernarg_segment_ptr 1
		.amdhsa_user_sgpr_dispatch_id 0
		.amdhsa_user_sgpr_flat_scratch_init 0
		.amdhsa_user_sgpr_private_segment_size 0
		.amdhsa_uses_dynamic_stack 0
		.amdhsa_system_sgpr_private_segment_wavefront_offset 0
		.amdhsa_system_sgpr_workgroup_id_x 1
		.amdhsa_system_sgpr_workgroup_id_y 0
		.amdhsa_system_sgpr_workgroup_id_z 0
		.amdhsa_system_sgpr_workgroup_info 0
		.amdhsa_system_vgpr_workitem_id 0
		.amdhsa_next_free_vgpr 17
		.amdhsa_next_free_sgpr 36
		.amdhsa_reserve_vcc 1
		.amdhsa_reserve_flat_scratch 0
		.amdhsa_float_round_mode_32 0
		.amdhsa_float_round_mode_16_64 0
		.amdhsa_float_denorm_mode_32 3
		.amdhsa_float_denorm_mode_16_64 3
		.amdhsa_dx10_clamp 1
		.amdhsa_ieee_mode 1
		.amdhsa_fp16_overflow 0
		.amdhsa_exception_fp_ieee_invalid_op 0
		.amdhsa_exception_fp_denorm_src 0
		.amdhsa_exception_fp_ieee_div_zero 0
		.amdhsa_exception_fp_ieee_overflow 0
		.amdhsa_exception_fp_ieee_underflow 0
		.amdhsa_exception_fp_ieee_inexact 0
		.amdhsa_exception_int_div_zero 0
	.end_amdhsa_kernel
	.section	.text._ZN2at6native32elementwise_kernel_manual_unrollILi128ELi4EZNS0_15gpu_kernel_implINS0_11FillFunctorIN3c1015Float8_e5m2fnuzEEEEEvRNS_18TensorIteratorBaseERKT_EUlibE_EEviT1_,"axG",@progbits,_ZN2at6native32elementwise_kernel_manual_unrollILi128ELi4EZNS0_15gpu_kernel_implINS0_11FillFunctorIN3c1015Float8_e5m2fnuzEEEEEvRNS_18TensorIteratorBaseERKT_EUlibE_EEviT1_,comdat
.Lfunc_end126:
	.size	_ZN2at6native32elementwise_kernel_manual_unrollILi128ELi4EZNS0_15gpu_kernel_implINS0_11FillFunctorIN3c1015Float8_e5m2fnuzEEEEEvRNS_18TensorIteratorBaseERKT_EUlibE_EEviT1_, .Lfunc_end126-_ZN2at6native32elementwise_kernel_manual_unrollILi128ELi4EZNS0_15gpu_kernel_implINS0_11FillFunctorIN3c1015Float8_e5m2fnuzEEEEEvRNS_18TensorIteratorBaseERKT_EUlibE_EEviT1_
                                        ; -- End function
	.set _ZN2at6native32elementwise_kernel_manual_unrollILi128ELi4EZNS0_15gpu_kernel_implINS0_11FillFunctorIN3c1015Float8_e5m2fnuzEEEEEvRNS_18TensorIteratorBaseERKT_EUlibE_EEviT1_.num_vgpr, 17
	.set _ZN2at6native32elementwise_kernel_manual_unrollILi128ELi4EZNS0_15gpu_kernel_implINS0_11FillFunctorIN3c1015Float8_e5m2fnuzEEEEEvRNS_18TensorIteratorBaseERKT_EUlibE_EEviT1_.num_agpr, 0
	.set _ZN2at6native32elementwise_kernel_manual_unrollILi128ELi4EZNS0_15gpu_kernel_implINS0_11FillFunctorIN3c1015Float8_e5m2fnuzEEEEEvRNS_18TensorIteratorBaseERKT_EUlibE_EEviT1_.numbered_sgpr, 36
	.set _ZN2at6native32elementwise_kernel_manual_unrollILi128ELi4EZNS0_15gpu_kernel_implINS0_11FillFunctorIN3c1015Float8_e5m2fnuzEEEEEvRNS_18TensorIteratorBaseERKT_EUlibE_EEviT1_.num_named_barrier, 0
	.set _ZN2at6native32elementwise_kernel_manual_unrollILi128ELi4EZNS0_15gpu_kernel_implINS0_11FillFunctorIN3c1015Float8_e5m2fnuzEEEEEvRNS_18TensorIteratorBaseERKT_EUlibE_EEviT1_.private_seg_size, 0
	.set _ZN2at6native32elementwise_kernel_manual_unrollILi128ELi4EZNS0_15gpu_kernel_implINS0_11FillFunctorIN3c1015Float8_e5m2fnuzEEEEEvRNS_18TensorIteratorBaseERKT_EUlibE_EEviT1_.uses_vcc, 1
	.set _ZN2at6native32elementwise_kernel_manual_unrollILi128ELi4EZNS0_15gpu_kernel_implINS0_11FillFunctorIN3c1015Float8_e5m2fnuzEEEEEvRNS_18TensorIteratorBaseERKT_EUlibE_EEviT1_.uses_flat_scratch, 0
	.set _ZN2at6native32elementwise_kernel_manual_unrollILi128ELi4EZNS0_15gpu_kernel_implINS0_11FillFunctorIN3c1015Float8_e5m2fnuzEEEEEvRNS_18TensorIteratorBaseERKT_EUlibE_EEviT1_.has_dyn_sized_stack, 0
	.set _ZN2at6native32elementwise_kernel_manual_unrollILi128ELi4EZNS0_15gpu_kernel_implINS0_11FillFunctorIN3c1015Float8_e5m2fnuzEEEEEvRNS_18TensorIteratorBaseERKT_EUlibE_EEviT1_.has_recursion, 0
	.set _ZN2at6native32elementwise_kernel_manual_unrollILi128ELi4EZNS0_15gpu_kernel_implINS0_11FillFunctorIN3c1015Float8_e5m2fnuzEEEEEvRNS_18TensorIteratorBaseERKT_EUlibE_EEviT1_.has_indirect_call, 0
	.section	.AMDGPU.csdata,"",@progbits
; Kernel info:
; codeLenInByte = 36524
; TotalNumSgprs: 40
; NumVgprs: 17
; ScratchSize: 0
; MemoryBound: 0
; FloatMode: 240
; IeeeMode: 1
; LDSByteSize: 0 bytes/workgroup (compile time only)
; SGPRBlocks: 4
; VGPRBlocks: 4
; NumSGPRsForWavesPerEU: 40
; NumVGPRsForWavesPerEU: 17
; Occupancy: 10
; WaveLimiterHint : 0
; COMPUTE_PGM_RSRC2:SCRATCH_EN: 0
; COMPUTE_PGM_RSRC2:USER_SGPR: 6
; COMPUTE_PGM_RSRC2:TRAP_HANDLER: 0
; COMPUTE_PGM_RSRC2:TGID_X_EN: 1
; COMPUTE_PGM_RSRC2:TGID_Y_EN: 0
; COMPUTE_PGM_RSRC2:TGID_Z_EN: 0
; COMPUTE_PGM_RSRC2:TIDIG_COMP_CNT: 0
	.section	.text._ZN2at6native32elementwise_kernel_manual_unrollILi128ELi4EZNS0_15gpu_kernel_implINS0_11FillFunctorIN3c1015Float8_e5m2fnuzEEEEEvRNS_18TensorIteratorBaseERKT_EUlibE0_EEviT1_,"axG",@progbits,_ZN2at6native32elementwise_kernel_manual_unrollILi128ELi4EZNS0_15gpu_kernel_implINS0_11FillFunctorIN3c1015Float8_e5m2fnuzEEEEEvRNS_18TensorIteratorBaseERKT_EUlibE0_EEviT1_,comdat
	.protected	_ZN2at6native32elementwise_kernel_manual_unrollILi128ELi4EZNS0_15gpu_kernel_implINS0_11FillFunctorIN3c1015Float8_e5m2fnuzEEEEEvRNS_18TensorIteratorBaseERKT_EUlibE0_EEviT1_ ; -- Begin function _ZN2at6native32elementwise_kernel_manual_unrollILi128ELi4EZNS0_15gpu_kernel_implINS0_11FillFunctorIN3c1015Float8_e5m2fnuzEEEEEvRNS_18TensorIteratorBaseERKT_EUlibE0_EEviT1_
	.globl	_ZN2at6native32elementwise_kernel_manual_unrollILi128ELi4EZNS0_15gpu_kernel_implINS0_11FillFunctorIN3c1015Float8_e5m2fnuzEEEEEvRNS_18TensorIteratorBaseERKT_EUlibE0_EEviT1_
	.p2align	8
	.type	_ZN2at6native32elementwise_kernel_manual_unrollILi128ELi4EZNS0_15gpu_kernel_implINS0_11FillFunctorIN3c1015Float8_e5m2fnuzEEEEEvRNS_18TensorIteratorBaseERKT_EUlibE0_EEviT1_,@function
_ZN2at6native32elementwise_kernel_manual_unrollILi128ELi4EZNS0_15gpu_kernel_implINS0_11FillFunctorIN3c1015Float8_e5m2fnuzEEEEEvRNS_18TensorIteratorBaseERKT_EUlibE0_EEviT1_: ; @_ZN2at6native32elementwise_kernel_manual_unrollILi128ELi4EZNS0_15gpu_kernel_implINS0_11FillFunctorIN3c1015Float8_e5m2fnuzEEEEEvRNS_18TensorIteratorBaseERKT_EUlibE0_EEviT1_
; %bb.0:
	s_load_dword s64, s[4:5], 0x0
	s_load_dword s33, s[4:5], 0x8
	s_add_u32 s24, s4, 8
	s_addc_u32 s25, s5, 0
	v_lshl_or_b32 v15, s6, 9, v0
	v_or_b32_e32 v2, 0x180, v15
	s_waitcnt lgkmcnt(0)
	s_add_i32 s58, s33, -1
	s_cmp_gt_u32 s58, 1
	v_cmp_le_i32_e32 vcc, s64, v2
	s_cselect_b64 s[30:31], -1, 0
	s_mov_b64 s[28:29], 0
	s_mov_b64 s[6:7], 0
	s_and_saveexec_b64 s[0:1], vcc
	s_xor_b64 s[26:27], exec, s[0:1]
	s_cbranch_execz .LBB127_1218
; %bb.1:
	s_cmp_lg_u32 s33, 0
	s_cselect_b64 s[42:43], -1, 0
	s_add_u32 s40, s24, 0xc4
	s_load_dwordx2 s[34:35], s[24:25], 0xc4
	s_load_dwordx2 s[6:7], s[24:25], 0x108
	s_load_dword s62, s[24:25], 0x110
	s_load_dwordx4 s[0:3], s[24:25], 0x4
	s_load_dwordx2 s[36:37], s[24:25], 0x14
	s_addc_u32 s41, s25, 0
	s_min_u32 s65, s58, 15
	s_cmp_gt_u32 s33, 1
	s_cselect_b64 s[38:39], -1, 0
	s_waitcnt lgkmcnt(0)
	s_and_b32 s9, s62, 3
	s_flbit_i32_b32 s11, s9
	s_min_u32 s11, s11, 32
	s_and_b32 s8, s62, 0xffff
	s_sub_i32 s12, s11, 29
	s_lshl_b32 s8, s8, s12
	s_and_b32 s59, s62, 0xff
	s_bfe_u32 s60, s62, 0x80008
	s_bfe_u32 s10, s62, 0x50002
	s_sub_i32 s11, 30, s11
	s_and_b32 s8, s8, 3
	s_cmp_eq_u32 s10, 0
	s_cselect_b32 s10, s11, s10
	s_cselect_b32 s8, s8, s9
	s_lshl_b32 s9, s62, 24
	s_lshl_b32 s10, s10, 23
	s_and_b32 s9, s9, 0x80000000
	s_add_i32 s10, s10, 0x37800000
	s_lshl_b32 s8, s8, 21
	s_or_b32 s9, s9, s10
	s_or_b32 s61, s9, s8
	v_trunc_f32_e32 v0, s61
	v_mul_f32_e32 v1, 0x2f800000, v0
	s_mov_b32 s11, 0x2f800000
	v_floor_f32_e32 v1, v1
	v_mov_b32_e32 v2, v0
	v_fmac_f32_e32 v2, 0xcf800000, v1
	v_cvt_u32_f32_e32 v9, v1
	v_mul_f32_e64 v1, |v0|, s11
	s_mov_b32 s12, 0xcf800000
	v_floor_f32_e32 v1, v1
	v_cvt_u32_f32_e32 v8, v2
	v_fma_f32 v2, v1, s12, |v0|
	v_cvt_u32_f32_e32 v2, v2
	v_cvt_u32_f32_e32 v1, v1
	v_ashrrev_i32_e32 v0, 31, v0
	v_cvt_u32_f32_e32 v16, s61
	s_or_b32 s63, s8, s10
	v_cvt_f64_f32_e32 v[6:7], s61
	v_cvt_f16_f32_e32 v13, s61
	v_xor_b32_e32 v2, v2, v0
	v_cvt_i32_f32_e32 v12, s61
	s_cmp_lg_u32 s59, 0
	v_xor_b32_e32 v1, v1, v0
	v_sub_co_u32_e32 v4, vcc, v2, v0
	s_cselect_b64 s[8:9], -1, 0
	v_subb_co_u32_e32 v5, vcc, v1, v0, vcc
	v_cndmask_b32_e64 v14, 0, 1, s[8:9]
	v_cmp_gt_i32_e32 vcc, s64, v15
	s_mov_b64 s[10:11], -1
	s_mov_b64 s[50:51], 0
	s_mov_b64 s[44:45], 0
	s_and_saveexec_b64 s[46:47], vcc
	s_cbranch_execz .LBB127_303
; %bb.2:
	s_andn2_b64 vcc, exec, s[30:31]
	s_cbranch_vccnz .LBB127_7
; %bb.3:
	s_andn2_b64 vcc, exec, s[42:43]
	s_cbranch_vccnz .LBB127_8
; %bb.4:
	s_add_i32 s53, s65, 1
	s_cmp_eq_u32 s58, 2
	s_cbranch_scc1 .LBB127_9
; %bb.5:
	s_and_b32 s52, s53, 28
	s_mov_b32 s54, 0
	v_mov_b32_e32 v0, 0
	s_mov_b64 s[44:45], s[24:25]
	s_mov_b64 s[48:49], s[40:41]
	v_mov_b32_e32 v1, v15
.LBB127_6:                              ; =>This Inner Loop Header: Depth=1
	s_load_dwordx8 s[8:15], s[44:45], 0x4
	s_load_dwordx4 s[16:19], s[44:45], 0x24
	s_load_dwordx4 s[20:23], s[48:49], 0x0
	s_add_u32 s44, s44, 48
	s_addc_u32 s45, s45, 0
	s_waitcnt lgkmcnt(0)
	v_mul_hi_u32 v2, s9, v1
	s_add_i32 s54, s54, 4
	s_add_u32 s48, s48, 16
	s_addc_u32 s49, s49, 0
	v_add_u32_e32 v2, v1, v2
	v_lshrrev_b32_e32 v2, s10, v2
	v_mul_lo_u32 v3, v2, s8
	v_mul_hi_u32 v10, s12, v2
	s_cmp_lg_u32 s52, s54
	v_sub_u32_e32 v1, v1, v3
	v_add_u32_e32 v3, v2, v10
	v_lshrrev_b32_e32 v3, s13, v3
	v_mul_lo_u32 v10, v1, s20
	v_mul_hi_u32 v1, s15, v3
	v_mul_lo_u32 v17, v3, s11
	v_add_u32_e32 v1, v3, v1
	v_lshrrev_b32_e32 v11, s16, v1
	v_mul_hi_u32 v1, s18, v11
	v_sub_u32_e32 v2, v2, v17
	v_mul_lo_u32 v17, v11, s14
	v_mul_lo_u32 v2, v2, s21
	v_add_u32_e32 v1, v11, v1
	v_lshrrev_b32_e32 v1, s19, v1
	v_mul_lo_u32 v18, v1, s17
	v_sub_u32_e32 v3, v3, v17
	v_mul_lo_u32 v3, v3, s22
	v_add3_u32 v0, v10, v0, v2
	v_sub_u32_e32 v11, v11, v18
	v_mul_lo_u32 v11, v11, s23
	v_add3_u32 v0, v3, v0, v11
	s_cbranch_scc1 .LBB127_6
	s_branch .LBB127_10
.LBB127_7:
                                        ; implicit-def: $vgpr0
	s_branch .LBB127_14
.LBB127_8:
	v_mov_b32_e32 v0, 0
	s_branch .LBB127_13
.LBB127_9:
	v_mov_b32_e32 v0, 0
	s_mov_b32 s52, 0
	v_mov_b32_e32 v1, v15
.LBB127_10:
	s_and_b32 s12, s53, 3
	s_cmp_eq_u32 s12, 0
	s_cbranch_scc1 .LBB127_13
; %bb.11:
	s_lshl_b32 s8, s52, 2
	s_add_u32 s8, s24, s8
	s_addc_u32 s9, s25, 0
	s_add_u32 s8, s8, 0xc4
	s_addc_u32 s9, s9, 0
	s_mul_i32 s10, s52, 12
	s_add_u32 s10, s24, s10
	s_addc_u32 s11, s25, 0
.LBB127_12:                             ; =>This Inner Loop Header: Depth=1
	s_load_dwordx2 s[14:15], s[10:11], 0x4
	s_load_dword s13, s[10:11], 0xc
	s_add_u32 s10, s10, 12
	s_addc_u32 s11, s11, 0
	s_waitcnt lgkmcnt(0)
	v_mul_hi_u32 v2, s15, v1
	s_load_dword s15, s[8:9], 0x0
	s_add_u32 s8, s8, 4
	s_addc_u32 s9, s9, 0
	v_add_u32_e32 v2, v1, v2
	v_lshrrev_b32_e32 v2, s13, v2
	v_mul_lo_u32 v3, v2, s14
	s_add_i32 s12, s12, -1
	s_cmp_lg_u32 s12, 0
	v_sub_u32_e32 v1, v1, v3
	s_waitcnt lgkmcnt(0)
	v_mad_u64_u32 v[0:1], s[14:15], v1, s15, v[0:1]
	v_mov_b32_e32 v1, v2
	s_cbranch_scc1 .LBB127_12
.LBB127_13:
	s_cbranch_execnz .LBB127_16
.LBB127_14:
	v_mul_hi_u32 v0, s1, v15
	s_andn2_b64 vcc, exec, s[38:39]
	v_add_u32_e32 v0, v15, v0
	v_lshrrev_b32_e32 v1, s2, v0
	v_mul_lo_u32 v0, v1, s0
	v_sub_u32_e32 v0, v15, v0
	v_mul_lo_u32 v0, v0, s34
	s_cbranch_vccnz .LBB127_16
; %bb.15:
	v_mul_hi_u32 v2, s36, v1
	v_add_u32_e32 v2, v1, v2
	v_lshrrev_b32_e32 v2, s37, v2
	v_mul_lo_u32 v2, v2, s3
	v_sub_u32_e32 v1, v1, v2
	v_mad_u64_u32 v[0:1], s[8:9], v1, s35, v[0:1]
.LBB127_16:
	v_mov_b32_e32 v1, s7
	s_and_b32 s14, 0xffff, s60
	v_add_co_u32_e32 v10, vcc, s6, v0
	s_cmp_lt_i32 s14, 11
	v_addc_co_u32_e32 v11, vcc, 0, v1, vcc
	s_cbranch_scc1 .LBB127_25
; %bb.17:
	s_cmp_gt_i32 s14, 25
	s_cbranch_scc0 .LBB127_28
; %bb.18:
	s_cmp_gt_i32 s14, 28
	s_cbranch_scc0 .LBB127_29
	;; [unrolled: 3-line block ×4, first 2 shown]
; %bb.21:
	s_mov_b64 s[12:13], 0
	s_mov_b64 s[8:9], -1
	s_cmp_eq_u32 s14, 46
	s_mov_b64 s[10:11], 0
	s_cbranch_scc0 .LBB127_38
; %bb.22:
	s_cmpk_lt_i32 s59, 0x80
	s_cbranch_scc1 .LBB127_34
; %bb.23:
	s_and_b32 s8, 0xffff, s59
	s_cmpk_eq_i32 s8, 0x80
	s_mov_b64 s[8:9], -1
	s_cbranch_scc0 .LBB127_32
; %bb.24:
	s_mov_b64 s[8:9], 0
	s_mov_b32 s15, 0x7f800001
	s_and_b64 vcc, exec, s[10:11]
	s_cbranch_vccz .LBB127_35
	s_branch .LBB127_33
.LBB127_25:
	s_mov_b64 s[8:9], 0
	s_mov_b64 s[10:11], 0
	s_cbranch_execnz .LBB127_172
.LBB127_26:
	s_andn2_b64 vcc, exec, s[10:11]
	s_cbranch_vccnz .LBB127_301
.LBB127_27:
	v_add_u32_e32 v15, 0x80, v15
	s_mov_b64 s[10:11], -1
	s_branch .LBB127_302
.LBB127_28:
	s_mov_b64 s[8:9], 0
	s_mov_b64 s[10:11], 0
	s_cbranch_execnz .LBB127_106
	s_branch .LBB127_171
.LBB127_29:
	s_mov_b64 s[12:13], -1
	s_mov_b64 s[8:9], 0
	s_mov_b64 s[10:11], 0
	s_branch .LBB127_64
.LBB127_30:
	s_mov_b64 s[12:13], -1
	s_mov_b64 s[8:9], 0
	s_mov_b64 s[10:11], 0
	s_branch .LBB127_51
.LBB127_31:
	s_mov_b64 s[12:13], -1
	s_mov_b64 s[8:9], 0
	s_mov_b64 s[10:11], 0
	s_branch .LBB127_38
.LBB127_32:
	s_mov_b32 s15, 0x7f800001
	s_and_b64 vcc, exec, s[10:11]
	s_cbranch_vccz .LBB127_35
.LBB127_33:
	s_and_b32 s8, 0xffff, s59
	s_cmp_lg_u32 s8, 0
	s_mov_b32 s15, 0
	s_cselect_b64 s[8:9], -1, 0
	s_andn2_b64 vcc, exec, s[8:9]
	s_cbranch_vccz .LBB127_36
	s_branch .LBB127_37
.LBB127_34:
	s_mov_b64 s[8:9], 0
	s_mov_b32 s15, 0x7f800001
	s_cbranch_execnz .LBB127_33
.LBB127_35:
	s_andn2_b64 vcc, exec, s[8:9]
	s_cbranch_vccnz .LBB127_37
.LBB127_36:
	s_mov_b32 s15, s61
.LBB127_37:
	s_bfe_u32 s8, s15, 0x10010
	s_add_i32 s8, s15, s8
	s_addk_i32 s8, 0x7fff
	s_lshr_b32 s10, s8, 16
	v_cmp_o_f32_e64 s[8:9], s15, s15
	s_and_b64 s[8:9], s[8:9], exec
	s_cselect_b32 s8, s10, 0x7fc0
	v_mov_b32_e32 v0, s8
	global_store_dword v[10:11], v0, off
	s_mov_b64 s[10:11], -1
	s_mov_b64 s[8:9], 0
.LBB127_38:
	s_and_b64 vcc, exec, s[12:13]
	s_cbranch_vccz .LBB127_50
; %bb.39:
	s_cmp_eq_u32 s14, 44
	s_mov_b64 s[8:9], -1
	s_cbranch_scc0 .LBB127_50
; %bb.40:
	s_cmpk_lt_i32 s59, 0x80
	s_cbranch_scc1 .LBB127_44
; %bb.41:
	s_and_b32 s8, 0xffff, s59
	s_cmpk_eq_i32 s8, 0x80
	s_mov_b64 s[8:9], -1
	s_cbranch_scc0 .LBB127_43
; %bb.42:
	s_mov_b64 s[8:9], 0
.LBB127_43:
	s_mov_b64 s[10:11], 0
	s_branch .LBB127_45
.LBB127_44:
	s_mov_b64 s[10:11], -1
	s_mov_b64 s[8:9], 0
.LBB127_45:
	s_mov_b32 s12, 0x7f800001
	s_and_b64 vcc, exec, s[10:11]
	s_cbranch_vccz .LBB127_55
; %bb.46:
	s_and_b32 s12, 0xffff, s59
	s_cmp_lg_u32 s12, 0
	s_cselect_b64 s[8:9], -1, 0
	s_andn2_b64 vcc, exec, s[8:9]
	s_cbranch_vccz .LBB127_56
.LBB127_47:
	s_lshr_b32 s8, s12, 23
	s_cmpk_eq_i32 s8, 0xff
	v_mov_b32_e32 v0, 0xff
	s_cbranch_scc1 .LBB127_49
.LBB127_48:
	s_bitcmp1_b32 s12, 22
	s_cselect_b64 s[10:11], -1, 0
	s_and_b32 s9, s12, 0x3fffff
	s_or_b32 s9, s8, s9
	s_cmp_lg_u32 s9, 0
	s_cselect_b64 s[12:13], -1, 0
	s_and_b64 s[10:11], s[10:11], s[12:13]
	v_cndmask_b32_e64 v0, 0, 1, s[10:11]
	v_add_u32_e32 v0, s8, v0
.LBB127_49:
	s_mov_b64 s[10:11], -1
	s_mov_b64 s[8:9], 0
	global_store_byte v[10:11], v0, off
.LBB127_50:
	s_mov_b64 s[12:13], 0
.LBB127_51:
	s_and_b64 vcc, exec, s[12:13]
	s_cbranch_vccz .LBB127_63
; %bb.52:
	s_cmp_eq_u32 s14, 29
	s_mov_b64 s[8:9], -1
	s_cbranch_scc0 .LBB127_63
; %bb.53:
	s_cmpk_lt_i32 s59, 0x80
	s_cbranch_scc1 .LBB127_57
; %bb.54:
	s_and_b32 s8, 0xffff, s59
	s_cmpk_lg_i32 s8, 0x80
	s_mov_b64 s[10:11], 0
	s_cselect_b64 s[8:9], -1, 0
	s_branch .LBB127_58
.LBB127_55:
	s_andn2_b64 vcc, exec, s[8:9]
	s_cbranch_vccnz .LBB127_47
.LBB127_56:
	s_mov_b32 s12, s63
	s_lshr_b32 s8, s12, 23
	s_cmpk_eq_i32 s8, 0xff
	v_mov_b32_e32 v0, 0xff
	s_cbranch_scc0 .LBB127_48
	s_branch .LBB127_49
.LBB127_57:
	s_mov_b64 s[10:11], -1
	s_mov_b64 s[8:9], 0
.LBB127_58:
	s_andn2_b64 vcc, exec, s[10:11]
	s_cbranch_vccnz .LBB127_60
; %bb.59:
	s_and_b32 s8, 0xffff, s59
	s_cmp_lg_u32 s8, 0
	s_cselect_b64 s[8:9], -1, 0
.LBB127_60:
	v_mov_b32_e32 v0, 0
	s_andn2_b64 vcc, exec, s[8:9]
	v_mov_b32_e32 v1, 0
	s_cbranch_vccnz .LBB127_62
; %bb.61:
	v_mov_b32_e32 v0, v8
	v_mov_b32_e32 v1, v9
.LBB127_62:
	global_store_dwordx2 v[10:11], v[0:1], off
	s_mov_b64 s[10:11], -1
	s_mov_b64 s[8:9], 0
.LBB127_63:
	s_mov_b64 s[12:13], 0
.LBB127_64:
	s_and_b64 vcc, exec, s[12:13]
	s_cbranch_vccz .LBB127_105
; %bb.65:
	s_cmp_lt_i32 s14, 27
	s_mov_b64 s[10:11], -1
	s_cbranch_scc1 .LBB127_85
; %bb.66:
	s_cmp_gt_i32 s14, 27
	s_cbranch_scc0 .LBB127_75
; %bb.67:
	s_cmpk_lt_i32 s59, 0x80
	s_cbranch_scc1 .LBB127_69
; %bb.68:
	s_and_b32 s10, 0xffff, s59
	s_cmpk_lg_i32 s10, 0x80
	s_mov_b64 s[12:13], 0
	s_cselect_b64 s[10:11], -1, 0
	s_branch .LBB127_70
.LBB127_69:
	s_mov_b64 s[12:13], -1
	s_mov_b64 s[10:11], 0
.LBB127_70:
	s_andn2_b64 vcc, exec, s[12:13]
	s_cbranch_vccnz .LBB127_72
; %bb.71:
	s_and_b32 s10, 0xffff, s59
	s_cmp_lg_u32 s10, 0
	s_cselect_b64 s[10:11], -1, 0
.LBB127_72:
	s_andn2_b64 vcc, exec, s[10:11]
	v_mov_b32_e32 v0, 0
	s_cbranch_vccnz .LBB127_74
; %bb.73:
	v_mov_b32_e32 v0, v16
.LBB127_74:
	global_store_dword v[10:11], v0, off
	s_mov_b64 s[10:11], 0
.LBB127_75:
	s_and_b64 vcc, exec, s[10:11]
	s_cbranch_vccz .LBB127_84
; %bb.76:
	s_cmpk_lt_i32 s59, 0x80
	s_cbranch_scc1 .LBB127_78
; %bb.77:
	s_and_b32 s10, 0xffff, s59
	s_cmpk_lg_i32 s10, 0x80
	s_mov_b64 s[12:13], 0
	s_cselect_b64 s[10:11], -1, 0
	s_branch .LBB127_79
.LBB127_78:
	s_mov_b64 s[12:13], -1
	s_mov_b64 s[10:11], 0
.LBB127_79:
	s_andn2_b64 vcc, exec, s[12:13]
	s_cbranch_vccnz .LBB127_81
; %bb.80:
	s_and_b32 s10, 0xffff, s59
	s_cmp_lg_u32 s10, 0
	s_cselect_b64 s[10:11], -1, 0
.LBB127_81:
	s_andn2_b64 vcc, exec, s[10:11]
	v_mov_b32_e32 v0, 0
	s_cbranch_vccnz .LBB127_83
; %bb.82:
	v_mov_b32_e32 v0, v16
.LBB127_83:
	global_store_short v[10:11], v0, off
.LBB127_84:
	s_mov_b64 s[10:11], 0
.LBB127_85:
	s_andn2_b64 vcc, exec, s[10:11]
	s_cbranch_vccnz .LBB127_104
; %bb.86:
	s_cmpk_lt_i32 s59, 0x80
	s_cbranch_scc1 .LBB127_90
; %bb.87:
	s_and_b32 s10, 0xffff, s59
	s_cmpk_eq_i32 s10, 0x80
	s_mov_b64 s[10:11], -1
	s_cbranch_scc0 .LBB127_89
; %bb.88:
	s_mov_b64 s[10:11], 0
.LBB127_89:
	s_mov_b64 s[12:13], 0
	s_branch .LBB127_91
.LBB127_90:
	s_mov_b64 s[12:13], -1
	s_mov_b64 s[10:11], 0
.LBB127_91:
	s_mov_b32 s15, 0x7f800001
	s_and_b64 vcc, exec, s[12:13]
	s_cbranch_vccz .LBB127_94
; %bb.92:
	s_and_b32 s10, 0xffff, s59
	s_cmp_lg_u32 s10, 0
	s_mov_b32 s15, 0
	s_cselect_b64 s[10:11], -1, 0
	s_andn2_b64 vcc, exec, s[10:11]
	s_cbranch_vccz .LBB127_95
.LBB127_93:
	s_and_b32 s10, s15, 0x7fffffff
	s_cmp_gt_u32 s10, 0x437fffff
	v_mov_b32_e32 v1, 0x80
	s_cbranch_scc0 .LBB127_96
	s_branch .LBB127_103
.LBB127_94:
	s_andn2_b64 vcc, exec, s[10:11]
	s_cbranch_vccnz .LBB127_93
.LBB127_95:
	s_mov_b32 s15, s61
	s_and_b32 s10, s15, 0x7fffffff
	s_cmp_gt_u32 s10, 0x437fffff
	v_mov_b32_e32 v1, 0x80
	s_cbranch_scc1 .LBB127_103
.LBB127_96:
	s_cmp_gt_u32 s10, 0x3bffffff
	s_cbranch_scc0 .LBB127_98
; %bb.97:
	s_bfe_u32 s10, s15, 0x10014
	s_add_i32 s10, s15, s10
	s_add_i32 s10, s10, 0x487ffff
	s_lshr_b32 s16, s10, 20
	s_mov_b64 s[12:13], 0
	s_mov_b64 s[10:11], -1
	s_branch .LBB127_99
.LBB127_98:
	s_mov_b64 s[12:13], -1
	s_mov_b64 s[10:11], 0
                                        ; implicit-def: $sgpr16
.LBB127_99:
	s_andn2_b64 vcc, exec, s[12:13]
	v_mov_b32_e32 v0, s16
	s_cbranch_vccnz .LBB127_101
; %bb.100:
	v_mov_b32_e32 v0, 0x46000000
	v_add_f32_e64 v0, |s15|, v0
	v_and_b32_e32 v0, 0xff, v0
	v_cmp_ne_u32_e64 s[10:11], 0, v0
.LBB127_101:
	s_andn2_b64 vcc, exec, s[10:11]
	v_mov_b32_e32 v1, 0
	s_cbranch_vccnz .LBB127_103
; %bb.102:
	s_lshr_b32 s10, s15, 24
	s_and_b32 s10, s10, 0x80
	v_or_b32_e32 v1, s10, v0
.LBB127_103:
	global_store_byte v[10:11], v1, off
.LBB127_104:
	s_mov_b64 s[10:11], -1
.LBB127_105:
	s_branch .LBB127_171
.LBB127_106:
	s_cmp_gt_i32 s14, 22
	s_mov_b64 s[12:13], -1
	s_cbranch_scc0 .LBB127_154
; %bb.107:
	s_cmp_lt_i32 s14, 24
	s_mov_b64 s[10:11], -1
	s_cbranch_scc1 .LBB127_132
; %bb.108:
	s_cmp_gt_i32 s14, 24
	s_cbranch_scc0 .LBB127_110
; %bb.109:
	v_mov_b32_e32 v0, s62
	global_store_byte v[10:11], v0, off
	s_mov_b64 s[10:11], 0
.LBB127_110:
	s_andn2_b64 vcc, exec, s[10:11]
	s_cbranch_vccnz .LBB127_131
; %bb.111:
	s_cmpk_lt_i32 s59, 0x80
	s_cbranch_scc1 .LBB127_115
; %bb.112:
	s_and_b32 s10, 0xffff, s59
	s_cmpk_eq_i32 s10, 0x80
	s_mov_b64 s[10:11], -1
	s_cbranch_scc0 .LBB127_114
; %bb.113:
	s_mov_b64 s[10:11], 0
.LBB127_114:
	s_mov_b64 s[12:13], 0
	s_branch .LBB127_116
.LBB127_115:
	s_mov_b64 s[10:11], 0
.LBB127_116:
	s_mov_b32 s15, 0x7f800001
	s_and_b64 vcc, exec, s[12:13]
	s_cbranch_vccz .LBB127_121
; %bb.117:
	s_and_b32 s10, 0xffff, s59
	s_cmp_lg_u32 s10, 0
	s_mov_b32 s15, 0
	s_cselect_b64 s[10:11], -1, 0
	s_andn2_b64 vcc, exec, s[10:11]
	s_cbranch_vccz .LBB127_122
.LBB127_118:
	s_and_b32 s12, s15, 0x7fffffff
	s_cmp_lt_u32 s12, 0x43f00000
	s_cbranch_scc0 .LBB127_123
.LBB127_119:
	s_cmp_gt_u32 s12, 0x3c7fffff
	s_cbranch_scc0 .LBB127_124
; %bb.120:
	s_bfe_u32 s10, s15, 0x10014
	s_add_i32 s10, s15, s10
	s_add_i32 s10, s10, 0x407ffff
	s_lshr_b32 s11, s10, 20
	s_and_b32 s10, s10, 0xff00000
	s_cmp_lg_u32 s10, 0x7f00000
	s_cselect_b32 s13, s11, 0x7e
	s_mov_b64 s[10:11], 0
	s_branch .LBB127_125
.LBB127_121:
	s_andn2_b64 vcc, exec, s[10:11]
	s_cbranch_vccnz .LBB127_118
.LBB127_122:
	s_mov_b32 s15, s61
	s_and_b32 s12, s15, 0x7fffffff
	s_cmp_lt_u32 s12, 0x43f00000
	s_cbranch_scc1 .LBB127_119
.LBB127_123:
	s_mov_b64 s[10:11], -1
                                        ; implicit-def: $vgpr0
	s_branch .LBB127_128
.LBB127_124:
	s_mov_b64 s[10:11], -1
                                        ; implicit-def: $sgpr13
.LBB127_125:
	s_andn2_b64 vcc, exec, s[10:11]
	v_mov_b32_e32 v0, s13
	s_cbranch_vccnz .LBB127_127
; %bb.126:
	v_mov_b32_e32 v0, 0x46800000
	v_add_f32_e64 v0, |s15|, v0
.LBB127_127:
	s_mov_b64 s[10:11], 0
.LBB127_128:
	s_andn2_b64 vcc, exec, s[10:11]
	s_cbranch_vccnz .LBB127_130
; %bb.129:
	s_cmp_gt_u32 s12, 0x7f800000
	s_movk_i32 s10, 0x7f
	s_cselect_b32 s10, s10, 0x7e
	v_mov_b32_e32 v0, s10
.LBB127_130:
	s_lshr_b32 s10, s15, 24
	s_and_b32 s10, s10, 0x80
	v_or_b32_e32 v0, s10, v0
	global_store_byte v[10:11], v0, off
.LBB127_131:
	s_mov_b64 s[10:11], 0
.LBB127_132:
	s_andn2_b64 vcc, exec, s[10:11]
	s_cbranch_vccnz .LBB127_153
; %bb.133:
	s_cmpk_lt_i32 s59, 0x80
	s_cbranch_scc1 .LBB127_137
; %bb.134:
	s_and_b32 s10, 0xffff, s59
	s_cmpk_eq_i32 s10, 0x80
	s_mov_b64 s[10:11], -1
	s_cbranch_scc0 .LBB127_136
; %bb.135:
	s_mov_b64 s[10:11], 0
.LBB127_136:
	s_mov_b64 s[12:13], 0
	s_branch .LBB127_138
.LBB127_137:
	s_mov_b64 s[12:13], -1
	s_mov_b64 s[10:11], 0
.LBB127_138:
	s_mov_b32 s15, 0x7f800001
	s_and_b64 vcc, exec, s[12:13]
	s_cbranch_vccz .LBB127_143
; %bb.139:
	s_and_b32 s10, 0xffff, s59
	s_cmp_lg_u32 s10, 0
	s_mov_b32 s15, 0
	s_cselect_b64 s[10:11], -1, 0
	s_andn2_b64 vcc, exec, s[10:11]
	s_cbranch_vccz .LBB127_144
.LBB127_140:
	s_and_b32 s12, s15, 0x7fffffff
	s_cmp_lt_u32 s12, 0x47800000
	s_cbranch_scc0 .LBB127_145
.LBB127_141:
	s_cmp_gt_u32 s12, 0x387fffff
	s_cbranch_scc0 .LBB127_146
; %bb.142:
	s_bfe_u32 s10, s15, 0x10015
	s_add_i32 s10, s15, s10
	s_add_i32 s10, s10, 0x80fffff
	s_lshr_b32 s13, s10, 21
	s_mov_b64 s[10:11], 0
	s_branch .LBB127_147
.LBB127_143:
	s_andn2_b64 vcc, exec, s[10:11]
	s_cbranch_vccnz .LBB127_140
.LBB127_144:
	s_mov_b32 s15, s61
	s_and_b32 s12, s15, 0x7fffffff
	s_cmp_lt_u32 s12, 0x47800000
	s_cbranch_scc1 .LBB127_141
.LBB127_145:
	s_mov_b64 s[10:11], -1
                                        ; implicit-def: $vgpr0
	s_branch .LBB127_150
.LBB127_146:
	s_mov_b64 s[10:11], -1
                                        ; implicit-def: $sgpr13
.LBB127_147:
	s_andn2_b64 vcc, exec, s[10:11]
	v_mov_b32_e32 v0, s13
	s_cbranch_vccnz .LBB127_149
; %bb.148:
	v_mov_b32_e32 v0, 0x43000000
	v_add_f32_e64 v0, |s15|, v0
.LBB127_149:
	s_mov_b64 s[10:11], 0
.LBB127_150:
	s_andn2_b64 vcc, exec, s[10:11]
	s_cbranch_vccnz .LBB127_152
; %bb.151:
	s_cmp_gt_u32 s12, 0x7f800000
	s_movk_i32 s10, 0x7f
	s_cselect_b32 s10, s10, 0x7c
	v_mov_b32_e32 v0, s10
.LBB127_152:
	s_lshr_b32 s10, s15, 24
	s_and_b32 s10, s10, 0x80
	v_or_b32_e32 v0, s10, v0
	global_store_byte v[10:11], v0, off
.LBB127_153:
	s_mov_b64 s[12:13], 0
	s_mov_b64 s[10:11], -1
.LBB127_154:
	s_andn2_b64 vcc, exec, s[12:13]
	s_cbranch_vccnz .LBB127_171
; %bb.155:
	s_cmp_gt_i32 s14, 14
	s_mov_b64 s[12:13], -1
	s_cbranch_scc0 .LBB127_168
; %bb.156:
	s_cmp_eq_u32 s14, 15
	s_mov_b64 s[8:9], -1
	s_cbranch_scc0 .LBB127_167
; %bb.157:
	s_cmpk_lt_i32 s59, 0x80
	s_cbranch_scc1 .LBB127_161
; %bb.158:
	s_and_b32 s8, 0xffff, s59
	s_cmpk_eq_i32 s8, 0x80
	s_mov_b64 s[8:9], -1
	s_cbranch_scc0 .LBB127_160
; %bb.159:
	s_mov_b64 s[8:9], 0
.LBB127_160:
	s_mov_b64 s[10:11], 0
	s_branch .LBB127_162
.LBB127_161:
	s_mov_b64 s[10:11], -1
	s_mov_b64 s[8:9], 0
.LBB127_162:
	s_mov_b32 s12, 0x7f800001
	s_and_b64 vcc, exec, s[10:11]
	s_cbranch_vccz .LBB127_164
; %bb.163:
	s_and_b32 s8, 0xffff, s59
	s_cmp_lg_u32 s8, 0
	s_mov_b32 s12, 0
	s_cselect_b64 s[8:9], -1, 0
.LBB127_164:
	s_andn2_b64 vcc, exec, s[8:9]
	s_cbranch_vccnz .LBB127_166
; %bb.165:
	s_mov_b32 s12, s61
.LBB127_166:
	s_bfe_u32 s8, s12, 0x10010
	s_add_i32 s8, s12, s8
	s_addk_i32 s8, 0x7fff
	s_lshr_b32 s10, s8, 16
	v_cmp_o_f32_e64 s[8:9], s12, s12
	s_and_b64 s[8:9], s[8:9], exec
	s_cselect_b32 s8, s10, 0x7fc0
	v_mov_b32_e32 v0, s8
	global_store_short v[10:11], v0, off
	s_mov_b64 s[10:11], -1
	s_mov_b64 s[8:9], 0
.LBB127_167:
	s_mov_b64 s[12:13], 0
.LBB127_168:
	s_and_b64 vcc, exec, s[12:13]
	s_cbranch_vccz .LBB127_171
; %bb.169:
	s_cmp_eq_u32 s14, 11
	s_mov_b64 s[8:9], -1
	s_cbranch_scc0 .LBB127_171
; %bb.170:
	s_mov_b64 s[10:11], -1
	s_mov_b64 s[8:9], 0
	global_store_byte v[10:11], v14, off
.LBB127_171:
	s_branch .LBB127_26
.LBB127_172:
	s_cmp_lt_i32 s14, 5
	s_mov_b64 s[10:11], -1
	s_cbranch_scc1 .LBB127_249
; %bb.173:
	s_cmp_lt_i32 s14, 8
	s_cbranch_scc1 .LBB127_211
; %bb.174:
	s_cmp_lt_i32 s14, 9
	s_cbranch_scc1 .LBB127_199
; %bb.175:
	s_cmp_gt_i32 s14, 9
	s_cbranch_scc0 .LBB127_187
; %bb.176:
	s_cmpk_lt_i32 s59, 0x80
	s_cbranch_scc1 .LBB127_180
; %bb.177:
	s_and_b32 s10, 0xffff, s59
	s_cmpk_eq_i32 s10, 0x80
	s_mov_b64 s[10:11], -1
	s_cbranch_scc0 .LBB127_179
; %bb.178:
	s_mov_b64 s[10:11], 0
.LBB127_179:
	s_mov_b64 s[12:13], 0
	s_branch .LBB127_181
.LBB127_180:
	s_mov_b64 s[12:13], -1
	s_mov_b64 s[10:11], 0
.LBB127_181:
	s_and_b64 vcc, exec, s[12:13]
	s_cbranch_vccz .LBB127_183
; %bb.182:
	s_and_b32 s10, 0xffff, s59
	s_cmp_lg_u32 s10, 0
	s_mov_b64 s[12:13], 0
	s_cselect_b64 s[10:11], -1, 0
	s_branch .LBB127_184
.LBB127_183:
	s_mov_b32 s13, 0x7ff80000
	s_brev_b32 s12, 4
.LBB127_184:
	v_mov_b32_e32 v0, s12
	s_andn2_b64 vcc, exec, s[10:11]
	v_mov_b32_e32 v1, s13
	s_cbranch_vccnz .LBB127_186
; %bb.185:
	v_mov_b32_e32 v0, v6
	v_mov_b32_e32 v1, v7
.LBB127_186:
	v_mov_b32_e32 v2, 0
	v_mov_b32_e32 v3, v2
	global_store_dwordx4 v[10:11], v[0:3], off
	s_mov_b64 s[10:11], 0
.LBB127_187:
	s_and_b64 vcc, exec, s[10:11]
	s_cbranch_vccz .LBB127_198
; %bb.188:
	s_cmpk_lt_i32 s59, 0x80
	s_cbranch_scc1 .LBB127_192
; %bb.189:
	s_and_b32 s10, 0xffff, s59
	s_cmpk_eq_i32 s10, 0x80
	s_mov_b64 s[10:11], -1
	s_cbranch_scc0 .LBB127_191
; %bb.190:
	s_mov_b64 s[10:11], 0
.LBB127_191:
	s_mov_b64 s[12:13], 0
	s_branch .LBB127_193
.LBB127_192:
	s_mov_b64 s[12:13], -1
	s_mov_b64 s[10:11], 0
.LBB127_193:
	s_mov_b32 s15, 0x7f800001
	s_and_b64 vcc, exec, s[12:13]
	s_cbranch_vccz .LBB127_195
; %bb.194:
	s_and_b32 s15, 0xffff, s59
	s_cmp_lg_u32 s15, 0
	s_cselect_b64 s[10:11], -1, 0
.LBB127_195:
	s_andn2_b64 vcc, exec, s[10:11]
	s_cbranch_vccnz .LBB127_197
; %bb.196:
	s_mov_b32 s15, s61
.LBB127_197:
	v_mov_b32_e32 v0, s15
	v_mov_b32_e32 v1, 0
	global_store_dwordx2 v[10:11], v[0:1], off
.LBB127_198:
	s_mov_b64 s[10:11], 0
.LBB127_199:
	s_andn2_b64 vcc, exec, s[10:11]
	s_cbranch_vccnz .LBB127_210
; %bb.200:
	s_cmpk_lt_i32 s59, 0x80
	s_cbranch_scc1 .LBB127_204
; %bb.201:
	s_and_b32 s10, 0xffff, s59
	s_cmpk_eq_i32 s10, 0x80
	s_mov_b64 s[10:11], -1
	s_cbranch_scc0 .LBB127_203
; %bb.202:
	s_mov_b64 s[10:11], 0
.LBB127_203:
	s_mov_b64 s[12:13], 0
	s_branch .LBB127_205
.LBB127_204:
	s_mov_b64 s[12:13], -1
	s_mov_b64 s[10:11], 0
.LBB127_205:
	s_movk_i32 s15, 0x7e00
	s_and_b64 vcc, exec, s[12:13]
	s_cbranch_vccz .LBB127_207
; %bb.206:
	s_and_b32 s15, 0xffff, s59
	s_cmp_lg_u32 s15, 0
	s_cselect_b64 s[10:11], -1, 0
.LBB127_207:
	s_andn2_b64 vcc, exec, s[10:11]
	v_mov_b32_e32 v0, s15
	s_cbranch_vccnz .LBB127_209
; %bb.208:
	v_mov_b32_e32 v0, v13
.LBB127_209:
	global_store_dword v[10:11], v0, off
.LBB127_210:
	s_mov_b64 s[10:11], 0
.LBB127_211:
	s_andn2_b64 vcc, exec, s[10:11]
	s_cbranch_vccnz .LBB127_248
; %bb.212:
	s_cmp_lt_i32 s14, 6
	s_mov_b64 s[10:11], -1
	s_cbranch_scc1 .LBB127_237
; %bb.213:
	s_cmp_gt_i32 s14, 6
	s_cbranch_scc0 .LBB127_225
; %bb.214:
	s_cmpk_lt_i32 s59, 0x80
	s_cbranch_scc1 .LBB127_218
; %bb.215:
	s_and_b32 s10, 0xffff, s59
	s_cmpk_eq_i32 s10, 0x80
	s_mov_b64 s[10:11], -1
	s_cbranch_scc0 .LBB127_217
; %bb.216:
	s_mov_b64 s[10:11], 0
.LBB127_217:
	s_mov_b64 s[12:13], 0
	s_branch .LBB127_219
.LBB127_218:
	s_mov_b64 s[12:13], -1
	s_mov_b64 s[10:11], 0
.LBB127_219:
	s_and_b64 vcc, exec, s[12:13]
	s_cbranch_vccz .LBB127_221
; %bb.220:
	s_and_b32 s10, 0xffff, s59
	s_cmp_lg_u32 s10, 0
	s_mov_b64 s[12:13], 0
	s_cselect_b64 s[10:11], -1, 0
	s_branch .LBB127_222
.LBB127_221:
	s_mov_b32 s13, 0x7ff80000
	s_brev_b32 s12, 4
.LBB127_222:
	v_mov_b32_e32 v0, s12
	s_andn2_b64 vcc, exec, s[10:11]
	v_mov_b32_e32 v1, s13
	s_cbranch_vccnz .LBB127_224
; %bb.223:
	v_mov_b32_e32 v0, v6
	v_mov_b32_e32 v1, v7
.LBB127_224:
	global_store_dwordx2 v[10:11], v[0:1], off
	s_mov_b64 s[10:11], 0
.LBB127_225:
	s_and_b64 vcc, exec, s[10:11]
	s_cbranch_vccz .LBB127_236
; %bb.226:
	s_cmpk_lt_i32 s59, 0x80
	s_cbranch_scc1 .LBB127_230
; %bb.227:
	s_and_b32 s10, 0xffff, s59
	s_cmpk_eq_i32 s10, 0x80
	s_mov_b64 s[10:11], -1
	s_cbranch_scc0 .LBB127_229
; %bb.228:
	s_mov_b64 s[10:11], 0
.LBB127_229:
	s_mov_b64 s[12:13], 0
	s_branch .LBB127_231
.LBB127_230:
	s_mov_b64 s[12:13], -1
	s_mov_b64 s[10:11], 0
.LBB127_231:
	s_mov_b32 s15, 0x7f800001
	s_and_b64 vcc, exec, s[12:13]
	s_cbranch_vccz .LBB127_233
; %bb.232:
	s_and_b32 s10, 0xffff, s59
	s_cmp_lg_u32 s10, 0
	s_mov_b32 s15, 0
	s_cselect_b64 s[10:11], -1, 0
.LBB127_233:
	s_andn2_b64 vcc, exec, s[10:11]
	s_cbranch_vccnz .LBB127_235
; %bb.234:
	s_mov_b32 s15, s61
.LBB127_235:
	v_mov_b32_e32 v0, s15
	global_store_dword v[10:11], v0, off
.LBB127_236:
	s_mov_b64 s[10:11], 0
.LBB127_237:
	s_andn2_b64 vcc, exec, s[10:11]
	s_cbranch_vccnz .LBB127_248
; %bb.238:
	s_cmpk_lt_i32 s59, 0x80
	s_cbranch_scc1 .LBB127_242
; %bb.239:
	s_and_b32 s10, 0xffff, s59
	s_cmpk_eq_i32 s10, 0x80
	s_mov_b64 s[10:11], -1
	s_cbranch_scc0 .LBB127_241
; %bb.240:
	s_mov_b64 s[10:11], 0
.LBB127_241:
	s_mov_b64 s[12:13], 0
	s_branch .LBB127_243
.LBB127_242:
	s_mov_b64 s[12:13], -1
	s_mov_b64 s[10:11], 0
.LBB127_243:
	s_movk_i32 s15, 0x7e00
	s_and_b64 vcc, exec, s[12:13]
	s_cbranch_vccz .LBB127_245
; %bb.244:
	s_and_b32 s10, 0xffff, s59
	s_cmp_lg_u32 s10, 0
	s_cselect_b64 s[10:11], -1, 0
	s_mov_b32 s15, s59
.LBB127_245:
	s_andn2_b64 vcc, exec, s[10:11]
	v_mov_b32_e32 v0, s15
	s_cbranch_vccnz .LBB127_247
; %bb.246:
	v_mov_b32_e32 v0, v13
.LBB127_247:
	global_store_short v[10:11], v0, off
.LBB127_248:
	s_mov_b64 s[10:11], 0
.LBB127_249:
	s_andn2_b64 vcc, exec, s[10:11]
	s_cbranch_vccnz .LBB127_300
; %bb.250:
	s_cmp_lt_i32 s14, 2
	s_mov_b64 s[10:11], -1
	s_cbranch_scc1 .LBB127_281
; %bb.251:
	s_cmp_lt_i32 s14, 3
	s_cbranch_scc1 .LBB127_271
; %bb.252:
	s_cmp_gt_i32 s14, 3
	s_cbranch_scc0 .LBB127_261
; %bb.253:
	s_cmpk_lt_i32 s59, 0x80
	s_cbranch_scc1 .LBB127_255
; %bb.254:
	s_and_b32 s10, 0xffff, s59
	s_cmpk_lg_i32 s10, 0x80
	s_mov_b64 s[12:13], 0
	s_cselect_b64 s[10:11], -1, 0
	s_branch .LBB127_256
.LBB127_255:
	s_mov_b64 s[12:13], -1
	s_mov_b64 s[10:11], 0
.LBB127_256:
	s_andn2_b64 vcc, exec, s[12:13]
	s_cbranch_vccnz .LBB127_258
; %bb.257:
	s_and_b32 s10, 0xffff, s59
	s_cmp_lg_u32 s10, 0
	s_cselect_b64 s[10:11], -1, 0
.LBB127_258:
	v_mov_b32_e32 v0, 0
	s_andn2_b64 vcc, exec, s[10:11]
	v_mov_b32_e32 v1, 0
	s_cbranch_vccnz .LBB127_260
; %bb.259:
	v_mov_b32_e32 v0, v4
	v_mov_b32_e32 v1, v5
.LBB127_260:
	global_store_dwordx2 v[10:11], v[0:1], off
	s_mov_b64 s[10:11], 0
.LBB127_261:
	s_and_b64 vcc, exec, s[10:11]
	s_cbranch_vccz .LBB127_270
; %bb.262:
	s_cmpk_lt_i32 s59, 0x80
	s_cbranch_scc1 .LBB127_264
; %bb.263:
	s_and_b32 s10, 0xffff, s59
	s_cmpk_lg_i32 s10, 0x80
	s_mov_b64 s[12:13], 0
	s_cselect_b64 s[10:11], -1, 0
	s_branch .LBB127_265
.LBB127_264:
	s_mov_b64 s[12:13], -1
	s_mov_b64 s[10:11], 0
.LBB127_265:
	s_andn2_b64 vcc, exec, s[12:13]
	s_cbranch_vccnz .LBB127_267
; %bb.266:
	s_and_b32 s10, 0xffff, s59
	s_cmp_lg_u32 s10, 0
	s_cselect_b64 s[10:11], -1, 0
.LBB127_267:
	s_andn2_b64 vcc, exec, s[10:11]
	v_mov_b32_e32 v0, 0
	s_cbranch_vccnz .LBB127_269
; %bb.268:
	v_mov_b32_e32 v0, v12
.LBB127_269:
	global_store_dword v[10:11], v0, off
.LBB127_270:
	s_mov_b64 s[10:11], 0
.LBB127_271:
	s_andn2_b64 vcc, exec, s[10:11]
	s_cbranch_vccnz .LBB127_280
; %bb.272:
	s_cmpk_lt_i32 s59, 0x80
	s_cbranch_scc1 .LBB127_274
; %bb.273:
	s_and_b32 s10, 0xffff, s59
	s_cmpk_lg_i32 s10, 0x80
	s_mov_b64 s[12:13], 0
	s_cselect_b64 s[10:11], -1, 0
	s_branch .LBB127_275
.LBB127_274:
	s_mov_b64 s[12:13], -1
	s_mov_b64 s[10:11], 0
.LBB127_275:
	s_andn2_b64 vcc, exec, s[12:13]
	s_cbranch_vccnz .LBB127_277
; %bb.276:
	s_and_b32 s10, 0xffff, s59
	s_cmp_lg_u32 s10, 0
	s_cselect_b64 s[10:11], -1, 0
.LBB127_277:
	s_andn2_b64 vcc, exec, s[10:11]
	v_mov_b32_e32 v0, 0
	s_cbranch_vccnz .LBB127_279
; %bb.278:
	v_mov_b32_e32 v0, v12
.LBB127_279:
	global_store_short v[10:11], v0, off
.LBB127_280:
	s_mov_b64 s[10:11], 0
.LBB127_281:
	s_andn2_b64 vcc, exec, s[10:11]
	s_cbranch_vccnz .LBB127_300
; %bb.282:
	s_cmp_gt_i32 s14, 0
	s_mov_b64 s[10:11], -1
	s_cbranch_scc0 .LBB127_291
; %bb.283:
	s_cmpk_lt_i32 s59, 0x80
	s_cbranch_scc1 .LBB127_285
; %bb.284:
	s_and_b32 s10, 0xffff, s59
	s_cmpk_lg_i32 s10, 0x80
	s_mov_b64 s[12:13], 0
	s_cselect_b64 s[10:11], -1, 0
	s_branch .LBB127_286
.LBB127_285:
	s_mov_b64 s[12:13], -1
	s_mov_b64 s[10:11], 0
.LBB127_286:
	s_andn2_b64 vcc, exec, s[12:13]
	s_cbranch_vccnz .LBB127_288
; %bb.287:
	s_and_b32 s10, 0xffff, s59
	s_cmp_lg_u32 s10, 0
	s_cselect_b64 s[10:11], -1, 0
.LBB127_288:
	s_andn2_b64 vcc, exec, s[10:11]
	v_mov_b32_e32 v0, 0
	s_cbranch_vccnz .LBB127_290
; %bb.289:
	v_mov_b32_e32 v0, v12
.LBB127_290:
	global_store_byte v[10:11], v0, off
	s_mov_b64 s[10:11], 0
.LBB127_291:
	s_and_b64 vcc, exec, s[10:11]
	s_cbranch_vccz .LBB127_300
; %bb.292:
	s_cmpk_lt_i32 s59, 0x80
	s_cbranch_scc1 .LBB127_294
; %bb.293:
	s_and_b32 s10, 0xffff, s59
	s_cmpk_lg_i32 s10, 0x80
	s_mov_b64 s[12:13], 0
	s_cselect_b64 s[10:11], -1, 0
	s_branch .LBB127_295
.LBB127_294:
	s_mov_b64 s[12:13], -1
	s_mov_b64 s[10:11], 0
.LBB127_295:
	s_andn2_b64 vcc, exec, s[12:13]
	s_cbranch_vccnz .LBB127_297
; %bb.296:
	s_and_b32 s10, 0xffff, s59
	s_cmp_lg_u32 s10, 0
	s_cselect_b64 s[10:11], -1, 0
.LBB127_297:
	s_andn2_b64 vcc, exec, s[10:11]
	v_mov_b32_e32 v0, 0
	s_cbranch_vccnz .LBB127_299
; %bb.298:
	v_mov_b32_e32 v0, v4
.LBB127_299:
	global_store_byte v[10:11], v0, off
.LBB127_300:
	s_branch .LBB127_27
.LBB127_301:
	s_mov_b64 s[10:11], 0
                                        ; implicit-def: $vgpr15
.LBB127_302:
	s_and_b64 s[44:45], s[8:9], exec
	s_orn2_b64 s[10:11], s[10:11], exec
.LBB127_303:
	s_or_b64 exec, exec, s[46:47]
	s_mov_b64 s[8:9], 0
                                        ; implicit-def: $vgpr10_vgpr11
	s_and_saveexec_b64 s[46:47], s[10:11]
	s_cbranch_execz .LBB127_310
; %bb.304:
	v_cmp_gt_i32_e32 vcc, s64, v15
	s_mov_b64 s[8:9], -1
	s_mov_b64 s[48:49], s[44:45]
	s_and_saveexec_b64 s[50:51], vcc
	s_cbranch_execz .LBB127_610
; %bb.305:
	s_andn2_b64 vcc, exec, s[30:31]
	s_cbranch_vccnz .LBB127_313
; %bb.306:
	s_andn2_b64 vcc, exec, s[42:43]
	s_cbranch_vccnz .LBB127_314
; %bb.307:
	s_add_i32 s55, s65, 1
	s_cmp_eq_u32 s58, 2
	s_cbranch_scc1 .LBB127_315
; %bb.308:
	s_and_b32 s54, s55, 28
	s_mov_b32 s56, 0
	v_mov_b32_e32 v0, 0
	s_mov_b64 s[48:49], s[24:25]
	s_mov_b64 s[52:53], s[40:41]
	v_mov_b32_e32 v1, v15
.LBB127_309:                            ; =>This Inner Loop Header: Depth=1
	s_load_dwordx8 s[8:15], s[48:49], 0x4
	s_load_dwordx4 s[16:19], s[48:49], 0x24
	s_load_dwordx4 s[20:23], s[52:53], 0x0
	s_add_u32 s48, s48, 48
	s_addc_u32 s49, s49, 0
	s_waitcnt lgkmcnt(0)
	v_mul_hi_u32 v2, s9, v1
	s_add_i32 s56, s56, 4
	s_add_u32 s52, s52, 16
	s_addc_u32 s53, s53, 0
	v_add_u32_e32 v2, v1, v2
	v_lshrrev_b32_e32 v2, s10, v2
	v_mul_lo_u32 v3, v2, s8
	v_mul_hi_u32 v10, s12, v2
	s_cmp_eq_u32 s54, s56
	v_sub_u32_e32 v1, v1, v3
	v_add_u32_e32 v3, v2, v10
	v_lshrrev_b32_e32 v3, s13, v3
	v_mul_lo_u32 v10, v1, s20
	v_mul_hi_u32 v1, s15, v3
	v_mul_lo_u32 v17, v3, s11
	v_add_u32_e32 v1, v3, v1
	v_lshrrev_b32_e32 v11, s16, v1
	v_mul_hi_u32 v1, s18, v11
	v_sub_u32_e32 v2, v2, v17
	v_mul_lo_u32 v17, v11, s14
	v_mul_lo_u32 v2, v2, s21
	v_add_u32_e32 v1, v11, v1
	v_lshrrev_b32_e32 v1, s19, v1
	v_mul_lo_u32 v18, v1, s17
	v_sub_u32_e32 v3, v3, v17
	v_mul_lo_u32 v3, v3, s22
	v_add3_u32 v0, v10, v0, v2
	v_sub_u32_e32 v11, v11, v18
	v_mul_lo_u32 v11, v11, s23
	v_add3_u32 v0, v3, v0, v11
	s_cbranch_scc0 .LBB127_309
	s_branch .LBB127_316
.LBB127_310:
	s_or_b64 exec, exec, s[46:47]
	s_mov_b64 s[0:1], 0
	s_and_saveexec_b64 s[2:3], s[44:45]
	s_cbranch_execnz .LBB127_1087
.LBB127_311:
	s_or_b64 exec, exec, s[2:3]
	s_and_saveexec_b64 s[2:3], s[50:51]
	s_xor_b64 s[2:3], exec, s[2:3]
	s_cbranch_execz .LBB127_1088
.LBB127_312:
	global_store_byte v[10:11], v14, off
	s_or_b64 exec, exec, s[2:3]
	s_and_saveexec_b64 s[2:3], s[8:9]
	s_xor_b64 s[2:3], exec, s[2:3]
	s_cbranch_execz .LBB127_1217
	s_branch .LBB127_1089
.LBB127_313:
                                        ; implicit-def: $vgpr0
	s_andn2_b64 vcc, exec, s[8:9]
	s_cbranch_vccz .LBB127_320
	s_branch .LBB127_322
.LBB127_314:
	v_mov_b32_e32 v0, 0
	s_branch .LBB127_319
.LBB127_315:
	v_mov_b32_e32 v0, 0
	s_mov_b32 s54, 0
	v_mov_b32_e32 v1, v15
.LBB127_316:
	s_and_b32 s12, s55, 3
	s_cmp_eq_u32 s12, 0
	s_cbranch_scc1 .LBB127_319
; %bb.317:
	s_lshl_b32 s8, s54, 2
	s_add_u32 s8, s24, s8
	s_addc_u32 s9, s25, 0
	s_add_u32 s8, s8, 0xc4
	s_addc_u32 s9, s9, 0
	s_mul_i32 s10, s54, 12
	s_add_u32 s10, s24, s10
	s_addc_u32 s11, s25, 0
.LBB127_318:                            ; =>This Inner Loop Header: Depth=1
	s_load_dwordx2 s[14:15], s[10:11], 0x4
	s_load_dword s13, s[10:11], 0xc
	s_add_u32 s10, s10, 12
	s_addc_u32 s11, s11, 0
	s_waitcnt lgkmcnt(0)
	v_mul_hi_u32 v2, s15, v1
	s_load_dword s15, s[8:9], 0x0
	s_add_u32 s8, s8, 4
	s_addc_u32 s9, s9, 0
	v_add_u32_e32 v2, v1, v2
	v_lshrrev_b32_e32 v2, s13, v2
	v_mul_lo_u32 v3, v2, s14
	s_add_i32 s12, s12, -1
	s_cmp_lg_u32 s12, 0
	v_sub_u32_e32 v1, v1, v3
	s_waitcnt lgkmcnt(0)
	v_mad_u64_u32 v[0:1], s[14:15], v1, s15, v[0:1]
	v_mov_b32_e32 v1, v2
	s_cbranch_scc1 .LBB127_318
.LBB127_319:
	s_cbranch_execnz .LBB127_322
.LBB127_320:
	v_mul_hi_u32 v0, s1, v15
	s_andn2_b64 vcc, exec, s[38:39]
	v_add_u32_e32 v0, v15, v0
	v_lshrrev_b32_e32 v1, s2, v0
	v_mul_lo_u32 v0, v1, s0
	v_sub_u32_e32 v0, v15, v0
	v_mul_lo_u32 v0, v0, s34
	s_cbranch_vccnz .LBB127_322
; %bb.321:
	v_mul_hi_u32 v2, s36, v1
	v_add_u32_e32 v2, v1, v2
	v_lshrrev_b32_e32 v2, s37, v2
	v_mul_lo_u32 v2, v2, s3
	v_sub_u32_e32 v1, v1, v2
	v_mad_u64_u32 v[0:1], s[8:9], v1, s35, v[0:1]
.LBB127_322:
	v_mov_b32_e32 v1, s7
	s_and_b32 s14, 0xffff, s60
	v_add_co_u32_e32 v10, vcc, s6, v0
	s_cmp_lt_i32 s14, 11
	v_addc_co_u32_e32 v11, vcc, 0, v1, vcc
	s_cbranch_scc1 .LBB127_331
; %bb.323:
	s_cmp_gt_i32 s14, 25
	s_cbranch_scc0 .LBB127_334
; %bb.324:
	s_cmp_gt_i32 s14, 28
	s_cbranch_scc0 .LBB127_335
	;; [unrolled: 3-line block ×4, first 2 shown]
; %bb.327:
	s_mov_b64 s[12:13], 0
	s_mov_b64 s[8:9], -1
	s_cmp_eq_u32 s14, 46
	s_mov_b64 s[10:11], 0
	s_cbranch_scc0 .LBB127_344
; %bb.328:
	s_cmpk_lt_i32 s59, 0x80
	s_cbranch_scc1 .LBB127_340
; %bb.329:
	s_and_b32 s8, 0xffff, s59
	s_cmpk_eq_i32 s8, 0x80
	s_mov_b64 s[8:9], -1
	s_cbranch_scc0 .LBB127_338
; %bb.330:
	s_mov_b64 s[8:9], 0
	s_mov_b32 s15, 0x7f800001
	s_and_b64 vcc, exec, s[10:11]
	s_cbranch_vccz .LBB127_341
	s_branch .LBB127_339
.LBB127_331:
	s_mov_b64 s[10:11], 0
	s_mov_b64 s[8:9], s[44:45]
	s_cbranch_execnz .LBB127_479
.LBB127_332:
	s_andn2_b64 vcc, exec, s[10:11]
	s_cbranch_vccnz .LBB127_608
.LBB127_333:
	v_add_u32_e32 v15, 0x80, v15
	s_mov_b64 s[10:11], -1
	s_branch .LBB127_609
.LBB127_334:
	s_mov_b64 s[12:13], -1
	s_mov_b64 s[10:11], 0
	s_mov_b64 s[8:9], s[44:45]
	s_branch .LBB127_412
.LBB127_335:
	s_mov_b64 s[12:13], -1
	s_mov_b64 s[10:11], 0
	s_mov_b64 s[8:9], s[44:45]
	s_branch .LBB127_370
.LBB127_336:
	s_mov_b64 s[12:13], -1
	s_mov_b64 s[10:11], 0
	s_mov_b64 s[8:9], s[44:45]
	s_branch .LBB127_357
.LBB127_337:
	s_mov_b64 s[12:13], -1
	s_mov_b64 s[10:11], 0
	s_mov_b64 s[8:9], s[44:45]
	s_branch .LBB127_344
.LBB127_338:
	s_mov_b32 s15, 0x7f800001
	s_and_b64 vcc, exec, s[10:11]
	s_cbranch_vccz .LBB127_341
.LBB127_339:
	s_and_b32 s8, 0xffff, s59
	s_cmp_lg_u32 s8, 0
	s_mov_b32 s15, 0
	s_cselect_b64 s[8:9], -1, 0
	s_andn2_b64 vcc, exec, s[8:9]
	s_cbranch_vccz .LBB127_342
	s_branch .LBB127_343
.LBB127_340:
	s_mov_b64 s[8:9], 0
	s_mov_b32 s15, 0x7f800001
	s_cbranch_execnz .LBB127_339
.LBB127_341:
	s_andn2_b64 vcc, exec, s[8:9]
	s_cbranch_vccnz .LBB127_343
.LBB127_342:
	s_mov_b32 s15, s61
.LBB127_343:
	s_bfe_u32 s8, s15, 0x10010
	s_add_i32 s8, s15, s8
	s_addk_i32 s8, 0x7fff
	s_lshr_b32 s10, s8, 16
	v_cmp_o_f32_e64 s[8:9], s15, s15
	s_and_b64 s[8:9], s[8:9], exec
	s_cselect_b32 s8, s10, 0x7fc0
	v_mov_b32_e32 v0, s8
	global_store_dword v[10:11], v0, off
	s_mov_b64 s[10:11], -1
	s_mov_b64 s[8:9], 0
.LBB127_344:
	s_and_b64 vcc, exec, s[12:13]
	s_cbranch_vccz .LBB127_356
; %bb.345:
	s_cmp_eq_u32 s14, 44
	s_mov_b64 s[8:9], -1
	s_cbranch_scc0 .LBB127_356
; %bb.346:
	s_cmpk_lt_i32 s59, 0x80
	s_cbranch_scc1 .LBB127_350
; %bb.347:
	s_and_b32 s8, 0xffff, s59
	s_cmpk_eq_i32 s8, 0x80
	s_mov_b64 s[8:9], -1
	s_cbranch_scc0 .LBB127_349
; %bb.348:
	s_mov_b64 s[8:9], 0
.LBB127_349:
	s_mov_b64 s[10:11], 0
	s_branch .LBB127_351
.LBB127_350:
	s_mov_b64 s[10:11], -1
	s_mov_b64 s[8:9], 0
.LBB127_351:
	s_mov_b32 s12, 0x7f800001
	s_and_b64 vcc, exec, s[10:11]
	s_cbranch_vccz .LBB127_361
; %bb.352:
	s_and_b32 s12, 0xffff, s59
	s_cmp_lg_u32 s12, 0
	s_cselect_b64 s[8:9], -1, 0
	s_andn2_b64 vcc, exec, s[8:9]
	s_cbranch_vccz .LBB127_362
.LBB127_353:
	s_lshr_b32 s8, s12, 23
	s_cmpk_eq_i32 s8, 0xff
	v_mov_b32_e32 v0, 0xff
	s_cbranch_scc1 .LBB127_355
.LBB127_354:
	s_bitcmp1_b32 s12, 22
	s_cselect_b64 s[10:11], -1, 0
	s_and_b32 s9, s12, 0x3fffff
	s_or_b32 s9, s8, s9
	s_cmp_lg_u32 s9, 0
	s_cselect_b64 s[12:13], -1, 0
	s_and_b64 s[10:11], s[10:11], s[12:13]
	v_cndmask_b32_e64 v0, 0, 1, s[10:11]
	v_add_u32_e32 v0, s8, v0
.LBB127_355:
	s_mov_b64 s[10:11], -1
	s_mov_b64 s[8:9], 0
	global_store_byte v[10:11], v0, off
.LBB127_356:
	s_mov_b64 s[12:13], 0
.LBB127_357:
	s_and_b64 vcc, exec, s[12:13]
	s_cbranch_vccz .LBB127_369
; %bb.358:
	s_cmp_eq_u32 s14, 29
	s_mov_b64 s[8:9], -1
	s_cbranch_scc0 .LBB127_369
; %bb.359:
	s_cmpk_lt_i32 s59, 0x80
	s_cbranch_scc1 .LBB127_363
; %bb.360:
	s_and_b32 s8, 0xffff, s59
	s_cmpk_lg_i32 s8, 0x80
	s_mov_b64 s[10:11], 0
	s_cselect_b64 s[8:9], -1, 0
	s_branch .LBB127_364
.LBB127_361:
	s_andn2_b64 vcc, exec, s[8:9]
	s_cbranch_vccnz .LBB127_353
.LBB127_362:
	s_mov_b32 s12, s63
	s_lshr_b32 s8, s12, 23
	s_cmpk_eq_i32 s8, 0xff
	v_mov_b32_e32 v0, 0xff
	s_cbranch_scc0 .LBB127_354
	s_branch .LBB127_355
.LBB127_363:
	s_mov_b64 s[10:11], -1
	s_mov_b64 s[8:9], 0
.LBB127_364:
	s_andn2_b64 vcc, exec, s[10:11]
	s_cbranch_vccnz .LBB127_366
; %bb.365:
	s_and_b32 s8, 0xffff, s59
	s_cmp_lg_u32 s8, 0
	s_cselect_b64 s[8:9], -1, 0
.LBB127_366:
	v_mov_b32_e32 v0, 0
	s_andn2_b64 vcc, exec, s[8:9]
	v_mov_b32_e32 v1, 0
	s_cbranch_vccnz .LBB127_368
; %bb.367:
	v_mov_b32_e32 v0, v8
	v_mov_b32_e32 v1, v9
.LBB127_368:
	global_store_dwordx2 v[10:11], v[0:1], off
	s_mov_b64 s[10:11], -1
	s_mov_b64 s[8:9], 0
.LBB127_369:
	s_mov_b64 s[12:13], 0
.LBB127_370:
	s_and_b64 vcc, exec, s[12:13]
	s_cbranch_vccz .LBB127_411
; %bb.371:
	s_cmp_lt_i32 s14, 27
	s_mov_b64 s[10:11], -1
	s_cbranch_scc1 .LBB127_391
; %bb.372:
	s_cmp_gt_i32 s14, 27
	s_cbranch_scc0 .LBB127_381
; %bb.373:
	s_cmpk_lt_i32 s59, 0x80
	s_cbranch_scc1 .LBB127_375
; %bb.374:
	s_and_b32 s10, 0xffff, s59
	s_cmpk_lg_i32 s10, 0x80
	s_mov_b64 s[12:13], 0
	s_cselect_b64 s[10:11], -1, 0
	s_branch .LBB127_376
.LBB127_375:
	s_mov_b64 s[12:13], -1
	s_mov_b64 s[10:11], 0
.LBB127_376:
	s_andn2_b64 vcc, exec, s[12:13]
	s_cbranch_vccnz .LBB127_378
; %bb.377:
	s_and_b32 s10, 0xffff, s59
	s_cmp_lg_u32 s10, 0
	s_cselect_b64 s[10:11], -1, 0
.LBB127_378:
	s_andn2_b64 vcc, exec, s[10:11]
	v_mov_b32_e32 v0, 0
	s_cbranch_vccnz .LBB127_380
; %bb.379:
	v_mov_b32_e32 v0, v16
.LBB127_380:
	global_store_dword v[10:11], v0, off
	s_mov_b64 s[10:11], 0
.LBB127_381:
	s_and_b64 vcc, exec, s[10:11]
	s_cbranch_vccz .LBB127_390
; %bb.382:
	s_cmpk_lt_i32 s59, 0x80
	s_cbranch_scc1 .LBB127_384
; %bb.383:
	s_and_b32 s10, 0xffff, s59
	s_cmpk_lg_i32 s10, 0x80
	s_mov_b64 s[12:13], 0
	s_cselect_b64 s[10:11], -1, 0
	s_branch .LBB127_385
.LBB127_384:
	s_mov_b64 s[12:13], -1
	s_mov_b64 s[10:11], 0
.LBB127_385:
	s_andn2_b64 vcc, exec, s[12:13]
	s_cbranch_vccnz .LBB127_387
; %bb.386:
	s_and_b32 s10, 0xffff, s59
	s_cmp_lg_u32 s10, 0
	s_cselect_b64 s[10:11], -1, 0
.LBB127_387:
	s_andn2_b64 vcc, exec, s[10:11]
	v_mov_b32_e32 v0, 0
	s_cbranch_vccnz .LBB127_389
; %bb.388:
	v_mov_b32_e32 v0, v16
.LBB127_389:
	global_store_short v[10:11], v0, off
.LBB127_390:
	s_mov_b64 s[10:11], 0
.LBB127_391:
	s_andn2_b64 vcc, exec, s[10:11]
	s_cbranch_vccnz .LBB127_410
; %bb.392:
	s_cmpk_lt_i32 s59, 0x80
	s_cbranch_scc1 .LBB127_396
; %bb.393:
	s_and_b32 s10, 0xffff, s59
	s_cmpk_eq_i32 s10, 0x80
	s_mov_b64 s[10:11], -1
	s_cbranch_scc0 .LBB127_395
; %bb.394:
	s_mov_b64 s[10:11], 0
.LBB127_395:
	s_mov_b64 s[12:13], 0
	s_branch .LBB127_397
.LBB127_396:
	s_mov_b64 s[12:13], -1
	s_mov_b64 s[10:11], 0
.LBB127_397:
	s_mov_b32 s15, 0x7f800001
	s_and_b64 vcc, exec, s[12:13]
	s_cbranch_vccz .LBB127_400
; %bb.398:
	s_and_b32 s10, 0xffff, s59
	s_cmp_lg_u32 s10, 0
	s_mov_b32 s15, 0
	s_cselect_b64 s[10:11], -1, 0
	s_andn2_b64 vcc, exec, s[10:11]
	s_cbranch_vccz .LBB127_401
.LBB127_399:
	s_and_b32 s10, s15, 0x7fffffff
	s_cmp_gt_u32 s10, 0x437fffff
	v_mov_b32_e32 v1, 0x80
	s_cbranch_scc0 .LBB127_402
	s_branch .LBB127_409
.LBB127_400:
	s_andn2_b64 vcc, exec, s[10:11]
	s_cbranch_vccnz .LBB127_399
.LBB127_401:
	s_mov_b32 s15, s61
	s_and_b32 s10, s15, 0x7fffffff
	s_cmp_gt_u32 s10, 0x437fffff
	v_mov_b32_e32 v1, 0x80
	s_cbranch_scc1 .LBB127_409
.LBB127_402:
	s_cmp_lt_u32 s10, 0x3c000000
	s_cbranch_scc1 .LBB127_404
; %bb.403:
	s_bfe_u32 s10, s15, 0x10014
	s_add_i32 s10, s15, s10
	s_add_i32 s10, s10, 0x487ffff
	s_lshr_b32 s16, s10, 20
	s_mov_b64 s[12:13], 0
	s_mov_b64 s[10:11], -1
	s_branch .LBB127_405
.LBB127_404:
	s_mov_b64 s[12:13], -1
	s_mov_b64 s[10:11], 0
                                        ; implicit-def: $sgpr16
.LBB127_405:
	s_andn2_b64 vcc, exec, s[12:13]
	v_mov_b32_e32 v0, s16
	s_cbranch_vccnz .LBB127_407
; %bb.406:
	v_mov_b32_e32 v0, 0x46000000
	v_add_f32_e64 v0, |s15|, v0
	v_and_b32_e32 v0, 0xff, v0
	v_cmp_ne_u32_e64 s[10:11], 0, v0
.LBB127_407:
	s_andn2_b64 vcc, exec, s[10:11]
	v_mov_b32_e32 v1, 0
	s_cbranch_vccnz .LBB127_409
; %bb.408:
	s_lshr_b32 s10, s15, 24
	s_and_b32 s10, s10, 0x80
	v_or_b32_e32 v1, s10, v0
.LBB127_409:
	global_store_byte v[10:11], v1, off
.LBB127_410:
	s_mov_b64 s[10:11], -1
.LBB127_411:
	s_mov_b64 s[12:13], 0
.LBB127_412:
	s_and_b64 vcc, exec, s[12:13]
	s_cbranch_vccz .LBB127_478
; %bb.413:
	s_cmp_gt_i32 s14, 22
	s_mov_b64 s[12:13], -1
	s_cbranch_scc0 .LBB127_461
; %bb.414:
	s_cmp_lt_i32 s14, 24
	s_mov_b64 s[10:11], -1
	s_cbranch_scc1 .LBB127_439
; %bb.415:
	s_cmp_gt_i32 s14, 24
	s_cbranch_scc0 .LBB127_417
; %bb.416:
	v_mov_b32_e32 v0, s62
	s_mov_b64 s[10:11], 0
	global_store_byte v[10:11], v0, off
.LBB127_417:
	s_andn2_b64 vcc, exec, s[10:11]
	s_cbranch_vccnz .LBB127_438
; %bb.418:
	s_cmpk_lt_i32 s59, 0x80
	s_cbranch_scc1 .LBB127_422
; %bb.419:
	s_and_b32 s10, 0xffff, s59
	s_cmpk_eq_i32 s10, 0x80
	s_mov_b64 s[10:11], -1
	s_cbranch_scc0 .LBB127_421
; %bb.420:
	s_mov_b64 s[10:11], 0
.LBB127_421:
	s_mov_b64 s[12:13], 0
	s_branch .LBB127_423
.LBB127_422:
	s_mov_b64 s[10:11], 0
.LBB127_423:
	s_mov_b32 s15, 0x7f800001
	s_and_b64 vcc, exec, s[12:13]
	s_cbranch_vccz .LBB127_428
; %bb.424:
	s_and_b32 s10, 0xffff, s59
	s_cmp_lg_u32 s10, 0
	s_mov_b32 s15, 0
	s_cselect_b64 s[10:11], -1, 0
	s_andn2_b64 vcc, exec, s[10:11]
	s_cbranch_vccz .LBB127_429
.LBB127_425:
	s_and_b32 s12, s15, 0x7fffffff
	s_cmp_gt_u32 s12, 0x43efffff
	s_cbranch_scc1 .LBB127_430
.LBB127_426:
	s_cmp_lt_u32 s12, 0x3c800000
	s_cbranch_scc1 .LBB127_431
; %bb.427:
	s_bfe_u32 s10, s15, 0x10014
	s_add_i32 s10, s15, s10
	s_add_i32 s10, s10, 0x407ffff
	s_lshr_b32 s11, s10, 20
	s_and_b32 s10, s10, 0xff00000
	s_cmp_lg_u32 s10, 0x7f00000
	s_cselect_b32 s13, s11, 0x7e
	s_mov_b64 s[10:11], 0
	s_branch .LBB127_432
.LBB127_428:
	s_andn2_b64 vcc, exec, s[10:11]
	s_cbranch_vccnz .LBB127_425
.LBB127_429:
	s_mov_b32 s15, s61
	s_and_b32 s12, s15, 0x7fffffff
	s_cmp_gt_u32 s12, 0x43efffff
	s_cbranch_scc0 .LBB127_426
.LBB127_430:
	s_mov_b64 s[10:11], -1
                                        ; implicit-def: $vgpr0
	s_branch .LBB127_435
.LBB127_431:
	s_mov_b64 s[10:11], -1
                                        ; implicit-def: $sgpr13
.LBB127_432:
	s_andn2_b64 vcc, exec, s[10:11]
	v_mov_b32_e32 v0, s13
	s_cbranch_vccnz .LBB127_434
; %bb.433:
	v_mov_b32_e32 v0, 0x46800000
	v_add_f32_e64 v0, |s15|, v0
.LBB127_434:
	s_mov_b64 s[10:11], 0
.LBB127_435:
	s_andn2_b64 vcc, exec, s[10:11]
	s_cbranch_vccnz .LBB127_437
; %bb.436:
	s_cmp_gt_u32 s12, 0x7f800000
	s_movk_i32 s10, 0x7f
	s_cselect_b32 s10, s10, 0x7e
	v_mov_b32_e32 v0, s10
.LBB127_437:
	s_lshr_b32 s10, s15, 24
	s_and_b32 s10, s10, 0x80
	v_or_b32_e32 v0, s10, v0
	global_store_byte v[10:11], v0, off
.LBB127_438:
	s_mov_b64 s[10:11], 0
.LBB127_439:
	s_andn2_b64 vcc, exec, s[10:11]
	s_cbranch_vccnz .LBB127_460
; %bb.440:
	s_cmpk_lt_i32 s59, 0x80
	s_cbranch_scc1 .LBB127_444
; %bb.441:
	s_and_b32 s10, 0xffff, s59
	s_cmpk_eq_i32 s10, 0x80
	s_mov_b64 s[10:11], -1
	s_cbranch_scc0 .LBB127_443
; %bb.442:
	s_mov_b64 s[10:11], 0
.LBB127_443:
	s_mov_b64 s[12:13], 0
	s_branch .LBB127_445
.LBB127_444:
	s_mov_b64 s[12:13], -1
	s_mov_b64 s[10:11], 0
.LBB127_445:
	s_mov_b32 s15, 0x7f800001
	s_and_b64 vcc, exec, s[12:13]
	s_cbranch_vccz .LBB127_450
; %bb.446:
	s_and_b32 s10, 0xffff, s59
	s_cmp_lg_u32 s10, 0
	s_mov_b32 s15, 0
	s_cselect_b64 s[10:11], -1, 0
	s_andn2_b64 vcc, exec, s[10:11]
	s_cbranch_vccz .LBB127_451
.LBB127_447:
	s_and_b32 s12, s15, 0x7fffffff
	s_cmp_gt_u32 s12, 0x477fffff
	s_cbranch_scc1 .LBB127_452
.LBB127_448:
	s_cmp_lt_u32 s12, 0x38800000
	s_cbranch_scc1 .LBB127_453
; %bb.449:
	s_bfe_u32 s10, s15, 0x10015
	s_add_i32 s10, s15, s10
	s_add_i32 s10, s10, 0x80fffff
	s_lshr_b32 s13, s10, 21
	s_mov_b64 s[10:11], 0
	s_branch .LBB127_454
.LBB127_450:
	s_andn2_b64 vcc, exec, s[10:11]
	s_cbranch_vccnz .LBB127_447
.LBB127_451:
	s_mov_b32 s15, s61
	s_and_b32 s12, s15, 0x7fffffff
	s_cmp_gt_u32 s12, 0x477fffff
	s_cbranch_scc0 .LBB127_448
.LBB127_452:
	s_mov_b64 s[10:11], -1
                                        ; implicit-def: $vgpr0
	s_branch .LBB127_457
.LBB127_453:
	s_mov_b64 s[10:11], -1
                                        ; implicit-def: $sgpr13
.LBB127_454:
	s_andn2_b64 vcc, exec, s[10:11]
	v_mov_b32_e32 v0, s13
	s_cbranch_vccnz .LBB127_456
; %bb.455:
	v_mov_b32_e32 v0, 0x43000000
	v_add_f32_e64 v0, |s15|, v0
.LBB127_456:
	s_mov_b64 s[10:11], 0
.LBB127_457:
	s_andn2_b64 vcc, exec, s[10:11]
	s_cbranch_vccnz .LBB127_459
; %bb.458:
	s_cmp_gt_u32 s12, 0x7f800000
	s_movk_i32 s10, 0x7f
	s_cselect_b32 s10, s10, 0x7c
	v_mov_b32_e32 v0, s10
.LBB127_459:
	s_lshr_b32 s10, s15, 24
	s_and_b32 s10, s10, 0x80
	v_or_b32_e32 v0, s10, v0
	global_store_byte v[10:11], v0, off
.LBB127_460:
	s_mov_b64 s[12:13], 0
	s_mov_b64 s[10:11], -1
.LBB127_461:
	s_andn2_b64 vcc, exec, s[12:13]
	s_cbranch_vccnz .LBB127_478
; %bb.462:
	s_cmp_gt_i32 s14, 14
	s_mov_b64 s[12:13], -1
	s_cbranch_scc0 .LBB127_475
; %bb.463:
	s_cmp_eq_u32 s14, 15
	s_mov_b64 s[8:9], -1
	s_cbranch_scc0 .LBB127_474
; %bb.464:
	s_cmpk_lt_i32 s59, 0x80
	s_cbranch_scc1 .LBB127_468
; %bb.465:
	s_and_b32 s8, 0xffff, s59
	s_cmpk_eq_i32 s8, 0x80
	s_mov_b64 s[8:9], -1
	s_cbranch_scc0 .LBB127_467
; %bb.466:
	s_mov_b64 s[8:9], 0
.LBB127_467:
	s_mov_b64 s[10:11], 0
	s_branch .LBB127_469
.LBB127_468:
	s_mov_b64 s[10:11], -1
	s_mov_b64 s[8:9], 0
.LBB127_469:
	s_mov_b32 s12, 0x7f800001
	s_and_b64 vcc, exec, s[10:11]
	s_cbranch_vccz .LBB127_471
; %bb.470:
	s_and_b32 s8, 0xffff, s59
	s_cmp_lg_u32 s8, 0
	s_mov_b32 s12, 0
	s_cselect_b64 s[8:9], -1, 0
.LBB127_471:
	s_andn2_b64 vcc, exec, s[8:9]
	s_cbranch_vccnz .LBB127_473
; %bb.472:
	s_mov_b32 s12, s61
.LBB127_473:
	s_bfe_u32 s8, s12, 0x10010
	s_add_i32 s8, s12, s8
	s_addk_i32 s8, 0x7fff
	s_lshr_b32 s10, s8, 16
	v_cmp_o_f32_e64 s[8:9], s12, s12
	s_and_b64 s[8:9], s[8:9], exec
	s_cselect_b32 s8, s10, 0x7fc0
	v_mov_b32_e32 v0, s8
	global_store_short v[10:11], v0, off
	s_mov_b64 s[10:11], -1
	s_mov_b64 s[8:9], 0
.LBB127_474:
	s_mov_b64 s[12:13], 0
.LBB127_475:
	s_and_b64 vcc, exec, s[12:13]
	s_cbranch_vccz .LBB127_478
; %bb.476:
	s_cmp_eq_u32 s14, 11
	s_mov_b64 s[8:9], -1
	s_cbranch_scc0 .LBB127_478
; %bb.477:
	global_store_byte v[10:11], v14, off
	s_mov_b64 s[10:11], -1
	s_mov_b64 s[8:9], 0
.LBB127_478:
	s_branch .LBB127_332
.LBB127_479:
	s_cmp_lt_i32 s14, 5
	s_mov_b64 s[10:11], -1
	s_cbranch_scc1 .LBB127_556
; %bb.480:
	s_cmp_lt_i32 s14, 8
	s_cbranch_scc1 .LBB127_518
; %bb.481:
	s_cmp_lt_i32 s14, 9
	s_cbranch_scc1 .LBB127_506
; %bb.482:
	s_cmp_gt_i32 s14, 9
	s_cbranch_scc0 .LBB127_494
; %bb.483:
	s_cmpk_lt_i32 s59, 0x80
	s_cbranch_scc1 .LBB127_487
; %bb.484:
	s_and_b32 s10, 0xffff, s59
	s_cmpk_eq_i32 s10, 0x80
	s_mov_b64 s[10:11], -1
	s_cbranch_scc0 .LBB127_486
; %bb.485:
	s_mov_b64 s[10:11], 0
.LBB127_486:
	s_mov_b64 s[12:13], 0
	s_branch .LBB127_488
.LBB127_487:
	s_mov_b64 s[12:13], -1
	s_mov_b64 s[10:11], 0
.LBB127_488:
	s_and_b64 vcc, exec, s[12:13]
	s_cbranch_vccz .LBB127_490
; %bb.489:
	s_and_b32 s10, 0xffff, s59
	s_cmp_lg_u32 s10, 0
	s_mov_b64 s[12:13], 0
	s_cselect_b64 s[10:11], -1, 0
	s_branch .LBB127_491
.LBB127_490:
	s_mov_b32 s13, 0x7ff80000
	s_brev_b32 s12, 4
.LBB127_491:
	v_mov_b32_e32 v0, s12
	s_andn2_b64 vcc, exec, s[10:11]
	v_mov_b32_e32 v1, s13
	s_cbranch_vccnz .LBB127_493
; %bb.492:
	v_mov_b32_e32 v0, v6
	v_mov_b32_e32 v1, v7
.LBB127_493:
	v_mov_b32_e32 v2, 0
	v_mov_b32_e32 v3, v2
	global_store_dwordx4 v[10:11], v[0:3], off
	s_mov_b64 s[10:11], 0
.LBB127_494:
	s_and_b64 vcc, exec, s[10:11]
	s_cbranch_vccz .LBB127_505
; %bb.495:
	s_cmpk_lt_i32 s59, 0x80
	s_cbranch_scc1 .LBB127_499
; %bb.496:
	s_and_b32 s10, 0xffff, s59
	s_cmpk_eq_i32 s10, 0x80
	s_mov_b64 s[10:11], -1
	s_cbranch_scc0 .LBB127_498
; %bb.497:
	s_mov_b64 s[10:11], 0
.LBB127_498:
	s_mov_b64 s[12:13], 0
	s_branch .LBB127_500
.LBB127_499:
	s_mov_b64 s[12:13], -1
	s_mov_b64 s[10:11], 0
.LBB127_500:
	s_mov_b32 s15, 0x7f800001
	s_and_b64 vcc, exec, s[12:13]
	s_cbranch_vccz .LBB127_502
; %bb.501:
	s_and_b32 s15, 0xffff, s59
	s_cmp_lg_u32 s15, 0
	s_cselect_b64 s[10:11], -1, 0
.LBB127_502:
	s_andn2_b64 vcc, exec, s[10:11]
	s_cbranch_vccnz .LBB127_504
; %bb.503:
	s_mov_b32 s15, s61
.LBB127_504:
	v_mov_b32_e32 v0, s15
	v_mov_b32_e32 v1, 0
	global_store_dwordx2 v[10:11], v[0:1], off
.LBB127_505:
	s_mov_b64 s[10:11], 0
.LBB127_506:
	s_andn2_b64 vcc, exec, s[10:11]
	s_cbranch_vccnz .LBB127_517
; %bb.507:
	s_cmpk_lt_i32 s59, 0x80
	s_cbranch_scc1 .LBB127_511
; %bb.508:
	s_and_b32 s10, 0xffff, s59
	s_cmpk_eq_i32 s10, 0x80
	s_mov_b64 s[10:11], -1
	s_cbranch_scc0 .LBB127_510
; %bb.509:
	s_mov_b64 s[10:11], 0
.LBB127_510:
	s_mov_b64 s[12:13], 0
	s_branch .LBB127_512
.LBB127_511:
	s_mov_b64 s[12:13], -1
	s_mov_b64 s[10:11], 0
.LBB127_512:
	s_movk_i32 s15, 0x7e00
	s_and_b64 vcc, exec, s[12:13]
	s_cbranch_vccz .LBB127_514
; %bb.513:
	s_and_b32 s15, 0xffff, s59
	s_cmp_lg_u32 s15, 0
	s_cselect_b64 s[10:11], -1, 0
.LBB127_514:
	s_andn2_b64 vcc, exec, s[10:11]
	v_mov_b32_e32 v0, s15
	s_cbranch_vccnz .LBB127_516
; %bb.515:
	v_mov_b32_e32 v0, v13
.LBB127_516:
	global_store_dword v[10:11], v0, off
.LBB127_517:
	s_mov_b64 s[10:11], 0
.LBB127_518:
	s_andn2_b64 vcc, exec, s[10:11]
	s_cbranch_vccnz .LBB127_555
; %bb.519:
	s_cmp_lt_i32 s14, 6
	s_mov_b64 s[10:11], -1
	s_cbranch_scc1 .LBB127_544
; %bb.520:
	s_cmp_gt_i32 s14, 6
	s_cbranch_scc0 .LBB127_532
; %bb.521:
	s_cmpk_lt_i32 s59, 0x80
	s_cbranch_scc1 .LBB127_525
; %bb.522:
	s_and_b32 s10, 0xffff, s59
	s_cmpk_eq_i32 s10, 0x80
	s_mov_b64 s[10:11], -1
	s_cbranch_scc0 .LBB127_524
; %bb.523:
	s_mov_b64 s[10:11], 0
.LBB127_524:
	s_mov_b64 s[12:13], 0
	s_branch .LBB127_526
.LBB127_525:
	s_mov_b64 s[12:13], -1
	s_mov_b64 s[10:11], 0
.LBB127_526:
	s_and_b64 vcc, exec, s[12:13]
	s_cbranch_vccz .LBB127_528
; %bb.527:
	s_and_b32 s10, 0xffff, s59
	s_cmp_lg_u32 s10, 0
	s_mov_b64 s[12:13], 0
	s_cselect_b64 s[10:11], -1, 0
	s_branch .LBB127_529
.LBB127_528:
	s_mov_b32 s13, 0x7ff80000
	s_brev_b32 s12, 4
.LBB127_529:
	v_mov_b32_e32 v0, s12
	s_andn2_b64 vcc, exec, s[10:11]
	v_mov_b32_e32 v1, s13
	s_cbranch_vccnz .LBB127_531
; %bb.530:
	v_mov_b32_e32 v0, v6
	v_mov_b32_e32 v1, v7
.LBB127_531:
	global_store_dwordx2 v[10:11], v[0:1], off
	s_mov_b64 s[10:11], 0
.LBB127_532:
	s_and_b64 vcc, exec, s[10:11]
	s_cbranch_vccz .LBB127_543
; %bb.533:
	s_cmpk_lt_i32 s59, 0x80
	s_cbranch_scc1 .LBB127_537
; %bb.534:
	s_and_b32 s10, 0xffff, s59
	s_cmpk_eq_i32 s10, 0x80
	s_mov_b64 s[10:11], -1
	s_cbranch_scc0 .LBB127_536
; %bb.535:
	s_mov_b64 s[10:11], 0
.LBB127_536:
	s_mov_b64 s[12:13], 0
	s_branch .LBB127_538
.LBB127_537:
	s_mov_b64 s[12:13], -1
	s_mov_b64 s[10:11], 0
.LBB127_538:
	s_mov_b32 s15, 0x7f800001
	s_and_b64 vcc, exec, s[12:13]
	s_cbranch_vccz .LBB127_540
; %bb.539:
	s_and_b32 s10, 0xffff, s59
	s_cmp_lg_u32 s10, 0
	s_mov_b32 s15, 0
	s_cselect_b64 s[10:11], -1, 0
.LBB127_540:
	s_andn2_b64 vcc, exec, s[10:11]
	s_cbranch_vccnz .LBB127_542
; %bb.541:
	s_mov_b32 s15, s61
.LBB127_542:
	v_mov_b32_e32 v0, s15
	global_store_dword v[10:11], v0, off
.LBB127_543:
	s_mov_b64 s[10:11], 0
.LBB127_544:
	s_andn2_b64 vcc, exec, s[10:11]
	s_cbranch_vccnz .LBB127_555
; %bb.545:
	s_cmpk_lt_i32 s59, 0x80
	s_cbranch_scc1 .LBB127_549
; %bb.546:
	s_and_b32 s10, 0xffff, s59
	s_cmpk_eq_i32 s10, 0x80
	s_mov_b64 s[10:11], -1
	s_cbranch_scc0 .LBB127_548
; %bb.547:
	s_mov_b64 s[10:11], 0
.LBB127_548:
	s_mov_b64 s[12:13], 0
	s_branch .LBB127_550
.LBB127_549:
	s_mov_b64 s[12:13], -1
	s_mov_b64 s[10:11], 0
.LBB127_550:
	s_movk_i32 s15, 0x7e00
	s_and_b64 vcc, exec, s[12:13]
	s_cbranch_vccz .LBB127_552
; %bb.551:
	s_and_b32 s10, 0xffff, s59
	s_cmp_lg_u32 s10, 0
	s_cselect_b64 s[10:11], -1, 0
	s_mov_b32 s15, s59
.LBB127_552:
	s_andn2_b64 vcc, exec, s[10:11]
	v_mov_b32_e32 v0, s15
	s_cbranch_vccnz .LBB127_554
; %bb.553:
	v_mov_b32_e32 v0, v13
.LBB127_554:
	global_store_short v[10:11], v0, off
.LBB127_555:
	s_mov_b64 s[10:11], 0
.LBB127_556:
	s_andn2_b64 vcc, exec, s[10:11]
	s_cbranch_vccnz .LBB127_607
; %bb.557:
	s_cmp_lt_i32 s14, 2
	s_mov_b64 s[10:11], -1
	s_cbranch_scc1 .LBB127_588
; %bb.558:
	s_cmp_lt_i32 s14, 3
	s_cbranch_scc1 .LBB127_578
; %bb.559:
	s_cmp_gt_i32 s14, 3
	s_cbranch_scc0 .LBB127_568
; %bb.560:
	s_cmpk_lt_i32 s59, 0x80
	s_cbranch_scc1 .LBB127_562
; %bb.561:
	s_and_b32 s10, 0xffff, s59
	s_cmpk_lg_i32 s10, 0x80
	s_mov_b64 s[12:13], 0
	s_cselect_b64 s[10:11], -1, 0
	s_branch .LBB127_563
.LBB127_562:
	s_mov_b64 s[12:13], -1
	s_mov_b64 s[10:11], 0
.LBB127_563:
	s_andn2_b64 vcc, exec, s[12:13]
	s_cbranch_vccnz .LBB127_565
; %bb.564:
	s_and_b32 s10, 0xffff, s59
	s_cmp_lg_u32 s10, 0
	s_cselect_b64 s[10:11], -1, 0
.LBB127_565:
	v_mov_b32_e32 v0, 0
	s_andn2_b64 vcc, exec, s[10:11]
	v_mov_b32_e32 v1, 0
	s_cbranch_vccnz .LBB127_567
; %bb.566:
	v_mov_b32_e32 v0, v4
	v_mov_b32_e32 v1, v5
.LBB127_567:
	global_store_dwordx2 v[10:11], v[0:1], off
	s_mov_b64 s[10:11], 0
.LBB127_568:
	s_and_b64 vcc, exec, s[10:11]
	s_cbranch_vccz .LBB127_577
; %bb.569:
	s_cmpk_lt_i32 s59, 0x80
	s_cbranch_scc1 .LBB127_571
; %bb.570:
	s_and_b32 s10, 0xffff, s59
	s_cmpk_lg_i32 s10, 0x80
	s_mov_b64 s[12:13], 0
	s_cselect_b64 s[10:11], -1, 0
	s_branch .LBB127_572
.LBB127_571:
	s_mov_b64 s[12:13], -1
	s_mov_b64 s[10:11], 0
.LBB127_572:
	s_andn2_b64 vcc, exec, s[12:13]
	s_cbranch_vccnz .LBB127_574
; %bb.573:
	s_and_b32 s10, 0xffff, s59
	s_cmp_lg_u32 s10, 0
	s_cselect_b64 s[10:11], -1, 0
.LBB127_574:
	s_andn2_b64 vcc, exec, s[10:11]
	v_mov_b32_e32 v0, 0
	s_cbranch_vccnz .LBB127_576
; %bb.575:
	v_mov_b32_e32 v0, v12
.LBB127_576:
	global_store_dword v[10:11], v0, off
.LBB127_577:
	s_mov_b64 s[10:11], 0
.LBB127_578:
	s_andn2_b64 vcc, exec, s[10:11]
	s_cbranch_vccnz .LBB127_587
; %bb.579:
	s_cmpk_lt_i32 s59, 0x80
	s_cbranch_scc1 .LBB127_581
; %bb.580:
	s_and_b32 s10, 0xffff, s59
	s_cmpk_lg_i32 s10, 0x80
	s_mov_b64 s[12:13], 0
	s_cselect_b64 s[10:11], -1, 0
	s_branch .LBB127_582
.LBB127_581:
	s_mov_b64 s[12:13], -1
	s_mov_b64 s[10:11], 0
.LBB127_582:
	s_andn2_b64 vcc, exec, s[12:13]
	s_cbranch_vccnz .LBB127_584
; %bb.583:
	s_and_b32 s10, 0xffff, s59
	s_cmp_lg_u32 s10, 0
	s_cselect_b64 s[10:11], -1, 0
.LBB127_584:
	s_andn2_b64 vcc, exec, s[10:11]
	v_mov_b32_e32 v0, 0
	s_cbranch_vccnz .LBB127_586
; %bb.585:
	v_mov_b32_e32 v0, v12
.LBB127_586:
	global_store_short v[10:11], v0, off
.LBB127_587:
	s_mov_b64 s[10:11], 0
.LBB127_588:
	s_andn2_b64 vcc, exec, s[10:11]
	s_cbranch_vccnz .LBB127_607
; %bb.589:
	s_cmp_gt_i32 s14, 0
	s_mov_b64 s[10:11], -1
	s_cbranch_scc0 .LBB127_598
; %bb.590:
	s_cmpk_lt_i32 s59, 0x80
	s_cbranch_scc1 .LBB127_592
; %bb.591:
	s_and_b32 s10, 0xffff, s59
	s_cmpk_lg_i32 s10, 0x80
	s_mov_b64 s[12:13], 0
	s_cselect_b64 s[10:11], -1, 0
	s_branch .LBB127_593
.LBB127_592:
	s_mov_b64 s[12:13], -1
	s_mov_b64 s[10:11], 0
.LBB127_593:
	s_andn2_b64 vcc, exec, s[12:13]
	s_cbranch_vccnz .LBB127_595
; %bb.594:
	s_and_b32 s10, 0xffff, s59
	s_cmp_lg_u32 s10, 0
	s_cselect_b64 s[10:11], -1, 0
.LBB127_595:
	s_andn2_b64 vcc, exec, s[10:11]
	v_mov_b32_e32 v0, 0
	s_cbranch_vccnz .LBB127_597
; %bb.596:
	v_mov_b32_e32 v0, v12
.LBB127_597:
	global_store_byte v[10:11], v0, off
	s_mov_b64 s[10:11], 0
.LBB127_598:
	s_and_b64 vcc, exec, s[10:11]
	s_cbranch_vccz .LBB127_607
; %bb.599:
	s_cmpk_lt_i32 s59, 0x80
	s_cbranch_scc1 .LBB127_601
; %bb.600:
	s_and_b32 s10, 0xffff, s59
	s_cmpk_lg_i32 s10, 0x80
	s_mov_b64 s[12:13], 0
	s_cselect_b64 s[10:11], -1, 0
	s_branch .LBB127_602
.LBB127_601:
	s_mov_b64 s[12:13], -1
	s_mov_b64 s[10:11], 0
.LBB127_602:
	s_andn2_b64 vcc, exec, s[12:13]
	s_cbranch_vccnz .LBB127_604
; %bb.603:
	s_and_b32 s10, 0xffff, s59
	s_cmp_lg_u32 s10, 0
	s_cselect_b64 s[10:11], -1, 0
.LBB127_604:
	s_andn2_b64 vcc, exec, s[10:11]
	v_mov_b32_e32 v0, 0
	s_cbranch_vccnz .LBB127_606
; %bb.605:
	v_mov_b32_e32 v0, v4
.LBB127_606:
	global_store_byte v[10:11], v0, off
.LBB127_607:
	s_branch .LBB127_333
.LBB127_608:
	s_mov_b64 s[10:11], 0
                                        ; implicit-def: $vgpr15
.LBB127_609:
	s_andn2_b64 s[12:13], s[44:45], exec
	s_and_b64 s[8:9], s[8:9], exec
	s_or_b64 s[48:49], s[12:13], s[8:9]
	s_orn2_b64 s[8:9], s[10:11], exec
.LBB127_610:
	s_or_b64 exec, exec, s[50:51]
	s_mov_b64 s[10:11], 0
	s_mov_b64 s[12:13], 0
                                        ; implicit-def: $vgpr10_vgpr11
	s_and_saveexec_b64 s[50:51], s[8:9]
	s_cbranch_execz .LBB127_1086
; %bb.611:
	v_cmp_gt_i32_e32 vcc, s64, v15
	s_mov_b64 s[10:11], -1
	s_mov_b64 s[54:55], s[48:49]
	s_and_saveexec_b64 s[52:53], vcc
	s_cbranch_execz .LBB127_916
; %bb.612:
	s_andn2_b64 vcc, exec, s[30:31]
	s_cbranch_vccnz .LBB127_617
; %bb.613:
	s_andn2_b64 vcc, exec, s[42:43]
	s_cbranch_vccnz .LBB127_618
; %bb.614:
	s_add_i32 s67, s65, 1
	s_cmp_eq_u32 s58, 2
	s_cbranch_scc1 .LBB127_619
; %bb.615:
	s_and_b32 s66, s67, 28
	s_mov_b32 s68, 0
	v_mov_b32_e32 v0, 0
	s_mov_b64 s[54:55], s[24:25]
	s_mov_b64 s[56:57], s[40:41]
	v_mov_b32_e32 v1, v15
.LBB127_616:                            ; =>This Inner Loop Header: Depth=1
	s_load_dwordx8 s[8:15], s[54:55], 0x4
	s_load_dwordx4 s[16:19], s[54:55], 0x24
	s_load_dwordx4 s[20:23], s[56:57], 0x0
	s_add_u32 s54, s54, 48
	s_addc_u32 s55, s55, 0
	s_waitcnt lgkmcnt(0)
	v_mul_hi_u32 v2, s9, v1
	s_add_i32 s68, s68, 4
	s_add_u32 s56, s56, 16
	s_addc_u32 s57, s57, 0
	v_add_u32_e32 v2, v1, v2
	v_lshrrev_b32_e32 v2, s10, v2
	v_mul_lo_u32 v3, v2, s8
	v_mul_hi_u32 v10, s12, v2
	s_cmp_eq_u32 s66, s68
	v_sub_u32_e32 v1, v1, v3
	v_add_u32_e32 v3, v2, v10
	v_lshrrev_b32_e32 v3, s13, v3
	v_mul_lo_u32 v10, v1, s20
	v_mul_hi_u32 v1, s15, v3
	v_mul_lo_u32 v17, v3, s11
	v_add_u32_e32 v1, v3, v1
	v_lshrrev_b32_e32 v11, s16, v1
	v_mul_hi_u32 v1, s18, v11
	v_sub_u32_e32 v2, v2, v17
	v_mul_lo_u32 v17, v11, s14
	v_mul_lo_u32 v2, v2, s21
	v_add_u32_e32 v1, v11, v1
	v_lshrrev_b32_e32 v1, s19, v1
	v_mul_lo_u32 v18, v1, s17
	v_sub_u32_e32 v3, v3, v17
	v_mul_lo_u32 v3, v3, s22
	v_add3_u32 v0, v10, v0, v2
	v_sub_u32_e32 v11, v11, v18
	v_mul_lo_u32 v11, v11, s23
	v_add3_u32 v0, v3, v0, v11
	s_cbranch_scc0 .LBB127_616
	s_branch .LBB127_620
.LBB127_617:
	s_mov_b64 s[8:9], -1
                                        ; implicit-def: $vgpr0
	s_branch .LBB127_624
.LBB127_618:
	v_mov_b32_e32 v0, 0
	s_branch .LBB127_623
.LBB127_619:
	v_mov_b32_e32 v0, 0
	s_mov_b32 s66, 0
	v_mov_b32_e32 v1, v15
.LBB127_620:
	s_and_b32 s12, s67, 3
	s_cmp_eq_u32 s12, 0
	s_cbranch_scc1 .LBB127_623
; %bb.621:
	s_lshl_b32 s8, s66, 2
	s_add_u32 s8, s24, s8
	s_addc_u32 s9, s25, 0
	s_add_u32 s8, s8, 0xc4
	s_addc_u32 s9, s9, 0
	s_mul_i32 s10, s66, 12
	s_add_u32 s10, s24, s10
	s_addc_u32 s11, s25, 0
.LBB127_622:                            ; =>This Inner Loop Header: Depth=1
	s_load_dwordx2 s[14:15], s[10:11], 0x4
	s_load_dword s13, s[10:11], 0xc
	s_add_u32 s10, s10, 12
	s_addc_u32 s11, s11, 0
	s_waitcnt lgkmcnt(0)
	v_mul_hi_u32 v2, s15, v1
	s_load_dword s15, s[8:9], 0x0
	s_add_u32 s8, s8, 4
	s_addc_u32 s9, s9, 0
	v_add_u32_e32 v2, v1, v2
	v_lshrrev_b32_e32 v2, s13, v2
	v_mul_lo_u32 v3, v2, s14
	s_add_i32 s12, s12, -1
	s_cmp_lg_u32 s12, 0
	v_sub_u32_e32 v1, v1, v3
	s_waitcnt lgkmcnt(0)
	v_mad_u64_u32 v[0:1], s[14:15], v1, s15, v[0:1]
	v_mov_b32_e32 v1, v2
	s_cbranch_scc1 .LBB127_622
.LBB127_623:
	s_mov_b64 s[8:9], 0
.LBB127_624:
	s_andn2_b64 vcc, exec, s[8:9]
	s_cbranch_vccnz .LBB127_627
; %bb.625:
	v_mul_hi_u32 v0, s1, v15
	s_andn2_b64 vcc, exec, s[38:39]
	v_add_u32_e32 v0, v15, v0
	v_lshrrev_b32_e32 v1, s2, v0
	v_mul_lo_u32 v0, v1, s0
	v_sub_u32_e32 v0, v15, v0
	v_mul_lo_u32 v0, v0, s34
	s_cbranch_vccnz .LBB127_627
; %bb.626:
	v_mul_hi_u32 v2, s36, v1
	v_add_u32_e32 v2, v1, v2
	v_lshrrev_b32_e32 v2, s37, v2
	v_mul_lo_u32 v2, v2, s3
	v_sub_u32_e32 v1, v1, v2
	v_mad_u64_u32 v[0:1], s[8:9], v1, s35, v[0:1]
.LBB127_627:
	v_mov_b32_e32 v1, s7
	s_and_b32 s14, 0xffff, s60
	v_add_co_u32_e32 v10, vcc, s6, v0
	s_cmp_lt_i32 s14, 11
	v_addc_co_u32_e32 v11, vcc, 0, v1, vcc
	s_cbranch_scc1 .LBB127_636
; %bb.628:
	s_cmp_gt_i32 s14, 25
	s_cbranch_scc0 .LBB127_637
; %bb.629:
	s_cmp_gt_i32 s14, 28
	s_cbranch_scc0 .LBB127_638
	;; [unrolled: 3-line block ×4, first 2 shown]
; %bb.632:
	s_mov_b64 s[12:13], 0
	s_mov_b64 s[8:9], -1
	s_cmp_eq_u32 s14, 46
	s_mov_b64 s[10:11], 0
	s_cbranch_scc0 .LBB127_647
; %bb.633:
	s_cmpk_lt_i32 s59, 0x80
	s_cbranch_scc1 .LBB127_643
; %bb.634:
	s_and_b32 s8, 0xffff, s59
	s_cmpk_eq_i32 s8, 0x80
	s_mov_b64 s[8:9], -1
	s_cbranch_scc0 .LBB127_641
; %bb.635:
	s_mov_b64 s[8:9], 0
	s_mov_b32 s15, 0x7f800001
	s_and_b64 vcc, exec, s[10:11]
	s_cbranch_vccz .LBB127_644
	s_branch .LBB127_642
.LBB127_636:
	s_mov_b64 s[12:13], -1
	s_mov_b64 s[10:11], 0
	s_mov_b64 s[8:9], s[48:49]
	s_branch .LBB127_782
.LBB127_637:
	s_mov_b64 s[12:13], -1
	s_mov_b64 s[10:11], 0
	s_mov_b64 s[8:9], s[48:49]
	s_branch .LBB127_715
.LBB127_638:
	s_mov_b64 s[12:13], -1
	s_mov_b64 s[10:11], 0
	s_mov_b64 s[8:9], s[48:49]
	s_branch .LBB127_673
.LBB127_639:
	s_mov_b64 s[12:13], -1
	s_mov_b64 s[10:11], 0
	s_mov_b64 s[8:9], s[48:49]
	s_branch .LBB127_660
.LBB127_640:
	s_mov_b64 s[12:13], -1
	s_mov_b64 s[10:11], 0
	s_mov_b64 s[8:9], s[48:49]
	s_branch .LBB127_647
.LBB127_641:
	s_mov_b32 s15, 0x7f800001
	s_and_b64 vcc, exec, s[10:11]
	s_cbranch_vccz .LBB127_644
.LBB127_642:
	s_and_b32 s8, 0xffff, s59
	s_cmp_lg_u32 s8, 0
	s_mov_b32 s15, 0
	s_cselect_b64 s[8:9], -1, 0
	s_andn2_b64 vcc, exec, s[8:9]
	s_cbranch_vccz .LBB127_645
	s_branch .LBB127_646
.LBB127_643:
	s_mov_b64 s[8:9], 0
	s_mov_b32 s15, 0x7f800001
	s_cbranch_execnz .LBB127_642
.LBB127_644:
	s_andn2_b64 vcc, exec, s[8:9]
	s_cbranch_vccnz .LBB127_646
.LBB127_645:
	s_mov_b32 s15, s61
.LBB127_646:
	s_bfe_u32 s8, s15, 0x10010
	s_add_i32 s8, s15, s8
	s_addk_i32 s8, 0x7fff
	s_lshr_b32 s10, s8, 16
	v_cmp_o_f32_e64 s[8:9], s15, s15
	s_and_b64 s[8:9], s[8:9], exec
	s_cselect_b32 s8, s10, 0x7fc0
	v_mov_b32_e32 v0, s8
	global_store_dword v[10:11], v0, off
	s_mov_b64 s[10:11], -1
	s_mov_b64 s[8:9], 0
.LBB127_647:
	s_and_b64 vcc, exec, s[12:13]
	s_cbranch_vccz .LBB127_659
; %bb.648:
	s_cmp_eq_u32 s14, 44
	s_mov_b64 s[8:9], -1
	s_cbranch_scc0 .LBB127_659
; %bb.649:
	s_cmpk_lt_i32 s59, 0x80
	s_cbranch_scc1 .LBB127_653
; %bb.650:
	s_and_b32 s8, 0xffff, s59
	s_cmpk_eq_i32 s8, 0x80
	s_mov_b64 s[8:9], -1
	s_cbranch_scc0 .LBB127_652
; %bb.651:
	s_mov_b64 s[8:9], 0
.LBB127_652:
	s_mov_b64 s[10:11], 0
	s_branch .LBB127_654
.LBB127_653:
	s_mov_b64 s[10:11], -1
	s_mov_b64 s[8:9], 0
.LBB127_654:
	s_mov_b32 s12, 0x7f800001
	s_and_b64 vcc, exec, s[10:11]
	s_cbranch_vccz .LBB127_664
; %bb.655:
	s_and_b32 s12, 0xffff, s59
	s_cmp_lg_u32 s12, 0
	s_cselect_b64 s[8:9], -1, 0
	s_andn2_b64 vcc, exec, s[8:9]
	s_cbranch_vccz .LBB127_665
.LBB127_656:
	s_lshr_b32 s8, s12, 23
	s_cmpk_eq_i32 s8, 0xff
	v_mov_b32_e32 v0, 0xff
	s_cbranch_scc1 .LBB127_658
.LBB127_657:
	s_bitcmp1_b32 s12, 22
	s_cselect_b64 s[10:11], -1, 0
	s_and_b32 s9, s12, 0x3fffff
	s_or_b32 s9, s8, s9
	s_cmp_lg_u32 s9, 0
	s_cselect_b64 s[12:13], -1, 0
	s_and_b64 s[10:11], s[10:11], s[12:13]
	v_cndmask_b32_e64 v0, 0, 1, s[10:11]
	v_add_u32_e32 v0, s8, v0
.LBB127_658:
	s_mov_b64 s[10:11], -1
	s_mov_b64 s[8:9], 0
	global_store_byte v[10:11], v0, off
.LBB127_659:
	s_mov_b64 s[12:13], 0
.LBB127_660:
	s_and_b64 vcc, exec, s[12:13]
	s_cbranch_vccz .LBB127_672
; %bb.661:
	s_cmp_eq_u32 s14, 29
	s_mov_b64 s[8:9], -1
	s_cbranch_scc0 .LBB127_672
; %bb.662:
	s_cmpk_lt_i32 s59, 0x80
	s_cbranch_scc1 .LBB127_666
; %bb.663:
	s_and_b32 s8, 0xffff, s59
	s_cmpk_lg_i32 s8, 0x80
	s_mov_b64 s[10:11], 0
	s_cselect_b64 s[8:9], -1, 0
	s_branch .LBB127_667
.LBB127_664:
	s_andn2_b64 vcc, exec, s[8:9]
	s_cbranch_vccnz .LBB127_656
.LBB127_665:
	s_mov_b32 s12, s63
	s_lshr_b32 s8, s12, 23
	s_cmpk_eq_i32 s8, 0xff
	v_mov_b32_e32 v0, 0xff
	s_cbranch_scc0 .LBB127_657
	s_branch .LBB127_658
.LBB127_666:
	s_mov_b64 s[10:11], -1
	s_mov_b64 s[8:9], 0
.LBB127_667:
	s_andn2_b64 vcc, exec, s[10:11]
	s_cbranch_vccnz .LBB127_669
; %bb.668:
	s_and_b32 s8, 0xffff, s59
	s_cmp_lg_u32 s8, 0
	s_cselect_b64 s[8:9], -1, 0
.LBB127_669:
	v_mov_b32_e32 v0, 0
	s_andn2_b64 vcc, exec, s[8:9]
	v_mov_b32_e32 v1, 0
	s_cbranch_vccnz .LBB127_671
; %bb.670:
	v_mov_b32_e32 v0, v8
	v_mov_b32_e32 v1, v9
.LBB127_671:
	global_store_dwordx2 v[10:11], v[0:1], off
	s_mov_b64 s[10:11], -1
	s_mov_b64 s[8:9], 0
.LBB127_672:
	s_mov_b64 s[12:13], 0
.LBB127_673:
	s_and_b64 vcc, exec, s[12:13]
	s_cbranch_vccz .LBB127_714
; %bb.674:
	s_cmp_lt_i32 s14, 27
	s_mov_b64 s[10:11], -1
	s_cbranch_scc1 .LBB127_694
; %bb.675:
	s_cmp_gt_i32 s14, 27
	s_cbranch_scc0 .LBB127_684
; %bb.676:
	s_cmpk_lt_i32 s59, 0x80
	s_cbranch_scc1 .LBB127_678
; %bb.677:
	s_and_b32 s10, 0xffff, s59
	s_cmpk_lg_i32 s10, 0x80
	s_mov_b64 s[12:13], 0
	s_cselect_b64 s[10:11], -1, 0
	s_branch .LBB127_679
.LBB127_678:
	s_mov_b64 s[12:13], -1
	s_mov_b64 s[10:11], 0
.LBB127_679:
	s_andn2_b64 vcc, exec, s[12:13]
	s_cbranch_vccnz .LBB127_681
; %bb.680:
	s_and_b32 s10, 0xffff, s59
	s_cmp_lg_u32 s10, 0
	s_cselect_b64 s[10:11], -1, 0
.LBB127_681:
	s_andn2_b64 vcc, exec, s[10:11]
	v_mov_b32_e32 v0, 0
	s_cbranch_vccnz .LBB127_683
; %bb.682:
	v_mov_b32_e32 v0, v16
.LBB127_683:
	global_store_dword v[10:11], v0, off
	s_mov_b64 s[10:11], 0
.LBB127_684:
	s_and_b64 vcc, exec, s[10:11]
	s_cbranch_vccz .LBB127_693
; %bb.685:
	s_cmpk_lt_i32 s59, 0x80
	s_cbranch_scc1 .LBB127_687
; %bb.686:
	s_and_b32 s10, 0xffff, s59
	s_cmpk_lg_i32 s10, 0x80
	s_mov_b64 s[12:13], 0
	s_cselect_b64 s[10:11], -1, 0
	s_branch .LBB127_688
.LBB127_687:
	s_mov_b64 s[12:13], -1
	s_mov_b64 s[10:11], 0
.LBB127_688:
	s_andn2_b64 vcc, exec, s[12:13]
	s_cbranch_vccnz .LBB127_690
; %bb.689:
	s_and_b32 s10, 0xffff, s59
	s_cmp_lg_u32 s10, 0
	s_cselect_b64 s[10:11], -1, 0
.LBB127_690:
	s_andn2_b64 vcc, exec, s[10:11]
	v_mov_b32_e32 v0, 0
	s_cbranch_vccnz .LBB127_692
; %bb.691:
	v_mov_b32_e32 v0, v16
.LBB127_692:
	global_store_short v[10:11], v0, off
.LBB127_693:
	s_mov_b64 s[10:11], 0
.LBB127_694:
	s_andn2_b64 vcc, exec, s[10:11]
	s_cbranch_vccnz .LBB127_713
; %bb.695:
	s_cmpk_lt_i32 s59, 0x80
	s_cbranch_scc1 .LBB127_699
; %bb.696:
	s_and_b32 s10, 0xffff, s59
	s_cmpk_eq_i32 s10, 0x80
	s_mov_b64 s[10:11], -1
	s_cbranch_scc0 .LBB127_698
; %bb.697:
	s_mov_b64 s[10:11], 0
.LBB127_698:
	s_mov_b64 s[12:13], 0
	s_branch .LBB127_700
.LBB127_699:
	s_mov_b64 s[12:13], -1
	s_mov_b64 s[10:11], 0
.LBB127_700:
	s_mov_b32 s15, 0x7f800001
	s_and_b64 vcc, exec, s[12:13]
	s_cbranch_vccz .LBB127_703
; %bb.701:
	s_and_b32 s10, 0xffff, s59
	s_cmp_lg_u32 s10, 0
	s_mov_b32 s15, 0
	s_cselect_b64 s[10:11], -1, 0
	s_andn2_b64 vcc, exec, s[10:11]
	s_cbranch_vccz .LBB127_704
.LBB127_702:
	s_and_b32 s10, s15, 0x7fffffff
	s_cmp_gt_u32 s10, 0x437fffff
	v_mov_b32_e32 v1, 0x80
	s_cbranch_scc0 .LBB127_705
	s_branch .LBB127_712
.LBB127_703:
	s_andn2_b64 vcc, exec, s[10:11]
	s_cbranch_vccnz .LBB127_702
.LBB127_704:
	s_mov_b32 s15, s61
	s_and_b32 s10, s15, 0x7fffffff
	s_cmp_gt_u32 s10, 0x437fffff
	v_mov_b32_e32 v1, 0x80
	s_cbranch_scc1 .LBB127_712
.LBB127_705:
	s_cmp_lt_u32 s10, 0x3c000000
	s_cbranch_scc1 .LBB127_707
; %bb.706:
	s_bfe_u32 s10, s15, 0x10014
	s_add_i32 s10, s15, s10
	s_add_i32 s10, s10, 0x487ffff
	s_lshr_b32 s16, s10, 20
	s_mov_b64 s[12:13], 0
	s_mov_b64 s[10:11], -1
	s_branch .LBB127_708
.LBB127_707:
	s_mov_b64 s[12:13], -1
	s_mov_b64 s[10:11], 0
                                        ; implicit-def: $sgpr16
.LBB127_708:
	s_andn2_b64 vcc, exec, s[12:13]
	v_mov_b32_e32 v0, s16
	s_cbranch_vccnz .LBB127_710
; %bb.709:
	v_mov_b32_e32 v0, 0x46000000
	v_add_f32_e64 v0, |s15|, v0
	v_and_b32_e32 v0, 0xff, v0
	v_cmp_ne_u32_e64 s[10:11], 0, v0
.LBB127_710:
	s_andn2_b64 vcc, exec, s[10:11]
	v_mov_b32_e32 v1, 0
	s_cbranch_vccnz .LBB127_712
; %bb.711:
	s_lshr_b32 s10, s15, 24
	s_and_b32 s10, s10, 0x80
	v_or_b32_e32 v1, s10, v0
.LBB127_712:
	global_store_byte v[10:11], v1, off
.LBB127_713:
	s_mov_b64 s[10:11], -1
.LBB127_714:
	s_mov_b64 s[12:13], 0
.LBB127_715:
	s_and_b64 vcc, exec, s[12:13]
	s_cbranch_vccz .LBB127_781
; %bb.716:
	s_cmp_gt_i32 s14, 22
	s_mov_b64 s[12:13], -1
	s_cbranch_scc0 .LBB127_764
; %bb.717:
	s_cmp_lt_i32 s14, 24
	s_mov_b64 s[10:11], -1
	s_cbranch_scc1 .LBB127_742
; %bb.718:
	s_cmp_gt_i32 s14, 24
	s_cbranch_scc0 .LBB127_720
; %bb.719:
	v_mov_b32_e32 v0, s62
	s_mov_b64 s[10:11], 0
	global_store_byte v[10:11], v0, off
.LBB127_720:
	s_andn2_b64 vcc, exec, s[10:11]
	s_cbranch_vccnz .LBB127_741
; %bb.721:
	s_cmpk_lt_i32 s59, 0x80
	s_cbranch_scc1 .LBB127_725
; %bb.722:
	s_and_b32 s10, 0xffff, s59
	s_cmpk_eq_i32 s10, 0x80
	s_mov_b64 s[10:11], -1
	s_cbranch_scc0 .LBB127_724
; %bb.723:
	s_mov_b64 s[10:11], 0
.LBB127_724:
	s_mov_b64 s[12:13], 0
	s_branch .LBB127_726
.LBB127_725:
	s_mov_b64 s[10:11], 0
.LBB127_726:
	s_mov_b32 s15, 0x7f800001
	s_and_b64 vcc, exec, s[12:13]
	s_cbranch_vccz .LBB127_731
; %bb.727:
	s_and_b32 s10, 0xffff, s59
	s_cmp_lg_u32 s10, 0
	s_mov_b32 s15, 0
	s_cselect_b64 s[10:11], -1, 0
	s_andn2_b64 vcc, exec, s[10:11]
	s_cbranch_vccz .LBB127_732
.LBB127_728:
	s_and_b32 s12, s15, 0x7fffffff
	s_cmp_gt_u32 s12, 0x43efffff
	s_cbranch_scc1 .LBB127_733
.LBB127_729:
	s_cmp_lt_u32 s12, 0x3c800000
	s_cbranch_scc1 .LBB127_734
; %bb.730:
	s_bfe_u32 s10, s15, 0x10014
	s_add_i32 s10, s15, s10
	s_add_i32 s10, s10, 0x407ffff
	s_lshr_b32 s11, s10, 20
	s_and_b32 s10, s10, 0xff00000
	s_cmp_lg_u32 s10, 0x7f00000
	s_cselect_b32 s13, s11, 0x7e
	s_mov_b64 s[10:11], 0
	s_branch .LBB127_735
.LBB127_731:
	s_andn2_b64 vcc, exec, s[10:11]
	s_cbranch_vccnz .LBB127_728
.LBB127_732:
	s_mov_b32 s15, s61
	s_and_b32 s12, s15, 0x7fffffff
	s_cmp_gt_u32 s12, 0x43efffff
	s_cbranch_scc0 .LBB127_729
.LBB127_733:
	s_mov_b64 s[10:11], -1
                                        ; implicit-def: $vgpr0
	s_branch .LBB127_738
.LBB127_734:
	s_mov_b64 s[10:11], -1
                                        ; implicit-def: $sgpr13
.LBB127_735:
	s_andn2_b64 vcc, exec, s[10:11]
	v_mov_b32_e32 v0, s13
	s_cbranch_vccnz .LBB127_737
; %bb.736:
	v_mov_b32_e32 v0, 0x46800000
	v_add_f32_e64 v0, |s15|, v0
.LBB127_737:
	s_mov_b64 s[10:11], 0
.LBB127_738:
	s_andn2_b64 vcc, exec, s[10:11]
	s_cbranch_vccnz .LBB127_740
; %bb.739:
	s_cmp_gt_u32 s12, 0x7f800000
	s_movk_i32 s10, 0x7f
	s_cselect_b32 s10, s10, 0x7e
	v_mov_b32_e32 v0, s10
.LBB127_740:
	s_lshr_b32 s10, s15, 24
	s_and_b32 s10, s10, 0x80
	v_or_b32_e32 v0, s10, v0
	global_store_byte v[10:11], v0, off
.LBB127_741:
	s_mov_b64 s[10:11], 0
.LBB127_742:
	s_andn2_b64 vcc, exec, s[10:11]
	s_cbranch_vccnz .LBB127_763
; %bb.743:
	s_cmpk_lt_i32 s59, 0x80
	s_cbranch_scc1 .LBB127_747
; %bb.744:
	s_and_b32 s10, 0xffff, s59
	s_cmpk_eq_i32 s10, 0x80
	s_mov_b64 s[10:11], -1
	s_cbranch_scc0 .LBB127_746
; %bb.745:
	s_mov_b64 s[10:11], 0
.LBB127_746:
	s_mov_b64 s[12:13], 0
	s_branch .LBB127_748
.LBB127_747:
	s_mov_b64 s[12:13], -1
	s_mov_b64 s[10:11], 0
.LBB127_748:
	s_mov_b32 s15, 0x7f800001
	s_and_b64 vcc, exec, s[12:13]
	s_cbranch_vccz .LBB127_753
; %bb.749:
	s_and_b32 s10, 0xffff, s59
	s_cmp_lg_u32 s10, 0
	s_mov_b32 s15, 0
	s_cselect_b64 s[10:11], -1, 0
	s_andn2_b64 vcc, exec, s[10:11]
	s_cbranch_vccz .LBB127_754
.LBB127_750:
	s_and_b32 s12, s15, 0x7fffffff
	s_cmp_gt_u32 s12, 0x477fffff
	s_cbranch_scc1 .LBB127_755
.LBB127_751:
	s_cmp_lt_u32 s12, 0x38800000
	s_cbranch_scc1 .LBB127_756
; %bb.752:
	s_bfe_u32 s10, s15, 0x10015
	s_add_i32 s10, s15, s10
	s_add_i32 s10, s10, 0x80fffff
	s_lshr_b32 s13, s10, 21
	s_mov_b64 s[10:11], 0
	s_branch .LBB127_757
.LBB127_753:
	s_andn2_b64 vcc, exec, s[10:11]
	s_cbranch_vccnz .LBB127_750
.LBB127_754:
	s_mov_b32 s15, s61
	s_and_b32 s12, s15, 0x7fffffff
	s_cmp_gt_u32 s12, 0x477fffff
	s_cbranch_scc0 .LBB127_751
.LBB127_755:
	s_mov_b64 s[10:11], -1
                                        ; implicit-def: $vgpr0
	s_branch .LBB127_760
.LBB127_756:
	s_mov_b64 s[10:11], -1
                                        ; implicit-def: $sgpr13
.LBB127_757:
	s_andn2_b64 vcc, exec, s[10:11]
	v_mov_b32_e32 v0, s13
	s_cbranch_vccnz .LBB127_759
; %bb.758:
	v_mov_b32_e32 v0, 0x43000000
	v_add_f32_e64 v0, |s15|, v0
.LBB127_759:
	s_mov_b64 s[10:11], 0
.LBB127_760:
	s_andn2_b64 vcc, exec, s[10:11]
	s_cbranch_vccnz .LBB127_762
; %bb.761:
	s_cmp_gt_u32 s12, 0x7f800000
	s_movk_i32 s10, 0x7f
	s_cselect_b32 s10, s10, 0x7c
	v_mov_b32_e32 v0, s10
.LBB127_762:
	s_lshr_b32 s10, s15, 24
	s_and_b32 s10, s10, 0x80
	v_or_b32_e32 v0, s10, v0
	global_store_byte v[10:11], v0, off
.LBB127_763:
	s_mov_b64 s[12:13], 0
	s_mov_b64 s[10:11], -1
.LBB127_764:
	s_andn2_b64 vcc, exec, s[12:13]
	s_cbranch_vccnz .LBB127_781
; %bb.765:
	s_cmp_gt_i32 s14, 14
	s_mov_b64 s[12:13], -1
	s_cbranch_scc0 .LBB127_778
; %bb.766:
	s_cmp_eq_u32 s14, 15
	s_mov_b64 s[8:9], -1
	s_cbranch_scc0 .LBB127_777
; %bb.767:
	s_cmpk_lt_i32 s59, 0x80
	s_cbranch_scc1 .LBB127_771
; %bb.768:
	s_and_b32 s8, 0xffff, s59
	s_cmpk_eq_i32 s8, 0x80
	s_mov_b64 s[8:9], -1
	s_cbranch_scc0 .LBB127_770
; %bb.769:
	s_mov_b64 s[8:9], 0
.LBB127_770:
	s_mov_b64 s[10:11], 0
	s_branch .LBB127_772
.LBB127_771:
	s_mov_b64 s[10:11], -1
	s_mov_b64 s[8:9], 0
.LBB127_772:
	s_mov_b32 s12, 0x7f800001
	s_and_b64 vcc, exec, s[10:11]
	s_cbranch_vccz .LBB127_774
; %bb.773:
	s_and_b32 s8, 0xffff, s59
	s_cmp_lg_u32 s8, 0
	s_mov_b32 s12, 0
	s_cselect_b64 s[8:9], -1, 0
.LBB127_774:
	s_andn2_b64 vcc, exec, s[8:9]
	s_cbranch_vccnz .LBB127_776
; %bb.775:
	s_mov_b32 s12, s61
.LBB127_776:
	s_bfe_u32 s8, s12, 0x10010
	s_add_i32 s8, s12, s8
	s_addk_i32 s8, 0x7fff
	s_lshr_b32 s10, s8, 16
	v_cmp_o_f32_e64 s[8:9], s12, s12
	s_and_b64 s[8:9], s[8:9], exec
	s_cselect_b32 s8, s10, 0x7fc0
	v_mov_b32_e32 v0, s8
	global_store_short v[10:11], v0, off
	s_mov_b64 s[10:11], -1
	s_mov_b64 s[8:9], 0
.LBB127_777:
	s_mov_b64 s[12:13], 0
.LBB127_778:
	s_and_b64 vcc, exec, s[12:13]
	s_cbranch_vccz .LBB127_781
; %bb.779:
	s_cmp_eq_u32 s14, 11
	s_mov_b64 s[8:9], -1
	s_cbranch_scc0 .LBB127_781
; %bb.780:
	global_store_byte v[10:11], v14, off
	s_mov_b64 s[10:11], -1
	s_mov_b64 s[8:9], 0
.LBB127_781:
	s_mov_b64 s[12:13], 0
.LBB127_782:
	s_and_b64 vcc, exec, s[12:13]
	s_cbranch_vccz .LBB127_912
; %bb.783:
	s_cmp_lt_i32 s14, 5
	s_mov_b64 s[10:11], -1
	s_cbranch_scc1 .LBB127_860
; %bb.784:
	s_cmp_lt_i32 s14, 8
	s_cbranch_scc1 .LBB127_822
; %bb.785:
	s_cmp_lt_i32 s14, 9
	s_cbranch_scc1 .LBB127_810
; %bb.786:
	s_cmp_gt_i32 s14, 9
	s_cbranch_scc0 .LBB127_798
; %bb.787:
	s_cmpk_lt_i32 s59, 0x80
	s_cbranch_scc1 .LBB127_791
; %bb.788:
	s_and_b32 s10, 0xffff, s59
	s_cmpk_eq_i32 s10, 0x80
	s_mov_b64 s[10:11], -1
	s_cbranch_scc0 .LBB127_790
; %bb.789:
	s_mov_b64 s[10:11], 0
.LBB127_790:
	s_mov_b64 s[12:13], 0
	s_branch .LBB127_792
.LBB127_791:
	s_mov_b64 s[12:13], -1
	s_mov_b64 s[10:11], 0
.LBB127_792:
	s_and_b64 vcc, exec, s[12:13]
	s_cbranch_vccz .LBB127_794
; %bb.793:
	s_and_b32 s10, 0xffff, s59
	s_cmp_lg_u32 s10, 0
	s_mov_b64 s[12:13], 0
	s_cselect_b64 s[10:11], -1, 0
	s_branch .LBB127_795
.LBB127_794:
	s_mov_b32 s13, 0x7ff80000
	s_brev_b32 s12, 4
.LBB127_795:
	v_mov_b32_e32 v0, s12
	s_andn2_b64 vcc, exec, s[10:11]
	v_mov_b32_e32 v1, s13
	s_cbranch_vccnz .LBB127_797
; %bb.796:
	v_mov_b32_e32 v0, v6
	v_mov_b32_e32 v1, v7
.LBB127_797:
	v_mov_b32_e32 v2, 0
	v_mov_b32_e32 v3, v2
	global_store_dwordx4 v[10:11], v[0:3], off
	s_mov_b64 s[10:11], 0
.LBB127_798:
	s_and_b64 vcc, exec, s[10:11]
	s_cbranch_vccz .LBB127_809
; %bb.799:
	s_cmpk_lt_i32 s59, 0x80
	s_cbranch_scc1 .LBB127_803
; %bb.800:
	s_and_b32 s10, 0xffff, s59
	s_cmpk_eq_i32 s10, 0x80
	s_mov_b64 s[10:11], -1
	s_cbranch_scc0 .LBB127_802
; %bb.801:
	s_mov_b64 s[10:11], 0
.LBB127_802:
	s_mov_b64 s[12:13], 0
	s_branch .LBB127_804
.LBB127_803:
	s_mov_b64 s[12:13], -1
	s_mov_b64 s[10:11], 0
.LBB127_804:
	s_mov_b32 s15, 0x7f800001
	s_and_b64 vcc, exec, s[12:13]
	s_cbranch_vccz .LBB127_806
; %bb.805:
	s_and_b32 s15, 0xffff, s59
	s_cmp_lg_u32 s15, 0
	s_cselect_b64 s[10:11], -1, 0
.LBB127_806:
	s_andn2_b64 vcc, exec, s[10:11]
	s_cbranch_vccnz .LBB127_808
; %bb.807:
	s_mov_b32 s15, s61
.LBB127_808:
	v_mov_b32_e32 v0, s15
	v_mov_b32_e32 v1, 0
	global_store_dwordx2 v[10:11], v[0:1], off
.LBB127_809:
	s_mov_b64 s[10:11], 0
.LBB127_810:
	s_andn2_b64 vcc, exec, s[10:11]
	s_cbranch_vccnz .LBB127_821
; %bb.811:
	s_cmpk_lt_i32 s59, 0x80
	s_cbranch_scc1 .LBB127_815
; %bb.812:
	s_and_b32 s10, 0xffff, s59
	s_cmpk_eq_i32 s10, 0x80
	s_mov_b64 s[10:11], -1
	s_cbranch_scc0 .LBB127_814
; %bb.813:
	s_mov_b64 s[10:11], 0
.LBB127_814:
	s_mov_b64 s[12:13], 0
	s_branch .LBB127_816
.LBB127_815:
	s_mov_b64 s[12:13], -1
	s_mov_b64 s[10:11], 0
.LBB127_816:
	s_movk_i32 s15, 0x7e00
	s_and_b64 vcc, exec, s[12:13]
	s_cbranch_vccz .LBB127_818
; %bb.817:
	s_and_b32 s15, 0xffff, s59
	s_cmp_lg_u32 s15, 0
	s_cselect_b64 s[10:11], -1, 0
.LBB127_818:
	s_andn2_b64 vcc, exec, s[10:11]
	v_mov_b32_e32 v0, s15
	s_cbranch_vccnz .LBB127_820
; %bb.819:
	v_mov_b32_e32 v0, v13
.LBB127_820:
	global_store_dword v[10:11], v0, off
.LBB127_821:
	s_mov_b64 s[10:11], 0
.LBB127_822:
	s_andn2_b64 vcc, exec, s[10:11]
	s_cbranch_vccnz .LBB127_859
; %bb.823:
	s_cmp_lt_i32 s14, 6
	s_mov_b64 s[10:11], -1
	s_cbranch_scc1 .LBB127_848
; %bb.824:
	s_cmp_gt_i32 s14, 6
	s_cbranch_scc0 .LBB127_836
; %bb.825:
	s_cmpk_lt_i32 s59, 0x80
	s_cbranch_scc1 .LBB127_829
; %bb.826:
	s_and_b32 s10, 0xffff, s59
	s_cmpk_eq_i32 s10, 0x80
	s_mov_b64 s[10:11], -1
	s_cbranch_scc0 .LBB127_828
; %bb.827:
	s_mov_b64 s[10:11], 0
.LBB127_828:
	s_mov_b64 s[12:13], 0
	s_branch .LBB127_830
.LBB127_829:
	s_mov_b64 s[12:13], -1
	s_mov_b64 s[10:11], 0
.LBB127_830:
	s_and_b64 vcc, exec, s[12:13]
	s_cbranch_vccz .LBB127_832
; %bb.831:
	s_and_b32 s10, 0xffff, s59
	s_cmp_lg_u32 s10, 0
	s_mov_b64 s[12:13], 0
	s_cselect_b64 s[10:11], -1, 0
	s_branch .LBB127_833
.LBB127_832:
	s_mov_b32 s13, 0x7ff80000
	s_brev_b32 s12, 4
.LBB127_833:
	v_mov_b32_e32 v0, s12
	s_andn2_b64 vcc, exec, s[10:11]
	v_mov_b32_e32 v1, s13
	s_cbranch_vccnz .LBB127_835
; %bb.834:
	v_mov_b32_e32 v0, v6
	v_mov_b32_e32 v1, v7
.LBB127_835:
	global_store_dwordx2 v[10:11], v[0:1], off
	s_mov_b64 s[10:11], 0
.LBB127_836:
	s_and_b64 vcc, exec, s[10:11]
	s_cbranch_vccz .LBB127_847
; %bb.837:
	s_cmpk_lt_i32 s59, 0x80
	s_cbranch_scc1 .LBB127_841
; %bb.838:
	s_and_b32 s10, 0xffff, s59
	s_cmpk_eq_i32 s10, 0x80
	s_mov_b64 s[10:11], -1
	s_cbranch_scc0 .LBB127_840
; %bb.839:
	s_mov_b64 s[10:11], 0
.LBB127_840:
	s_mov_b64 s[12:13], 0
	s_branch .LBB127_842
.LBB127_841:
	s_mov_b64 s[12:13], -1
	s_mov_b64 s[10:11], 0
.LBB127_842:
	s_mov_b32 s15, 0x7f800001
	s_and_b64 vcc, exec, s[12:13]
	s_cbranch_vccz .LBB127_844
; %bb.843:
	s_and_b32 s10, 0xffff, s59
	s_cmp_lg_u32 s10, 0
	s_mov_b32 s15, 0
	s_cselect_b64 s[10:11], -1, 0
.LBB127_844:
	s_andn2_b64 vcc, exec, s[10:11]
	s_cbranch_vccnz .LBB127_846
; %bb.845:
	s_mov_b32 s15, s61
.LBB127_846:
	v_mov_b32_e32 v0, s15
	global_store_dword v[10:11], v0, off
.LBB127_847:
	s_mov_b64 s[10:11], 0
.LBB127_848:
	s_andn2_b64 vcc, exec, s[10:11]
	s_cbranch_vccnz .LBB127_859
; %bb.849:
	s_cmpk_lt_i32 s59, 0x80
	s_cbranch_scc1 .LBB127_853
; %bb.850:
	s_and_b32 s10, 0xffff, s59
	s_cmpk_eq_i32 s10, 0x80
	s_mov_b64 s[10:11], -1
	s_cbranch_scc0 .LBB127_852
; %bb.851:
	s_mov_b64 s[10:11], 0
.LBB127_852:
	s_mov_b64 s[12:13], 0
	s_branch .LBB127_854
.LBB127_853:
	s_mov_b64 s[12:13], -1
	s_mov_b64 s[10:11], 0
.LBB127_854:
	s_movk_i32 s15, 0x7e00
	s_and_b64 vcc, exec, s[12:13]
	s_cbranch_vccz .LBB127_856
; %bb.855:
	s_and_b32 s10, 0xffff, s59
	s_cmp_lg_u32 s10, 0
	s_cselect_b64 s[10:11], -1, 0
	s_mov_b32 s15, s59
.LBB127_856:
	s_andn2_b64 vcc, exec, s[10:11]
	v_mov_b32_e32 v0, s15
	s_cbranch_vccnz .LBB127_858
; %bb.857:
	v_mov_b32_e32 v0, v13
.LBB127_858:
	global_store_short v[10:11], v0, off
.LBB127_859:
	s_mov_b64 s[10:11], 0
.LBB127_860:
	s_andn2_b64 vcc, exec, s[10:11]
	s_cbranch_vccnz .LBB127_911
; %bb.861:
	s_cmp_lt_i32 s14, 2
	s_mov_b64 s[10:11], -1
	s_cbranch_scc1 .LBB127_892
; %bb.862:
	s_cmp_lt_i32 s14, 3
	s_cbranch_scc1 .LBB127_882
; %bb.863:
	s_cmp_gt_i32 s14, 3
	s_cbranch_scc0 .LBB127_872
; %bb.864:
	s_cmpk_lt_i32 s59, 0x80
	s_cbranch_scc1 .LBB127_866
; %bb.865:
	s_and_b32 s10, 0xffff, s59
	s_cmpk_lg_i32 s10, 0x80
	s_mov_b64 s[12:13], 0
	s_cselect_b64 s[10:11], -1, 0
	s_branch .LBB127_867
.LBB127_866:
	s_mov_b64 s[12:13], -1
	s_mov_b64 s[10:11], 0
.LBB127_867:
	s_andn2_b64 vcc, exec, s[12:13]
	s_cbranch_vccnz .LBB127_869
; %bb.868:
	s_and_b32 s10, 0xffff, s59
	s_cmp_lg_u32 s10, 0
	s_cselect_b64 s[10:11], -1, 0
.LBB127_869:
	v_mov_b32_e32 v0, 0
	s_andn2_b64 vcc, exec, s[10:11]
	v_mov_b32_e32 v1, 0
	s_cbranch_vccnz .LBB127_871
; %bb.870:
	v_mov_b32_e32 v0, v4
	v_mov_b32_e32 v1, v5
.LBB127_871:
	global_store_dwordx2 v[10:11], v[0:1], off
	s_mov_b64 s[10:11], 0
.LBB127_872:
	s_and_b64 vcc, exec, s[10:11]
	s_cbranch_vccz .LBB127_881
; %bb.873:
	s_cmpk_lt_i32 s59, 0x80
	s_cbranch_scc1 .LBB127_875
; %bb.874:
	s_and_b32 s10, 0xffff, s59
	s_cmpk_lg_i32 s10, 0x80
	s_mov_b64 s[12:13], 0
	s_cselect_b64 s[10:11], -1, 0
	s_branch .LBB127_876
.LBB127_875:
	s_mov_b64 s[12:13], -1
	s_mov_b64 s[10:11], 0
.LBB127_876:
	s_andn2_b64 vcc, exec, s[12:13]
	s_cbranch_vccnz .LBB127_878
; %bb.877:
	s_and_b32 s10, 0xffff, s59
	s_cmp_lg_u32 s10, 0
	s_cselect_b64 s[10:11], -1, 0
.LBB127_878:
	s_andn2_b64 vcc, exec, s[10:11]
	v_mov_b32_e32 v0, 0
	s_cbranch_vccnz .LBB127_880
; %bb.879:
	v_mov_b32_e32 v0, v12
.LBB127_880:
	global_store_dword v[10:11], v0, off
.LBB127_881:
	s_mov_b64 s[10:11], 0
.LBB127_882:
	s_andn2_b64 vcc, exec, s[10:11]
	s_cbranch_vccnz .LBB127_891
; %bb.883:
	s_cmpk_lt_i32 s59, 0x80
	s_cbranch_scc1 .LBB127_885
; %bb.884:
	s_and_b32 s10, 0xffff, s59
	s_cmpk_lg_i32 s10, 0x80
	s_mov_b64 s[12:13], 0
	s_cselect_b64 s[10:11], -1, 0
	s_branch .LBB127_886
.LBB127_885:
	s_mov_b64 s[12:13], -1
	s_mov_b64 s[10:11], 0
.LBB127_886:
	s_andn2_b64 vcc, exec, s[12:13]
	s_cbranch_vccnz .LBB127_888
; %bb.887:
	s_and_b32 s10, 0xffff, s59
	s_cmp_lg_u32 s10, 0
	s_cselect_b64 s[10:11], -1, 0
.LBB127_888:
	s_andn2_b64 vcc, exec, s[10:11]
	v_mov_b32_e32 v0, 0
	s_cbranch_vccnz .LBB127_890
; %bb.889:
	v_mov_b32_e32 v0, v12
.LBB127_890:
	global_store_short v[10:11], v0, off
.LBB127_891:
	s_mov_b64 s[10:11], 0
.LBB127_892:
	s_andn2_b64 vcc, exec, s[10:11]
	s_cbranch_vccnz .LBB127_911
; %bb.893:
	s_cmp_gt_i32 s14, 0
	s_mov_b64 s[10:11], -1
	s_cbranch_scc0 .LBB127_902
; %bb.894:
	s_cmpk_lt_i32 s59, 0x80
	s_cbranch_scc1 .LBB127_896
; %bb.895:
	s_and_b32 s10, 0xffff, s59
	s_cmpk_lg_i32 s10, 0x80
	s_mov_b64 s[12:13], 0
	s_cselect_b64 s[10:11], -1, 0
	s_branch .LBB127_897
.LBB127_896:
	s_mov_b64 s[12:13], -1
	s_mov_b64 s[10:11], 0
.LBB127_897:
	s_andn2_b64 vcc, exec, s[12:13]
	s_cbranch_vccnz .LBB127_899
; %bb.898:
	s_and_b32 s10, 0xffff, s59
	s_cmp_lg_u32 s10, 0
	s_cselect_b64 s[10:11], -1, 0
.LBB127_899:
	s_andn2_b64 vcc, exec, s[10:11]
	v_mov_b32_e32 v0, 0
	s_cbranch_vccnz .LBB127_901
; %bb.900:
	v_mov_b32_e32 v0, v12
.LBB127_901:
	global_store_byte v[10:11], v0, off
	s_mov_b64 s[10:11], 0
.LBB127_902:
	s_and_b64 vcc, exec, s[10:11]
	s_cbranch_vccz .LBB127_911
; %bb.903:
	s_cmpk_lt_i32 s59, 0x80
	s_cbranch_scc1 .LBB127_905
; %bb.904:
	s_and_b32 s10, 0xffff, s59
	s_cmpk_lg_i32 s10, 0x80
	s_mov_b64 s[12:13], 0
	s_cselect_b64 s[10:11], -1, 0
	s_branch .LBB127_906
.LBB127_905:
	s_mov_b64 s[12:13], -1
	s_mov_b64 s[10:11], 0
.LBB127_906:
	s_andn2_b64 vcc, exec, s[12:13]
	s_cbranch_vccnz .LBB127_908
; %bb.907:
	s_and_b32 s10, 0xffff, s59
	s_cmp_lg_u32 s10, 0
	s_cselect_b64 s[10:11], -1, 0
.LBB127_908:
	s_andn2_b64 vcc, exec, s[10:11]
	v_mov_b32_e32 v0, 0
	s_cbranch_vccnz .LBB127_910
; %bb.909:
	v_mov_b32_e32 v0, v4
.LBB127_910:
	global_store_byte v[10:11], v0, off
.LBB127_911:
	s_mov_b64 s[10:11], -1
.LBB127_912:
	s_andn2_b64 vcc, exec, s[10:11]
	s_cbranch_vccnz .LBB127_914
; %bb.913:
	v_add_u32_e32 v15, 0x80, v15
	s_mov_b64 s[10:11], -1
	s_branch .LBB127_915
.LBB127_914:
	s_mov_b64 s[10:11], 0
                                        ; implicit-def: $vgpr15
.LBB127_915:
	s_andn2_b64 s[12:13], s[48:49], exec
	s_and_b64 s[8:9], s[8:9], exec
	s_or_b64 s[54:55], s[12:13], s[8:9]
	s_orn2_b64 s[10:11], s[10:11], exec
.LBB127_916:
	s_or_b64 exec, exec, s[52:53]
	s_mov_b64 s[8:9], 0
	s_mov_b64 s[12:13], 0
                                        ; implicit-def: $vgpr10_vgpr11
	s_and_saveexec_b64 s[52:53], s[10:11]
	s_cbranch_execz .LBB127_1085
; %bb.917:
	v_cmp_gt_i32_e32 vcc, s64, v15
	s_mov_b64 s[10:11], s[54:55]
                                        ; implicit-def: $vgpr10_vgpr11
	s_and_saveexec_b64 s[56:57], vcc
	s_cbranch_execz .LBB127_1084
; %bb.918:
	s_andn2_b64 vcc, exec, s[30:31]
	s_cbranch_vccnz .LBB127_923
; %bb.919:
	s_andn2_b64 vcc, exec, s[42:43]
	s_cbranch_vccnz .LBB127_924
; %bb.920:
	s_add_i32 s65, s65, 1
	s_cmp_eq_u32 s58, 2
	s_cbranch_scc1 .LBB127_925
; %bb.921:
	s_and_b32 s64, s65, 28
	s_mov_b32 s66, 0
	v_mov_b32_e32 v0, 0
	s_mov_b64 s[42:43], s[24:25]
	v_mov_b32_e32 v1, v15
.LBB127_922:                            ; =>This Inner Loop Header: Depth=1
	s_load_dwordx8 s[8:15], s[42:43], 0x4
	s_load_dwordx4 s[16:19], s[42:43], 0x24
	s_load_dwordx4 s[20:23], s[40:41], 0x0
	s_add_u32 s42, s42, 48
	s_addc_u32 s43, s43, 0
	s_waitcnt lgkmcnt(0)
	v_mul_hi_u32 v2, s9, v1
	s_add_i32 s66, s66, 4
	s_add_u32 s40, s40, 16
	s_addc_u32 s41, s41, 0
	v_add_u32_e32 v2, v1, v2
	v_lshrrev_b32_e32 v2, s10, v2
	v_mul_lo_u32 v3, v2, s8
	v_mul_hi_u32 v10, s12, v2
	s_cmp_eq_u32 s64, s66
	v_sub_u32_e32 v1, v1, v3
	v_add_u32_e32 v3, v2, v10
	v_lshrrev_b32_e32 v3, s13, v3
	v_mul_lo_u32 v10, v1, s20
	v_mul_hi_u32 v1, s15, v3
	v_mul_lo_u32 v17, v3, s11
	v_add_u32_e32 v1, v3, v1
	v_lshrrev_b32_e32 v11, s16, v1
	v_mul_hi_u32 v1, s18, v11
	v_sub_u32_e32 v2, v2, v17
	v_mul_lo_u32 v17, v11, s14
	v_mul_lo_u32 v2, v2, s21
	v_add_u32_e32 v1, v11, v1
	v_lshrrev_b32_e32 v1, s19, v1
	v_mul_lo_u32 v18, v1, s17
	v_sub_u32_e32 v3, v3, v17
	v_mul_lo_u32 v3, v3, s22
	v_add3_u32 v0, v10, v0, v2
	v_sub_u32_e32 v11, v11, v18
	v_mul_lo_u32 v11, v11, s23
	v_add3_u32 v0, v3, v0, v11
	s_cbranch_scc0 .LBB127_922
	s_branch .LBB127_926
.LBB127_923:
	s_mov_b64 s[8:9], -1
                                        ; implicit-def: $vgpr0
	s_branch .LBB127_930
.LBB127_924:
	v_mov_b32_e32 v0, 0
	s_branch .LBB127_929
.LBB127_925:
	v_mov_b32_e32 v0, 0
	s_mov_b32 s64, 0
	v_mov_b32_e32 v1, v15
.LBB127_926:
	s_and_b32 s12, s65, 3
	s_cmp_eq_u32 s12, 0
	s_cbranch_scc1 .LBB127_929
; %bb.927:
	s_lshl_b32 s8, s64, 2
	s_add_u32 s8, s24, s8
	s_addc_u32 s9, s25, 0
	s_add_u32 s8, s8, 0xc4
	s_addc_u32 s9, s9, 0
	s_mul_i32 s10, s64, 12
	s_add_u32 s10, s24, s10
	s_addc_u32 s11, s25, 0
.LBB127_928:                            ; =>This Inner Loop Header: Depth=1
	s_load_dwordx2 s[14:15], s[10:11], 0x4
	s_load_dword s13, s[10:11], 0xc
	s_add_u32 s10, s10, 12
	s_addc_u32 s11, s11, 0
	s_waitcnt lgkmcnt(0)
	v_mul_hi_u32 v2, s15, v1
	s_load_dword s15, s[8:9], 0x0
	s_add_u32 s8, s8, 4
	s_addc_u32 s9, s9, 0
	v_add_u32_e32 v2, v1, v2
	v_lshrrev_b32_e32 v2, s13, v2
	v_mul_lo_u32 v3, v2, s14
	s_add_i32 s12, s12, -1
	s_cmp_lg_u32 s12, 0
	v_sub_u32_e32 v1, v1, v3
	s_waitcnt lgkmcnt(0)
	v_mad_u64_u32 v[0:1], s[14:15], v1, s15, v[0:1]
	v_mov_b32_e32 v1, v2
	s_cbranch_scc1 .LBB127_928
.LBB127_929:
	s_mov_b64 s[8:9], 0
.LBB127_930:
	s_andn2_b64 vcc, exec, s[8:9]
	s_cbranch_vccnz .LBB127_933
; %bb.931:
	v_mul_hi_u32 v0, s1, v15
	s_andn2_b64 vcc, exec, s[38:39]
	v_add_u32_e32 v0, v15, v0
	v_lshrrev_b32_e32 v1, s2, v0
	v_mul_lo_u32 v0, v1, s0
	v_sub_u32_e32 v0, v15, v0
	v_mul_lo_u32 v0, v0, s34
	s_cbranch_vccnz .LBB127_933
; %bb.932:
	v_mul_hi_u32 v2, s36, v1
	v_add_u32_e32 v2, v1, v2
	v_lshrrev_b32_e32 v2, s37, v2
	v_mul_lo_u32 v2, v2, s3
	v_sub_u32_e32 v1, v1, v2
	v_mad_u64_u32 v[0:1], s[0:1], v1, s35, v[0:1]
.LBB127_933:
	v_mov_b32_e32 v1, s7
	s_and_b32 s10, 0xffff, s60
	v_add_co_u32_e32 v10, vcc, s6, v0
	s_cmp_lt_i32 s10, 11
	v_addc_co_u32_e32 v11, vcc, 0, v1, vcc
	s_cbranch_scc1 .LBB127_943
; %bb.934:
	s_mov_b64 s[6:7], -1
	s_cmp_gt_i32 s10, 25
	s_mov_b64 s[0:1], s[54:55]
	s_cbranch_scc0 .LBB127_1018
; %bb.935:
	s_mov_b64 s[2:3], -1
	s_cmp_gt_i32 s10, 28
	s_mov_b64 s[0:1], s[54:55]
	s_cbranch_scc0 .LBB127_977
; %bb.936:
	s_cmp_gt_i32 s10, 43
	s_mov_b64 s[0:1], s[54:55]
	s_cbranch_scc0 .LBB127_964
; %bb.937:
	;; [unrolled: 4-line block ×3, first 2 shown]
	s_cmp_eq_u32 s10, 46
	s_mov_b64 s[0:1], -1
	s_cbranch_scc0 .LBB127_950
; %bb.939:
	s_cmpk_lt_i32 s59, 0x80
	s_cbranch_scc1 .LBB127_944
; %bb.940:
	s_and_b32 s0, 0xffff, s59
	s_cmpk_eq_i32 s0, 0x80
	s_mov_b64 s[0:1], -1
	s_cbranch_scc0 .LBB127_942
; %bb.941:
	s_mov_b64 s[0:1], 0
.LBB127_942:
	s_mov_b64 s[2:3], 0
	s_branch .LBB127_945
.LBB127_943:
	s_mov_b64 s[6:7], 0
	s_mov_b64 s[2:3], -1
	s_mov_b64 s[0:1], s[54:55]
	s_branch .LBB127_1083
.LBB127_944:
	s_mov_b64 s[0:1], 0
.LBB127_945:
	s_mov_b32 s6, 0x7f800001
	s_and_b64 vcc, exec, s[2:3]
	s_cbranch_vccz .LBB127_947
; %bb.946:
	s_and_b32 s0, 0xffff, s59
	s_cmp_lg_u32 s0, 0
	s_mov_b32 s6, 0
	s_cselect_b64 s[0:1], -1, 0
.LBB127_947:
	s_andn2_b64 vcc, exec, s[0:1]
	s_cbranch_vccnz .LBB127_949
; %bb.948:
	s_mov_b32 s6, s61
.LBB127_949:
	s_bfe_u32 s0, s6, 0x10010
	s_add_i32 s0, s6, s0
	s_addk_i32 s0, 0x7fff
	s_lshr_b32 s2, s0, 16
	v_cmp_o_f32_e64 s[0:1], s6, s6
	s_and_b64 s[0:1], s[0:1], exec
	s_cselect_b32 s0, s2, 0x7fc0
	v_mov_b32_e32 v0, s0
	global_store_dword v[10:11], v0, off
	s_mov_b64 s[0:1], 0
.LBB127_950:
	s_mov_b64 s[2:3], 0
.LBB127_951:
	s_and_b64 vcc, exec, s[2:3]
	s_cbranch_vccz .LBB127_963
; %bb.952:
	s_cmp_eq_u32 s10, 44
	s_mov_b64 s[0:1], -1
	s_cbranch_scc0 .LBB127_963
; %bb.953:
	s_cmpk_lt_i32 s59, 0x80
	s_cbranch_scc1 .LBB127_957
; %bb.954:
	s_and_b32 s0, 0xffff, s59
	s_cmpk_eq_i32 s0, 0x80
	s_mov_b64 s[0:1], -1
	s_cbranch_scc0 .LBB127_956
; %bb.955:
	s_mov_b64 s[0:1], 0
.LBB127_956:
	s_mov_b64 s[2:3], 0
	s_branch .LBB127_958
.LBB127_957:
	s_mov_b64 s[2:3], -1
	s_mov_b64 s[0:1], 0
.LBB127_958:
	s_mov_b32 s6, 0x7f800001
	s_and_b64 vcc, exec, s[2:3]
	s_cbranch_vccz .LBB127_968
; %bb.959:
	s_and_b32 s6, 0xffff, s59
	s_cmp_lg_u32 s6, 0
	s_cselect_b64 s[0:1], -1, 0
	s_andn2_b64 vcc, exec, s[0:1]
	s_cbranch_vccz .LBB127_969
.LBB127_960:
	s_lshr_b32 s0, s6, 23
	s_cmpk_eq_i32 s0, 0xff
	v_mov_b32_e32 v0, 0xff
	s_cbranch_scc1 .LBB127_962
.LBB127_961:
	s_bitcmp1_b32 s6, 22
	s_cselect_b64 s[2:3], -1, 0
	s_and_b32 s1, s6, 0x3fffff
	s_or_b32 s1, s0, s1
	s_cmp_lg_u32 s1, 0
	s_cselect_b64 s[6:7], -1, 0
	s_and_b64 s[2:3], s[2:3], s[6:7]
	v_cndmask_b32_e64 v0, 0, 1, s[2:3]
	v_add_u32_e32 v0, s0, v0
.LBB127_962:
	s_mov_b64 s[0:1], 0
	global_store_byte v[10:11], v0, off
.LBB127_963:
	s_mov_b64 s[2:3], 0
.LBB127_964:
	s_and_b64 vcc, exec, s[2:3]
	s_cbranch_vccz .LBB127_976
; %bb.965:
	s_cmp_eq_u32 s10, 29
	s_mov_b64 s[0:1], -1
	s_cbranch_scc0 .LBB127_976
; %bb.966:
	s_cmpk_lt_i32 s59, 0x80
	s_cbranch_scc1 .LBB127_970
; %bb.967:
	s_and_b32 s0, 0xffff, s59
	s_cmpk_lg_i32 s0, 0x80
	s_mov_b64 s[2:3], 0
	s_cselect_b64 s[0:1], -1, 0
	s_branch .LBB127_971
.LBB127_968:
	s_andn2_b64 vcc, exec, s[0:1]
	s_cbranch_vccnz .LBB127_960
.LBB127_969:
	s_mov_b32 s6, s63
	s_lshr_b32 s0, s6, 23
	s_cmpk_eq_i32 s0, 0xff
	v_mov_b32_e32 v0, 0xff
	s_cbranch_scc0 .LBB127_961
	s_branch .LBB127_962
.LBB127_970:
	s_mov_b64 s[2:3], -1
	s_mov_b64 s[0:1], 0
.LBB127_971:
	s_andn2_b64 vcc, exec, s[2:3]
	s_cbranch_vccnz .LBB127_973
; %bb.972:
	s_and_b32 s0, 0xffff, s59
	s_cmp_lg_u32 s0, 0
	s_cselect_b64 s[0:1], -1, 0
.LBB127_973:
	v_mov_b32_e32 v0, 0
	s_andn2_b64 vcc, exec, s[0:1]
	v_mov_b32_e32 v1, 0
	s_cbranch_vccnz .LBB127_975
; %bb.974:
	v_mov_b32_e32 v0, v8
	v_mov_b32_e32 v1, v9
.LBB127_975:
	s_mov_b64 s[0:1], 0
	global_store_dwordx2 v[10:11], v[0:1], off
.LBB127_976:
	s_mov_b64 s[2:3], 0
.LBB127_977:
	s_and_b64 vcc, exec, s[2:3]
	s_cbranch_vccz .LBB127_1017
; %bb.978:
	s_cmp_lt_i32 s10, 27
	s_mov_b64 s[2:3], -1
	s_cbranch_scc1 .LBB127_998
; %bb.979:
	s_cmp_gt_i32 s10, 27
	s_cbranch_scc0 .LBB127_988
; %bb.980:
	s_cmpk_lt_i32 s59, 0x80
	s_cbranch_scc1 .LBB127_982
; %bb.981:
	s_and_b32 s2, 0xffff, s59
	s_cmpk_lg_i32 s2, 0x80
	s_mov_b64 s[6:7], 0
	s_cselect_b64 s[2:3], -1, 0
	s_branch .LBB127_983
.LBB127_982:
	s_mov_b64 s[6:7], -1
	s_mov_b64 s[2:3], 0
.LBB127_983:
	s_andn2_b64 vcc, exec, s[6:7]
	s_cbranch_vccnz .LBB127_985
; %bb.984:
	s_and_b32 s2, 0xffff, s59
	s_cmp_lg_u32 s2, 0
	s_cselect_b64 s[2:3], -1, 0
.LBB127_985:
	s_andn2_b64 vcc, exec, s[2:3]
	v_mov_b32_e32 v0, 0
	s_cbranch_vccnz .LBB127_987
; %bb.986:
	v_mov_b32_e32 v0, v16
.LBB127_987:
	global_store_dword v[10:11], v0, off
	s_mov_b64 s[2:3], 0
.LBB127_988:
	s_and_b64 vcc, exec, s[2:3]
	s_cbranch_vccz .LBB127_997
; %bb.989:
	s_cmpk_lt_i32 s59, 0x80
	s_cbranch_scc1 .LBB127_991
; %bb.990:
	s_and_b32 s2, 0xffff, s59
	s_cmpk_lg_i32 s2, 0x80
	s_mov_b64 s[6:7], 0
	s_cselect_b64 s[2:3], -1, 0
	s_branch .LBB127_992
.LBB127_991:
	s_mov_b64 s[6:7], -1
	s_mov_b64 s[2:3], 0
.LBB127_992:
	s_andn2_b64 vcc, exec, s[6:7]
	s_cbranch_vccnz .LBB127_994
; %bb.993:
	s_and_b32 s2, 0xffff, s59
	s_cmp_lg_u32 s2, 0
	s_cselect_b64 s[2:3], -1, 0
.LBB127_994:
	s_andn2_b64 vcc, exec, s[2:3]
	v_mov_b32_e32 v0, 0
	s_cbranch_vccnz .LBB127_996
; %bb.995:
	v_mov_b32_e32 v0, v16
.LBB127_996:
	global_store_short v[10:11], v0, off
.LBB127_997:
	s_mov_b64 s[2:3], 0
.LBB127_998:
	s_andn2_b64 vcc, exec, s[2:3]
	s_cbranch_vccnz .LBB127_1017
; %bb.999:
	s_cmpk_lt_i32 s59, 0x80
	s_cbranch_scc1 .LBB127_1003
; %bb.1000:
	s_and_b32 s2, 0xffff, s59
	s_cmpk_eq_i32 s2, 0x80
	s_mov_b64 s[2:3], -1
	s_cbranch_scc0 .LBB127_1002
; %bb.1001:
	s_mov_b64 s[2:3], 0
.LBB127_1002:
	s_mov_b64 s[6:7], 0
	s_branch .LBB127_1004
.LBB127_1003:
	s_mov_b64 s[6:7], -1
	s_mov_b64 s[2:3], 0
.LBB127_1004:
	s_mov_b32 s8, 0x7f800001
	s_and_b64 vcc, exec, s[6:7]
	s_cbranch_vccz .LBB127_1007
; %bb.1005:
	s_and_b32 s2, 0xffff, s59
	s_cmp_lg_u32 s2, 0
	s_mov_b32 s8, 0
	s_cselect_b64 s[2:3], -1, 0
	s_andn2_b64 vcc, exec, s[2:3]
	s_cbranch_vccz .LBB127_1008
.LBB127_1006:
	s_and_b32 s2, s8, 0x7fffffff
	s_cmp_gt_u32 s2, 0x437fffff
	v_mov_b32_e32 v1, 0x80
	s_cbranch_scc0 .LBB127_1009
	s_branch .LBB127_1016
.LBB127_1007:
	s_andn2_b64 vcc, exec, s[2:3]
	s_cbranch_vccnz .LBB127_1006
.LBB127_1008:
	s_mov_b32 s8, s61
	s_and_b32 s2, s8, 0x7fffffff
	s_cmp_gt_u32 s2, 0x437fffff
	v_mov_b32_e32 v1, 0x80
	s_cbranch_scc1 .LBB127_1016
.LBB127_1009:
	s_cmp_lt_u32 s2, 0x3c000000
	s_cbranch_scc1 .LBB127_1011
; %bb.1010:
	s_bfe_u32 s2, s8, 0x10014
	s_add_i32 s2, s8, s2
	s_add_i32 s2, s2, 0x487ffff
	s_lshr_b32 s9, s2, 20
	s_mov_b64 s[6:7], 0
	s_mov_b64 s[2:3], -1
	s_branch .LBB127_1012
.LBB127_1011:
	s_mov_b64 s[6:7], -1
	s_mov_b64 s[2:3], 0
                                        ; implicit-def: $sgpr9
.LBB127_1012:
	s_andn2_b64 vcc, exec, s[6:7]
	v_mov_b32_e32 v0, s9
	s_cbranch_vccnz .LBB127_1014
; %bb.1013:
	v_mov_b32_e32 v0, 0x46000000
	v_add_f32_e64 v0, |s8|, v0
	v_and_b32_e32 v0, 0xff, v0
	v_cmp_ne_u32_e64 s[2:3], 0, v0
.LBB127_1014:
	s_andn2_b64 vcc, exec, s[2:3]
	v_mov_b32_e32 v1, 0
	s_cbranch_vccnz .LBB127_1016
; %bb.1015:
	s_lshr_b32 s2, s8, 24
	s_and_b32 s2, s2, 0x80
	v_or_b32_e32 v1, s2, v0
.LBB127_1016:
	global_store_byte v[10:11], v1, off
.LBB127_1017:
	s_mov_b64 s[6:7], 0
.LBB127_1018:
	s_mov_b64 s[2:3], 0
	s_and_b64 vcc, exec, s[6:7]
	s_cbranch_vccz .LBB127_1028
; %bb.1019:
	s_cmp_gt_i32 s10, 22
	s_mov_b64 s[6:7], -1
	s_cbranch_scc0 .LBB127_1068
; %bb.1020:
	s_cmp_lt_i32 s10, 24
	s_cbranch_scc1 .LBB127_1046
; %bb.1021:
	s_cmp_gt_i32 s10, 24
	s_cbranch_scc0 .LBB127_1023
; %bb.1022:
	v_mov_b32_e32 v0, s62
	s_mov_b64 s[6:7], 0
	global_store_byte v[10:11], v0, off
.LBB127_1023:
	s_andn2_b64 vcc, exec, s[6:7]
	s_cbranch_vccnz .LBB127_1045
; %bb.1024:
	s_cmpk_lt_i32 s59, 0x80
	s_cbranch_scc1 .LBB127_1029
; %bb.1025:
	s_and_b32 s6, 0xffff, s59
	s_cmpk_eq_i32 s6, 0x80
	s_mov_b64 s[6:7], -1
	s_cbranch_scc0 .LBB127_1027
; %bb.1026:
	s_mov_b64 s[6:7], 0
.LBB127_1027:
	s_mov_b64 s[8:9], 0
	s_branch .LBB127_1030
.LBB127_1028:
	s_mov_b64 s[6:7], 0
	s_branch .LBB127_1083
.LBB127_1029:
	s_mov_b64 s[8:9], -1
	s_mov_b64 s[6:7], 0
.LBB127_1030:
	s_mov_b32 s11, 0x7f800001
	s_and_b64 vcc, exec, s[8:9]
	s_cbranch_vccz .LBB127_1035
; %bb.1031:
	s_and_b32 s6, 0xffff, s59
	s_cmp_lg_u32 s6, 0
	s_mov_b32 s11, 0
	s_cselect_b64 s[6:7], -1, 0
	s_andn2_b64 vcc, exec, s[6:7]
	s_cbranch_vccz .LBB127_1036
.LBB127_1032:
	s_and_b32 s8, s11, 0x7fffffff
	s_cmp_gt_u32 s8, 0x43efffff
	s_cbranch_scc1 .LBB127_1037
.LBB127_1033:
	s_cmp_lt_u32 s8, 0x3c800000
	s_cbranch_scc1 .LBB127_1038
; %bb.1034:
	s_bfe_u32 s6, s11, 0x10014
	s_add_i32 s6, s11, s6
	s_add_i32 s6, s6, 0x407ffff
	s_lshr_b32 s7, s6, 20
	s_and_b32 s6, s6, 0xff00000
	s_cmp_lg_u32 s6, 0x7f00000
	s_cselect_b32 s9, s7, 0x7e
	s_mov_b64 s[6:7], 0
	s_branch .LBB127_1039
.LBB127_1035:
	s_andn2_b64 vcc, exec, s[6:7]
	s_cbranch_vccnz .LBB127_1032
.LBB127_1036:
	s_mov_b32 s11, s61
	s_and_b32 s8, s11, 0x7fffffff
	s_cmp_gt_u32 s8, 0x43efffff
	s_cbranch_scc0 .LBB127_1033
.LBB127_1037:
	s_mov_b64 s[6:7], -1
                                        ; implicit-def: $vgpr0
	s_branch .LBB127_1042
.LBB127_1038:
	s_mov_b64 s[6:7], -1
                                        ; implicit-def: $sgpr9
.LBB127_1039:
	s_andn2_b64 vcc, exec, s[6:7]
	v_mov_b32_e32 v0, s9
	s_cbranch_vccnz .LBB127_1041
; %bb.1040:
	v_mov_b32_e32 v0, 0x46800000
	v_add_f32_e64 v0, |s11|, v0
.LBB127_1041:
	s_mov_b64 s[6:7], 0
.LBB127_1042:
	s_andn2_b64 vcc, exec, s[6:7]
	s_cbranch_vccnz .LBB127_1044
; %bb.1043:
	s_cmp_gt_u32 s8, 0x7f800000
	s_movk_i32 s6, 0x7f
	s_cselect_b32 s6, s6, 0x7e
	v_mov_b32_e32 v0, s6
.LBB127_1044:
	s_lshr_b32 s6, s11, 24
	s_and_b32 s6, s6, 0x80
	v_or_b32_e32 v0, s6, v0
	global_store_byte v[10:11], v0, off
.LBB127_1045:
	s_mov_b64 s[6:7], 0
.LBB127_1046:
	s_andn2_b64 vcc, exec, s[6:7]
	s_cbranch_vccnz .LBB127_1067
; %bb.1047:
	s_cmpk_lt_i32 s59, 0x80
	s_cbranch_scc1 .LBB127_1051
; %bb.1048:
	s_and_b32 s6, 0xffff, s59
	s_cmpk_eq_i32 s6, 0x80
	s_mov_b64 s[6:7], -1
	s_cbranch_scc0 .LBB127_1050
; %bb.1049:
	s_mov_b64 s[6:7], 0
.LBB127_1050:
	s_mov_b64 s[8:9], 0
	s_branch .LBB127_1052
.LBB127_1051:
	s_mov_b64 s[8:9], -1
	s_mov_b64 s[6:7], 0
.LBB127_1052:
	s_mov_b32 s11, 0x7f800001
	s_and_b64 vcc, exec, s[8:9]
	s_cbranch_vccz .LBB127_1057
; %bb.1053:
	s_and_b32 s6, 0xffff, s59
	s_cmp_lg_u32 s6, 0
	s_mov_b32 s11, 0
	s_cselect_b64 s[6:7], -1, 0
	s_andn2_b64 vcc, exec, s[6:7]
	s_cbranch_vccz .LBB127_1058
.LBB127_1054:
	s_and_b32 s8, s11, 0x7fffffff
	s_cmp_gt_u32 s8, 0x477fffff
	s_cbranch_scc1 .LBB127_1059
.LBB127_1055:
	s_cmp_lt_u32 s8, 0x38800000
	s_cbranch_scc1 .LBB127_1060
; %bb.1056:
	s_bfe_u32 s6, s11, 0x10015
	s_add_i32 s6, s11, s6
	s_add_i32 s6, s6, 0x80fffff
	s_lshr_b32 s9, s6, 21
	s_mov_b64 s[6:7], 0
	s_branch .LBB127_1061
.LBB127_1057:
	s_andn2_b64 vcc, exec, s[6:7]
	s_cbranch_vccnz .LBB127_1054
.LBB127_1058:
	s_mov_b32 s11, s61
	s_and_b32 s8, s11, 0x7fffffff
	s_cmp_gt_u32 s8, 0x477fffff
	s_cbranch_scc0 .LBB127_1055
.LBB127_1059:
	s_mov_b64 s[6:7], -1
                                        ; implicit-def: $vgpr0
	s_branch .LBB127_1064
.LBB127_1060:
	s_mov_b64 s[6:7], -1
                                        ; implicit-def: $sgpr9
.LBB127_1061:
	s_andn2_b64 vcc, exec, s[6:7]
	v_mov_b32_e32 v0, s9
	s_cbranch_vccnz .LBB127_1063
; %bb.1062:
	v_mov_b32_e32 v0, 0x43000000
	v_add_f32_e64 v0, |s11|, v0
.LBB127_1063:
	s_mov_b64 s[6:7], 0
.LBB127_1064:
	s_andn2_b64 vcc, exec, s[6:7]
	s_cbranch_vccnz .LBB127_1066
; %bb.1065:
	s_cmp_gt_u32 s8, 0x7f800000
	s_movk_i32 s6, 0x7f
	s_cselect_b32 s6, s6, 0x7c
	v_mov_b32_e32 v0, s6
.LBB127_1066:
	s_lshr_b32 s6, s11, 24
	s_and_b32 s6, s6, 0x80
	v_or_b32_e32 v0, s6, v0
	global_store_byte v[10:11], v0, off
.LBB127_1067:
	s_mov_b64 s[6:7], 0
.LBB127_1068:
	s_andn2_b64 vcc, exec, s[6:7]
	s_mov_b64 s[6:7], 0
	s_cbranch_vccnz .LBB127_1083
; %bb.1069:
	s_cmp_gt_i32 s10, 14
	s_mov_b64 s[8:9], -1
	s_cbranch_scc0 .LBB127_1081
; %bb.1070:
	s_cmp_eq_u32 s10, 15
	s_mov_b64 s[0:1], -1
	s_cbranch_scc0 .LBB127_1080
; %bb.1071:
	s_cmpk_lt_i32 s59, 0x80
	s_cbranch_scc1 .LBB127_1076
; %bb.1072:
	s_and_b32 s0, 0xffff, s59
	s_cmpk_eq_i32 s0, 0x80
	s_mov_b64 s[0:1], -1
	s_cbranch_scc0 .LBB127_1074
; %bb.1073:
	s_mov_b64 s[0:1], 0
	s_mov_b32 s8, 0x7f800001
	s_and_b64 vcc, exec, s[6:7]
	s_cbranch_vccz .LBB127_1077
	s_branch .LBB127_1075
.LBB127_1074:
	s_mov_b32 s8, 0x7f800001
	s_and_b64 vcc, exec, s[6:7]
	s_cbranch_vccz .LBB127_1077
.LBB127_1075:
	s_and_b32 s0, 0xffff, s59
	s_cmp_lg_u32 s0, 0
	s_mov_b32 s8, 0
	s_cselect_b64 s[0:1], -1, 0
	s_andn2_b64 vcc, exec, s[0:1]
	s_cbranch_vccz .LBB127_1078
	s_branch .LBB127_1079
.LBB127_1076:
	s_mov_b64 s[0:1], 0
	s_mov_b32 s8, 0x7f800001
	s_cbranch_execnz .LBB127_1075
.LBB127_1077:
	s_andn2_b64 vcc, exec, s[0:1]
	s_cbranch_vccnz .LBB127_1079
.LBB127_1078:
	s_mov_b32 s8, s61
.LBB127_1079:
	s_bfe_u32 s0, s8, 0x10010
	s_add_i32 s0, s8, s0
	s_addk_i32 s0, 0x7fff
	s_lshr_b32 s6, s0, 16
	v_cmp_o_f32_e64 s[0:1], s8, s8
	s_and_b64 s[0:1], s[0:1], exec
	s_cselect_b32 s0, s6, 0x7fc0
	v_mov_b32_e32 v0, s0
	global_store_short v[10:11], v0, off
	s_mov_b64 s[0:1], 0
.LBB127_1080:
	s_mov_b64 s[8:9], 0
.LBB127_1081:
	s_mov_b64 s[6:7], 0
	s_and_b64 vcc, exec, s[8:9]
	s_cbranch_vccz .LBB127_1083
; %bb.1082:
	s_cmp_lg_u32 s10, 11
	s_cselect_b64 s[8:9], -1, 0
	s_andn2_b64 s[0:1], s[0:1], exec
	s_and_b64 s[8:9], s[8:9], exec
	s_mov_b64 s[6:7], -1
	s_or_b64 s[0:1], s[0:1], s[8:9]
.LBB127_1083:
	s_and_b64 s[12:13], s[2:3], exec
	s_andn2_b64 s[2:3], s[54:55], exec
	s_and_b64 s[0:1], s[0:1], exec
	s_and_b64 s[8:9], s[6:7], exec
	s_or_b64 s[10:11], s[2:3], s[0:1]
.LBB127_1084:
	s_or_b64 exec, exec, s[56:57]
	s_andn2_b64 s[0:1], s[54:55], exec
	s_and_b64 s[2:3], s[10:11], exec
	s_and_b64 s[12:13], s[12:13], exec
	;; [unrolled: 1-line block ×3, first 2 shown]
	s_or_b64 s[54:55], s[0:1], s[2:3]
.LBB127_1085:
	s_or_b64 exec, exec, s[52:53]
	s_andn2_b64 s[0:1], s[48:49], exec
	s_and_b64 s[2:3], s[54:55], exec
	s_and_b64 s[12:13], s[12:13], exec
	;; [unrolled: 1-line block ×3, first 2 shown]
	s_or_b64 s[48:49], s[0:1], s[2:3]
.LBB127_1086:
	s_or_b64 exec, exec, s[50:51]
	s_andn2_b64 s[0:1], s[44:45], exec
	s_and_b64 s[2:3], s[48:49], exec
	s_and_b64 s[8:9], s[12:13], exec
	;; [unrolled: 1-line block ×3, first 2 shown]
	s_or_b64 s[44:45], s[0:1], s[2:3]
	s_or_b64 exec, exec, s[46:47]
	s_mov_b64 s[0:1], 0
	s_and_saveexec_b64 s[2:3], s[44:45]
	s_cbranch_execz .LBB127_311
.LBB127_1087:
	s_mov_b64 s[0:1], exec
	s_andn2_b64 s[50:51], s[50:51], exec
	s_trap 2
	s_or_b64 exec, exec, s[2:3]
	s_and_saveexec_b64 s[2:3], s[50:51]
	s_xor_b64 s[2:3], exec, s[2:3]
	s_cbranch_execnz .LBB127_312
.LBB127_1088:
	s_or_b64 exec, exec, s[2:3]
	s_and_saveexec_b64 s[2:3], s[8:9]
	s_xor_b64 s[2:3], exec, s[2:3]
	s_cbranch_execz .LBB127_1217
.LBB127_1089:
	s_sext_i32_i16 s8, s60
	s_cmp_lt_i32 s8, 5
	s_mov_b64 s[6:7], -1
	s_cbranch_scc1 .LBB127_1166
; %bb.1090:
	s_cmp_lt_i32 s8, 8
	s_cbranch_scc1 .LBB127_1128
; %bb.1091:
	s_cmp_lt_i32 s8, 9
	s_cbranch_scc1 .LBB127_1116
; %bb.1092:
	s_cmp_gt_i32 s8, 9
	s_cbranch_scc0 .LBB127_1104
; %bb.1093:
	s_cmpk_lt_i32 s59, 0x80
	s_cbranch_scc1 .LBB127_1097
; %bb.1094:
	s_and_b32 s6, 0xffff, s59
	s_cmpk_eq_i32 s6, 0x80
	s_mov_b64 s[6:7], -1
	s_cbranch_scc0 .LBB127_1096
; %bb.1095:
	s_mov_b64 s[6:7], 0
.LBB127_1096:
	s_mov_b64 s[8:9], 0
	s_branch .LBB127_1098
.LBB127_1097:
	s_mov_b64 s[8:9], -1
	s_mov_b64 s[6:7], 0
.LBB127_1098:
	s_and_b64 vcc, exec, s[8:9]
	s_cbranch_vccz .LBB127_1100
; %bb.1099:
	s_and_b32 s6, 0xffff, s59
	s_cmp_lg_u32 s6, 0
	s_mov_b64 s[8:9], 0
	s_cselect_b64 s[6:7], -1, 0
	s_branch .LBB127_1101
.LBB127_1100:
	s_mov_b32 s9, 0x7ff80000
	s_brev_b32 s8, 4
.LBB127_1101:
	v_mov_b32_e32 v0, s8
	s_andn2_b64 vcc, exec, s[6:7]
	v_mov_b32_e32 v1, s9
	s_cbranch_vccnz .LBB127_1103
; %bb.1102:
	v_mov_b32_e32 v0, v6
	v_mov_b32_e32 v1, v7
.LBB127_1103:
	v_mov_b32_e32 v2, 0
	v_mov_b32_e32 v3, v2
	global_store_dwordx4 v[10:11], v[0:3], off
	s_mov_b64 s[6:7], 0
.LBB127_1104:
	s_and_b64 vcc, exec, s[6:7]
	s_cbranch_vccz .LBB127_1115
; %bb.1105:
	s_cmpk_lt_i32 s59, 0x80
	s_cbranch_scc1 .LBB127_1109
; %bb.1106:
	s_and_b32 s6, 0xffff, s59
	s_cmpk_eq_i32 s6, 0x80
	s_mov_b64 s[6:7], -1
	s_cbranch_scc0 .LBB127_1108
; %bb.1107:
	s_mov_b64 s[6:7], 0
.LBB127_1108:
	s_mov_b64 s[8:9], 0
	s_branch .LBB127_1110
.LBB127_1109:
	s_mov_b64 s[8:9], -1
	s_mov_b64 s[6:7], 0
.LBB127_1110:
	s_mov_b32 s10, 0x7f800001
	s_and_b64 vcc, exec, s[8:9]
	s_cbranch_vccz .LBB127_1112
; %bb.1111:
	s_and_b32 s10, 0xffff, s59
	s_cmp_lg_u32 s10, 0
	s_cselect_b64 s[6:7], -1, 0
.LBB127_1112:
	s_andn2_b64 vcc, exec, s[6:7]
	s_cbranch_vccnz .LBB127_1114
; %bb.1113:
	s_mov_b32 s10, s61
.LBB127_1114:
	v_mov_b32_e32 v0, s10
	v_mov_b32_e32 v1, 0
	global_store_dwordx2 v[10:11], v[0:1], off
.LBB127_1115:
	s_mov_b64 s[6:7], 0
.LBB127_1116:
	s_andn2_b64 vcc, exec, s[6:7]
	s_cbranch_vccnz .LBB127_1127
; %bb.1117:
	s_cmpk_lt_i32 s59, 0x80
	s_cbranch_scc1 .LBB127_1121
; %bb.1118:
	s_and_b32 s6, 0xffff, s59
	s_cmpk_eq_i32 s6, 0x80
	s_mov_b64 s[6:7], -1
	s_cbranch_scc0 .LBB127_1120
; %bb.1119:
	s_mov_b64 s[6:7], 0
.LBB127_1120:
	s_mov_b64 s[8:9], 0
	s_branch .LBB127_1122
.LBB127_1121:
	s_mov_b64 s[8:9], -1
	s_mov_b64 s[6:7], 0
.LBB127_1122:
	s_movk_i32 s10, 0x7e00
	s_and_b64 vcc, exec, s[8:9]
	s_cbranch_vccz .LBB127_1124
; %bb.1123:
	s_and_b32 s10, 0xffff, s59
	s_cmp_lg_u32 s10, 0
	s_cselect_b64 s[6:7], -1, 0
.LBB127_1124:
	s_andn2_b64 vcc, exec, s[6:7]
	v_mov_b32_e32 v0, s10
	s_cbranch_vccnz .LBB127_1126
; %bb.1125:
	v_mov_b32_e32 v0, v13
.LBB127_1126:
	global_store_dword v[10:11], v0, off
.LBB127_1127:
	s_mov_b64 s[6:7], 0
.LBB127_1128:
	s_andn2_b64 vcc, exec, s[6:7]
	s_cbranch_vccnz .LBB127_1165
; %bb.1129:
	s_sext_i32_i16 s8, s60
	s_cmp_lt_i32 s8, 6
	s_mov_b64 s[6:7], -1
	s_cbranch_scc1 .LBB127_1154
; %bb.1130:
	s_cmp_gt_i32 s8, 6
	s_cbranch_scc0 .LBB127_1142
; %bb.1131:
	s_cmpk_lt_i32 s59, 0x80
	s_cbranch_scc1 .LBB127_1135
; %bb.1132:
	s_and_b32 s6, 0xffff, s59
	s_cmpk_eq_i32 s6, 0x80
	s_mov_b64 s[6:7], -1
	s_cbranch_scc0 .LBB127_1134
; %bb.1133:
	s_mov_b64 s[6:7], 0
.LBB127_1134:
	s_mov_b64 s[8:9], 0
	s_branch .LBB127_1136
.LBB127_1135:
	s_mov_b64 s[8:9], -1
	s_mov_b64 s[6:7], 0
.LBB127_1136:
	s_and_b64 vcc, exec, s[8:9]
	s_cbranch_vccz .LBB127_1138
; %bb.1137:
	s_and_b32 s6, 0xffff, s59
	s_cmp_lg_u32 s6, 0
	s_mov_b64 s[8:9], 0
	s_cselect_b64 s[6:7], -1, 0
	s_branch .LBB127_1139
.LBB127_1138:
	s_mov_b32 s9, 0x7ff80000
	s_brev_b32 s8, 4
.LBB127_1139:
	v_mov_b32_e32 v0, s8
	s_andn2_b64 vcc, exec, s[6:7]
	v_mov_b32_e32 v1, s9
	s_cbranch_vccnz .LBB127_1141
; %bb.1140:
	v_mov_b32_e32 v0, v6
	v_mov_b32_e32 v1, v7
.LBB127_1141:
	global_store_dwordx2 v[10:11], v[0:1], off
	s_mov_b64 s[6:7], 0
.LBB127_1142:
	s_and_b64 vcc, exec, s[6:7]
	s_cbranch_vccz .LBB127_1153
; %bb.1143:
	s_cmpk_lt_i32 s59, 0x80
	s_cbranch_scc1 .LBB127_1147
; %bb.1144:
	s_and_b32 s6, 0xffff, s59
	s_cmpk_eq_i32 s6, 0x80
	s_mov_b64 s[6:7], -1
	s_cbranch_scc0 .LBB127_1146
; %bb.1145:
	s_mov_b64 s[6:7], 0
.LBB127_1146:
	s_mov_b64 s[8:9], 0
	s_branch .LBB127_1148
.LBB127_1147:
	s_mov_b64 s[8:9], -1
	s_mov_b64 s[6:7], 0
.LBB127_1148:
	s_mov_b32 s10, 0x7f800001
	s_and_b64 vcc, exec, s[8:9]
	s_cbranch_vccz .LBB127_1150
; %bb.1149:
	s_and_b32 s6, 0xffff, s59
	s_cmp_lg_u32 s6, 0
	s_mov_b32 s10, 0
	s_cselect_b64 s[6:7], -1, 0
.LBB127_1150:
	s_andn2_b64 vcc, exec, s[6:7]
	s_cbranch_vccnz .LBB127_1152
; %bb.1151:
	s_mov_b32 s10, s61
.LBB127_1152:
	v_mov_b32_e32 v0, s10
	global_store_dword v[10:11], v0, off
.LBB127_1153:
	s_mov_b64 s[6:7], 0
.LBB127_1154:
	s_andn2_b64 vcc, exec, s[6:7]
	s_cbranch_vccnz .LBB127_1165
; %bb.1155:
	s_cmpk_lt_i32 s59, 0x80
	s_cbranch_scc1 .LBB127_1159
; %bb.1156:
	s_and_b32 s6, 0xffff, s59
	s_cmpk_eq_i32 s6, 0x80
	s_mov_b64 s[6:7], -1
	s_cbranch_scc0 .LBB127_1158
; %bb.1157:
	s_mov_b64 s[6:7], 0
.LBB127_1158:
	s_mov_b64 s[8:9], 0
	s_branch .LBB127_1160
.LBB127_1159:
	s_mov_b64 s[8:9], -1
	s_mov_b64 s[6:7], 0
.LBB127_1160:
	s_movk_i32 s10, 0x7e00
	s_and_b64 vcc, exec, s[8:9]
	s_cbranch_vccz .LBB127_1162
; %bb.1161:
	s_and_b32 s6, 0xffff, s59
	s_cmp_lg_u32 s6, 0
	s_cselect_b64 s[6:7], -1, 0
	s_mov_b32 s10, s59
.LBB127_1162:
	s_andn2_b64 vcc, exec, s[6:7]
	v_mov_b32_e32 v0, s10
	s_cbranch_vccnz .LBB127_1164
; %bb.1163:
	v_mov_b32_e32 v0, v13
.LBB127_1164:
	global_store_short v[10:11], v0, off
.LBB127_1165:
	s_mov_b64 s[6:7], 0
.LBB127_1166:
	s_andn2_b64 vcc, exec, s[6:7]
	s_cbranch_vccnz .LBB127_1217
; %bb.1167:
	s_sext_i32_i16 s8, s60
	s_cmp_lt_i32 s8, 2
	s_mov_b64 s[6:7], -1
	s_cbranch_scc1 .LBB127_1198
; %bb.1168:
	s_cmp_lt_i32 s8, 3
	s_cbranch_scc1 .LBB127_1188
; %bb.1169:
	s_cmp_gt_i32 s8, 3
	s_cbranch_scc0 .LBB127_1178
; %bb.1170:
	s_cmpk_lt_i32 s59, 0x80
	s_cbranch_scc1 .LBB127_1172
; %bb.1171:
	s_and_b32 s6, 0xffff, s59
	s_cmpk_lg_i32 s6, 0x80
	s_mov_b64 s[8:9], 0
	s_cselect_b64 s[6:7], -1, 0
	s_branch .LBB127_1173
.LBB127_1172:
	s_mov_b64 s[8:9], -1
	s_mov_b64 s[6:7], 0
.LBB127_1173:
	s_andn2_b64 vcc, exec, s[8:9]
	s_cbranch_vccnz .LBB127_1175
; %bb.1174:
	s_and_b32 s6, 0xffff, s59
	s_cmp_lg_u32 s6, 0
	s_cselect_b64 s[6:7], -1, 0
.LBB127_1175:
	v_mov_b32_e32 v0, 0
	s_andn2_b64 vcc, exec, s[6:7]
	v_mov_b32_e32 v1, 0
	s_cbranch_vccnz .LBB127_1177
; %bb.1176:
	v_mov_b32_e32 v0, v4
	v_mov_b32_e32 v1, v5
.LBB127_1177:
	global_store_dwordx2 v[10:11], v[0:1], off
	s_mov_b64 s[6:7], 0
.LBB127_1178:
	s_and_b64 vcc, exec, s[6:7]
	s_cbranch_vccz .LBB127_1187
; %bb.1179:
	s_cmpk_lt_i32 s59, 0x80
	s_cbranch_scc1 .LBB127_1181
; %bb.1180:
	s_and_b32 s6, 0xffff, s59
	s_cmpk_lg_i32 s6, 0x80
	s_mov_b64 s[8:9], 0
	s_cselect_b64 s[6:7], -1, 0
	s_branch .LBB127_1182
.LBB127_1181:
	s_mov_b64 s[8:9], -1
	s_mov_b64 s[6:7], 0
.LBB127_1182:
	s_andn2_b64 vcc, exec, s[8:9]
	s_cbranch_vccnz .LBB127_1184
; %bb.1183:
	s_and_b32 s6, 0xffff, s59
	s_cmp_lg_u32 s6, 0
	s_cselect_b64 s[6:7], -1, 0
.LBB127_1184:
	s_andn2_b64 vcc, exec, s[6:7]
	v_mov_b32_e32 v0, 0
	s_cbranch_vccnz .LBB127_1186
; %bb.1185:
	v_mov_b32_e32 v0, v12
.LBB127_1186:
	global_store_dword v[10:11], v0, off
.LBB127_1187:
	s_mov_b64 s[6:7], 0
.LBB127_1188:
	s_andn2_b64 vcc, exec, s[6:7]
	s_cbranch_vccnz .LBB127_1197
; %bb.1189:
	s_cmpk_lt_i32 s59, 0x80
	s_cbranch_scc1 .LBB127_1191
; %bb.1190:
	s_and_b32 s6, 0xffff, s59
	s_cmpk_lg_i32 s6, 0x80
	s_mov_b64 s[8:9], 0
	s_cselect_b64 s[6:7], -1, 0
	s_branch .LBB127_1192
.LBB127_1191:
	s_mov_b64 s[8:9], -1
	s_mov_b64 s[6:7], 0
.LBB127_1192:
	s_andn2_b64 vcc, exec, s[8:9]
	s_cbranch_vccnz .LBB127_1194
; %bb.1193:
	s_and_b32 s6, 0xffff, s59
	s_cmp_lg_u32 s6, 0
	s_cselect_b64 s[6:7], -1, 0
.LBB127_1194:
	s_andn2_b64 vcc, exec, s[6:7]
	v_mov_b32_e32 v0, 0
	s_cbranch_vccnz .LBB127_1196
; %bb.1195:
	v_mov_b32_e32 v0, v12
.LBB127_1196:
	global_store_short v[10:11], v0, off
.LBB127_1197:
	s_mov_b64 s[6:7], 0
.LBB127_1198:
	s_andn2_b64 vcc, exec, s[6:7]
	s_cbranch_vccnz .LBB127_1217
; %bb.1199:
	s_sext_i32_i16 s6, s60
	s_cmp_gt_i32 s6, 0
	s_mov_b64 s[6:7], -1
	s_cbranch_scc0 .LBB127_1208
; %bb.1200:
	s_cmpk_lt_i32 s59, 0x80
	s_cbranch_scc1 .LBB127_1202
; %bb.1201:
	s_and_b32 s6, 0xffff, s59
	s_cmpk_lg_i32 s6, 0x80
	s_mov_b64 s[8:9], 0
	s_cselect_b64 s[6:7], -1, 0
	s_branch .LBB127_1203
.LBB127_1202:
	s_mov_b64 s[8:9], -1
	s_mov_b64 s[6:7], 0
.LBB127_1203:
	s_andn2_b64 vcc, exec, s[8:9]
	s_cbranch_vccnz .LBB127_1205
; %bb.1204:
	s_and_b32 s6, 0xffff, s59
	s_cmp_lg_u32 s6, 0
	s_cselect_b64 s[6:7], -1, 0
.LBB127_1205:
	s_andn2_b64 vcc, exec, s[6:7]
	v_mov_b32_e32 v0, 0
	s_cbranch_vccnz .LBB127_1207
; %bb.1206:
	v_mov_b32_e32 v0, v12
.LBB127_1207:
	global_store_byte v[10:11], v0, off
	s_mov_b64 s[6:7], 0
.LBB127_1208:
	s_and_b64 vcc, exec, s[6:7]
	s_cbranch_vccz .LBB127_1217
; %bb.1209:
	s_cmpk_lt_i32 s59, 0x80
	s_cbranch_scc1 .LBB127_1211
; %bb.1210:
	s_and_b32 s6, 0xffff, s59
	s_cmpk_lg_i32 s6, 0x80
	s_mov_b64 s[8:9], 0
	s_cselect_b64 s[6:7], -1, 0
	s_branch .LBB127_1212
.LBB127_1211:
	s_mov_b64 s[8:9], -1
	s_mov_b64 s[6:7], 0
.LBB127_1212:
	s_andn2_b64 vcc, exec, s[8:9]
	s_cbranch_vccnz .LBB127_1214
; %bb.1213:
	s_and_b32 s6, 0xffff, s59
	s_cmp_lg_u32 s6, 0
	s_cselect_b64 s[6:7], -1, 0
.LBB127_1214:
	s_andn2_b64 vcc, exec, s[6:7]
	v_mov_b32_e32 v0, 0
	s_cbranch_vccnz .LBB127_1216
; %bb.1215:
	v_mov_b32_e32 v0, v4
.LBB127_1216:
	global_store_byte v[10:11], v0, off
.LBB127_1217:
	s_or_b64 exec, exec, s[2:3]
	s_and_b64 s[6:7], s[0:1], exec
                                        ; implicit-def: $vgpr2
                                        ; implicit-def: $vgpr15
.LBB127_1218:
	s_or_saveexec_b64 s[26:27], s[26:27]
	s_mov_b64 s[2:3], 0
                                        ; implicit-def: $vgpr4_vgpr5
                                        ; implicit-def: $sgpr12
                                        ; implicit-def: $sgpr16
	s_xor_b64 exec, exec, s[26:27]
	s_cbranch_execz .LBB127_2137
; %bb.1219:
	v_cndmask_b32_e64 v0, 0, 1, s[30:31]
	v_cmp_ne_u32_e64 s[0:1], 1, v0
	s_andn2_b64 vcc, exec, s[30:31]
	s_cbranch_vccnz .LBB127_1225
; %bb.1220:
	s_cmp_lg_u32 s33, 0
	s_mov_b32 s30, 0
	s_cbranch_scc0 .LBB127_1226
; %bb.1221:
	s_min_u32 s31, s58, 15
	s_add_i32 s31, s31, 1
	s_cmp_eq_u32 s58, 2
	s_cbranch_scc1 .LBB127_1227
; %bb.1222:
	s_and_b32 s30, s31, 28
	s_add_u32 s2, s24, 0xc4
	s_addc_u32 s3, s25, 0
	s_mov_b32 s34, 0
	v_mov_b32_e32 v0, 0
	s_mov_b64 s[28:29], s[24:25]
	v_mov_b32_e32 v1, v15
.LBB127_1223:                           ; =>This Inner Loop Header: Depth=1
	s_load_dwordx8 s[8:15], s[28:29], 0x4
	s_load_dwordx4 s[16:19], s[28:29], 0x24
	s_load_dwordx4 s[20:23], s[2:3], 0x0
	s_add_u32 s28, s28, 48
	s_addc_u32 s29, s29, 0
	s_waitcnt lgkmcnt(0)
	v_mul_hi_u32 v3, s9, v1
	s_add_i32 s34, s34, 4
	s_add_u32 s2, s2, 16
	s_addc_u32 s3, s3, 0
	v_add_u32_e32 v3, v1, v3
	v_lshrrev_b32_e32 v3, s10, v3
	v_mul_lo_u32 v4, v3, s8
	v_mul_hi_u32 v5, s12, v3
	s_cmp_lg_u32 s30, s34
	v_sub_u32_e32 v1, v1, v4
	v_add_u32_e32 v4, v3, v5
	v_lshrrev_b32_e32 v4, s13, v4
	v_mul_lo_u32 v5, v1, s20
	v_mul_hi_u32 v1, s15, v4
	v_mul_lo_u32 v7, v4, s11
	v_add_u32_e32 v1, v4, v1
	v_lshrrev_b32_e32 v6, s16, v1
	v_mul_hi_u32 v1, s18, v6
	v_sub_u32_e32 v3, v3, v7
	v_mul_lo_u32 v7, v6, s14
	v_mul_lo_u32 v3, v3, s21
	v_add_u32_e32 v1, v6, v1
	v_lshrrev_b32_e32 v1, s19, v1
	v_mul_lo_u32 v8, v1, s17
	v_sub_u32_e32 v4, v4, v7
	v_mul_lo_u32 v4, v4, s22
	v_add3_u32 v0, v5, v0, v3
	v_sub_u32_e32 v6, v6, v8
	v_mul_lo_u32 v6, v6, s23
	v_add3_u32 v0, v4, v0, v6
	s_cbranch_scc1 .LBB127_1223
; %bb.1224:
	s_and_b32 s10, s31, 3
	s_cmp_eq_u32 s10, 0
	s_cbranch_scc0 .LBB127_1228
	s_branch .LBB127_1230
.LBB127_1225:
                                        ; implicit-def: $vgpr0
	s_branch .LBB127_1231
.LBB127_1226:
	v_mov_b32_e32 v0, 0
	s_branch .LBB127_1230
.LBB127_1227:
	v_mov_b32_e32 v0, 0
	v_mov_b32_e32 v1, v15
	s_and_b32 s10, s31, 3
	s_cmp_eq_u32 s10, 0
	s_cbranch_scc1 .LBB127_1230
.LBB127_1228:
	s_lshl_b32 s2, s30, 2
	s_add_u32 s2, s24, s2
	s_addc_u32 s3, s25, 0
	s_add_u32 s2, s2, 0xc4
	s_addc_u32 s3, s3, 0
	s_mul_i32 s8, s30, 12
	s_add_u32 s8, s24, s8
	s_addc_u32 s9, s25, 0
.LBB127_1229:                           ; =>This Inner Loop Header: Depth=1
	s_load_dwordx2 s[12:13], s[8:9], 0x4
	s_load_dword s11, s[8:9], 0xc
	s_add_u32 s8, s8, 12
	s_addc_u32 s9, s9, 0
	s_waitcnt lgkmcnt(0)
	v_mul_hi_u32 v3, s13, v1
	s_load_dword s13, s[2:3], 0x0
	s_add_u32 s2, s2, 4
	s_addc_u32 s3, s3, 0
	v_add_u32_e32 v3, v1, v3
	v_lshrrev_b32_e32 v3, s11, v3
	v_mul_lo_u32 v4, v3, s12
	s_add_i32 s10, s10, -1
	s_cmp_lg_u32 s10, 0
	v_sub_u32_e32 v1, v1, v4
	s_waitcnt lgkmcnt(0)
	v_mad_u64_u32 v[0:1], s[12:13], v1, s13, v[0:1]
	v_mov_b32_e32 v1, v3
	s_cbranch_scc1 .LBB127_1229
.LBB127_1230:
	s_cbranch_execnz .LBB127_1233
.LBB127_1231:
	s_load_dwordx4 s[8:11], s[24:25], 0x4
	s_load_dword s2, s[24:25], 0xc4
	s_cmp_lt_u32 s33, 2
	s_waitcnt lgkmcnt(0)
	v_mul_hi_u32 v0, s9, v15
	v_add_u32_e32 v0, v15, v0
	v_lshrrev_b32_e32 v1, s10, v0
	v_mul_lo_u32 v0, v1, s8
	v_sub_u32_e32 v0, v15, v0
	v_mul_lo_u32 v0, v0, s2
	s_cbranch_scc1 .LBB127_1233
; %bb.1232:
	s_load_dwordx4 s[8:11], s[24:25], 0x10
	s_load_dword s2, s[24:25], 0xc8
	s_waitcnt lgkmcnt(0)
	v_mul_hi_u32 v3, s9, v1
	v_add_u32_e32 v3, v1, v3
	v_lshrrev_b32_e32 v3, s10, v3
	v_mul_lo_u32 v3, v3, s8
	v_sub_u32_e32 v1, v1, v3
	v_mad_u64_u32 v[0:1], s[2:3], v1, s2, v[0:1]
.LBB127_1233:
	s_and_b64 vcc, exec, s[0:1]
	v_add_u32_e32 v1, 0x80, v15
	s_cbranch_vccnz .LBB127_1239
; %bb.1234:
	s_cmp_lg_u32 s33, 0
	s_mov_b32 s30, 0
	s_cbranch_scc0 .LBB127_1240
; %bb.1235:
	s_min_u32 s31, s58, 15
	s_add_i32 s31, s31, 1
	s_cmp_eq_u32 s58, 2
	s_cbranch_scc1 .LBB127_1241
; %bb.1236:
	s_and_b32 s30, s31, 28
	s_add_u32 s2, s24, 0xc4
	s_addc_u32 s3, s25, 0
	s_mov_b32 s34, 0
	v_mov_b32_e32 v8, 0
	s_mov_b64 s[28:29], s[24:25]
	v_mov_b32_e32 v3, v1
.LBB127_1237:                           ; =>This Inner Loop Header: Depth=1
	s_load_dwordx8 s[8:15], s[28:29], 0x4
	s_load_dwordx4 s[16:19], s[28:29], 0x24
	s_load_dwordx4 s[20:23], s[2:3], 0x0
	s_add_u32 s28, s28, 48
	s_addc_u32 s29, s29, 0
	s_waitcnt lgkmcnt(0)
	v_mul_hi_u32 v4, s9, v3
	s_add_i32 s34, s34, 4
	s_add_u32 s2, s2, 16
	s_addc_u32 s3, s3, 0
	v_add_u32_e32 v4, v3, v4
	v_lshrrev_b32_e32 v4, s10, v4
	v_mul_lo_u32 v5, v4, s8
	v_mul_hi_u32 v6, s12, v4
	s_cmp_lg_u32 s30, s34
	v_sub_u32_e32 v3, v3, v5
	v_add_u32_e32 v5, v4, v6
	v_lshrrev_b32_e32 v5, s13, v5
	v_mul_lo_u32 v6, v3, s20
	v_mul_hi_u32 v3, s15, v5
	v_mul_lo_u32 v9, v5, s11
	v_add_u32_e32 v3, v5, v3
	v_lshrrev_b32_e32 v7, s16, v3
	v_mul_hi_u32 v3, s18, v7
	v_sub_u32_e32 v4, v4, v9
	v_mul_lo_u32 v9, v7, s14
	v_mul_lo_u32 v4, v4, s21
	v_add_u32_e32 v3, v7, v3
	v_lshrrev_b32_e32 v3, s19, v3
	v_mul_lo_u32 v10, v3, s17
	v_sub_u32_e32 v5, v5, v9
	v_mul_lo_u32 v5, v5, s22
	v_add3_u32 v4, v6, v8, v4
	v_sub_u32_e32 v7, v7, v10
	v_mul_lo_u32 v7, v7, s23
	v_add3_u32 v8, v5, v4, v7
	s_cbranch_scc1 .LBB127_1237
; %bb.1238:
	s_and_b32 s10, s31, 3
	s_cmp_eq_u32 s10, 0
	s_cbranch_scc0 .LBB127_1242
	s_branch .LBB127_1244
.LBB127_1239:
                                        ; implicit-def: $vgpr8
	s_branch .LBB127_1245
.LBB127_1240:
	v_mov_b32_e32 v8, 0
	s_branch .LBB127_1244
.LBB127_1241:
	v_mov_b32_e32 v8, 0
	v_mov_b32_e32 v3, v1
	s_and_b32 s10, s31, 3
	s_cmp_eq_u32 s10, 0
	s_cbranch_scc1 .LBB127_1244
.LBB127_1242:
	s_lshl_b32 s2, s30, 2
	s_add_u32 s2, s24, s2
	s_addc_u32 s3, s25, 0
	s_add_u32 s2, s2, 0xc4
	s_addc_u32 s3, s3, 0
	s_mul_i32 s8, s30, 12
	s_add_u32 s8, s24, s8
	s_addc_u32 s9, s25, 0
.LBB127_1243:                           ; =>This Inner Loop Header: Depth=1
	s_load_dwordx2 s[12:13], s[8:9], 0x4
	s_load_dword s11, s[8:9], 0xc
	s_add_u32 s8, s8, 12
	s_addc_u32 s9, s9, 0
	s_waitcnt lgkmcnt(0)
	v_mul_hi_u32 v4, s13, v3
	s_load_dword s13, s[2:3], 0x0
	s_add_u32 s2, s2, 4
	s_addc_u32 s3, s3, 0
	v_add_u32_e32 v4, v3, v4
	v_lshrrev_b32_e32 v4, s11, v4
	v_mul_lo_u32 v5, v4, s12
	s_add_i32 s10, s10, -1
	s_cmp_lg_u32 s10, 0
	v_sub_u32_e32 v3, v3, v5
	s_waitcnt lgkmcnt(0)
	v_mad_u64_u32 v[8:9], s[12:13], v3, s13, v[8:9]
	v_mov_b32_e32 v3, v4
	s_cbranch_scc1 .LBB127_1243
.LBB127_1244:
	s_cbranch_execnz .LBB127_1247
.LBB127_1245:
	s_load_dwordx4 s[8:11], s[24:25], 0x4
	s_load_dword s2, s[24:25], 0xc4
	s_cmp_lt_u32 s33, 2
	s_waitcnt lgkmcnt(0)
	v_mul_hi_u32 v3, s9, v1
	v_add_u32_e32 v3, v1, v3
	v_lshrrev_b32_e32 v3, s10, v3
	v_mul_lo_u32 v4, v3, s8
	v_sub_u32_e32 v1, v1, v4
	v_mul_lo_u32 v8, v1, s2
	s_cbranch_scc1 .LBB127_1247
; %bb.1246:
	s_load_dwordx4 s[8:11], s[24:25], 0x10
	s_load_dword s2, s[24:25], 0xc8
	s_waitcnt lgkmcnt(0)
	v_mul_hi_u32 v1, s9, v3
	v_add_u32_e32 v1, v3, v1
	v_lshrrev_b32_e32 v1, s10, v1
	v_mul_lo_u32 v1, v1, s8
	v_sub_u32_e32 v1, v3, v1
	v_mad_u64_u32 v[8:9], s[2:3], v1, s2, v[8:9]
.LBB127_1247:
	s_and_b64 vcc, exec, s[0:1]
	v_add_u32_e32 v1, 0x100, v15
	s_cbranch_vccnz .LBB127_1253
; %bb.1248:
	s_cmp_lg_u32 s33, 0
	s_mov_b32 s30, 0
	s_cbranch_scc0 .LBB127_1254
; %bb.1249:
	s_min_u32 s31, s58, 15
	s_add_i32 s31, s31, 1
	s_cmp_eq_u32 s58, 2
	s_cbranch_scc1 .LBB127_1255
; %bb.1250:
	s_and_b32 s30, s31, 28
	s_add_u32 s2, s24, 0xc4
	s_addc_u32 s3, s25, 0
	s_mov_b32 s34, 0
	v_mov_b32_e32 v6, 0
	s_mov_b64 s[28:29], s[24:25]
	v_mov_b32_e32 v3, v1
.LBB127_1251:                           ; =>This Inner Loop Header: Depth=1
	s_load_dwordx8 s[8:15], s[28:29], 0x4
	s_load_dwordx4 s[16:19], s[28:29], 0x24
	s_load_dwordx4 s[20:23], s[2:3], 0x0
	s_add_u32 s28, s28, 48
	s_addc_u32 s29, s29, 0
	s_waitcnt lgkmcnt(0)
	v_mul_hi_u32 v4, s9, v3
	s_add_i32 s34, s34, 4
	s_add_u32 s2, s2, 16
	s_addc_u32 s3, s3, 0
	v_add_u32_e32 v4, v3, v4
	v_lshrrev_b32_e32 v4, s10, v4
	v_mul_lo_u32 v5, v4, s8
	v_mul_hi_u32 v7, s12, v4
	s_cmp_lg_u32 s30, s34
	v_sub_u32_e32 v3, v3, v5
	v_add_u32_e32 v5, v4, v7
	v_lshrrev_b32_e32 v5, s13, v5
	v_mul_lo_u32 v7, v3, s20
	v_mul_hi_u32 v3, s15, v5
	v_mul_lo_u32 v10, v5, s11
	v_add_u32_e32 v3, v5, v3
	v_lshrrev_b32_e32 v9, s16, v3
	v_mul_hi_u32 v3, s18, v9
	v_sub_u32_e32 v4, v4, v10
	v_mul_lo_u32 v10, v9, s14
	v_mul_lo_u32 v4, v4, s21
	v_add_u32_e32 v3, v9, v3
	v_lshrrev_b32_e32 v3, s19, v3
	v_mul_lo_u32 v11, v3, s17
	v_sub_u32_e32 v5, v5, v10
	v_mul_lo_u32 v5, v5, s22
	v_add3_u32 v4, v7, v6, v4
	v_sub_u32_e32 v9, v9, v11
	v_mul_lo_u32 v9, v9, s23
	v_add3_u32 v6, v5, v4, v9
	s_cbranch_scc1 .LBB127_1251
; %bb.1252:
	s_and_b32 s10, s31, 3
	s_cmp_eq_u32 s10, 0
	s_cbranch_scc0 .LBB127_1256
	s_branch .LBB127_1258
.LBB127_1253:
                                        ; implicit-def: $vgpr6
	s_branch .LBB127_1259
.LBB127_1254:
	v_mov_b32_e32 v6, 0
	s_branch .LBB127_1258
.LBB127_1255:
	v_mov_b32_e32 v6, 0
	v_mov_b32_e32 v3, v1
	s_and_b32 s10, s31, 3
	s_cmp_eq_u32 s10, 0
	s_cbranch_scc1 .LBB127_1258
.LBB127_1256:
	s_lshl_b32 s2, s30, 2
	s_add_u32 s2, s24, s2
	s_addc_u32 s3, s25, 0
	s_add_u32 s2, s2, 0xc4
	s_addc_u32 s3, s3, 0
	s_mul_i32 s8, s30, 12
	s_add_u32 s8, s24, s8
	s_addc_u32 s9, s25, 0
.LBB127_1257:                           ; =>This Inner Loop Header: Depth=1
	s_load_dwordx2 s[12:13], s[8:9], 0x4
	s_load_dword s11, s[8:9], 0xc
	s_add_u32 s8, s8, 12
	s_addc_u32 s9, s9, 0
	s_waitcnt lgkmcnt(0)
	v_mul_hi_u32 v4, s13, v3
	s_load_dword s13, s[2:3], 0x0
	s_add_u32 s2, s2, 4
	s_addc_u32 s3, s3, 0
	v_add_u32_e32 v4, v3, v4
	v_lshrrev_b32_e32 v4, s11, v4
	v_mul_lo_u32 v5, v4, s12
	s_add_i32 s10, s10, -1
	s_cmp_lg_u32 s10, 0
	v_sub_u32_e32 v3, v3, v5
	s_waitcnt lgkmcnt(0)
	v_mad_u64_u32 v[6:7], s[12:13], v3, s13, v[6:7]
	v_mov_b32_e32 v3, v4
	s_cbranch_scc1 .LBB127_1257
.LBB127_1258:
	s_cbranch_execnz .LBB127_1261
.LBB127_1259:
	s_load_dwordx4 s[8:11], s[24:25], 0x4
	s_load_dword s2, s[24:25], 0xc4
	s_cmp_lt_u32 s33, 2
	s_waitcnt lgkmcnt(0)
	v_mul_hi_u32 v3, s9, v1
	v_add_u32_e32 v3, v1, v3
	v_lshrrev_b32_e32 v3, s10, v3
	v_mul_lo_u32 v4, v3, s8
	v_sub_u32_e32 v1, v1, v4
	v_mul_lo_u32 v6, v1, s2
	s_cbranch_scc1 .LBB127_1261
; %bb.1260:
	s_load_dwordx4 s[8:11], s[24:25], 0x10
	s_load_dword s2, s[24:25], 0xc8
	s_waitcnt lgkmcnt(0)
	v_mul_hi_u32 v1, s9, v3
	v_add_u32_e32 v1, v3, v1
	v_lshrrev_b32_e32 v1, s10, v1
	v_mul_lo_u32 v1, v1, s8
	v_sub_u32_e32 v1, v3, v1
	v_mad_u64_u32 v[6:7], s[2:3], v1, s2, v[6:7]
.LBB127_1261:
	s_and_b64 vcc, exec, s[0:1]
	s_cbranch_vccnz .LBB127_1267
; %bb.1262:
	s_cmp_lg_u32 s33, 0
	s_mov_b32 s28, 0
	s_cbranch_scc0 .LBB127_1268
; %bb.1263:
	s_min_u32 s29, s58, 15
	s_add_i32 s29, s29, 1
	s_cmp_eq_u32 s58, 2
	s_cbranch_scc1 .LBB127_1269
; %bb.1264:
	s_and_b32 s28, s29, 28
	s_add_u32 s20, s24, 0xc4
	s_addc_u32 s21, s25, 0
	s_mov_b32 s30, 0
	v_mov_b32_e32 v4, 0
	s_mov_b64 s[22:23], s[24:25]
	v_mov_b32_e32 v1, v2
.LBB127_1265:                           ; =>This Inner Loop Header: Depth=1
	s_load_dwordx8 s[8:15], s[22:23], 0x4
	s_load_dwordx4 s[0:3], s[22:23], 0x24
	s_load_dwordx4 s[16:19], s[20:21], 0x0
	s_add_u32 s22, s22, 48
	s_addc_u32 s23, s23, 0
	s_waitcnt lgkmcnt(0)
	v_mul_hi_u32 v3, s9, v1
	s_add_i32 s30, s30, 4
	s_add_u32 s20, s20, 16
	s_addc_u32 s21, s21, 0
	v_add_u32_e32 v3, v1, v3
	v_lshrrev_b32_e32 v3, s10, v3
	v_mul_lo_u32 v5, v3, s8
	v_mul_hi_u32 v7, s12, v3
	s_cmp_lg_u32 s28, s30
	v_sub_u32_e32 v1, v1, v5
	v_add_u32_e32 v5, v3, v7
	v_lshrrev_b32_e32 v5, s13, v5
	v_mul_lo_u32 v7, v1, s16
	v_mul_hi_u32 v1, s15, v5
	v_mul_lo_u32 v10, v5, s11
	v_add_u32_e32 v1, v5, v1
	v_lshrrev_b32_e32 v9, s0, v1
	v_mul_hi_u32 v1, s2, v9
	v_sub_u32_e32 v3, v3, v10
	v_mul_lo_u32 v10, v9, s14
	v_mul_lo_u32 v3, v3, s17
	v_add_u32_e32 v1, v9, v1
	v_lshrrev_b32_e32 v1, s3, v1
	v_mul_lo_u32 v11, v1, s1
	v_sub_u32_e32 v5, v5, v10
	v_mul_lo_u32 v5, v5, s18
	v_add3_u32 v3, v7, v4, v3
	v_sub_u32_e32 v9, v9, v11
	v_mul_lo_u32 v9, v9, s19
	v_add3_u32 v4, v5, v3, v9
	s_cbranch_scc1 .LBB127_1265
; %bb.1266:
	s_and_b32 s8, s29, 3
	s_cmp_eq_u32 s8, 0
	s_cbranch_scc0 .LBB127_1270
	s_branch .LBB127_1272
.LBB127_1267:
                                        ; implicit-def: $vgpr4
	s_branch .LBB127_1273
.LBB127_1268:
	v_mov_b32_e32 v4, 0
	s_branch .LBB127_1272
.LBB127_1269:
	v_mov_b32_e32 v4, 0
	v_mov_b32_e32 v1, v2
	s_and_b32 s8, s29, 3
	s_cmp_eq_u32 s8, 0
	s_cbranch_scc1 .LBB127_1272
.LBB127_1270:
	s_lshl_b32 s0, s28, 2
	s_add_u32 s0, s24, s0
	s_addc_u32 s1, s25, 0
	s_add_u32 s0, s0, 0xc4
	s_addc_u32 s1, s1, 0
	s_mul_i32 s2, s28, 12
	s_add_u32 s2, s24, s2
	s_addc_u32 s3, s25, 0
.LBB127_1271:                           ; =>This Inner Loop Header: Depth=1
	s_load_dwordx2 s[10:11], s[2:3], 0x4
	s_load_dword s9, s[2:3], 0xc
	s_add_u32 s2, s2, 12
	s_addc_u32 s3, s3, 0
	s_waitcnt lgkmcnt(0)
	v_mul_hi_u32 v3, s11, v1
	s_load_dword s11, s[0:1], 0x0
	s_add_u32 s0, s0, 4
	s_addc_u32 s1, s1, 0
	v_add_u32_e32 v3, v1, v3
	v_lshrrev_b32_e32 v3, s9, v3
	v_mul_lo_u32 v5, v3, s10
	s_add_i32 s8, s8, -1
	s_cmp_lg_u32 s8, 0
	v_sub_u32_e32 v1, v1, v5
	s_waitcnt lgkmcnt(0)
	v_mad_u64_u32 v[4:5], s[10:11], v1, s11, v[4:5]
	v_mov_b32_e32 v1, v3
	s_cbranch_scc1 .LBB127_1271
.LBB127_1272:
	s_cbranch_execnz .LBB127_1275
.LBB127_1273:
	s_load_dwordx4 s[0:3], s[24:25], 0x4
	s_waitcnt lgkmcnt(0)
	s_load_dword s3, s[24:25], 0xc4
	s_cmp_lt_u32 s33, 2
	v_mul_hi_u32 v1, s1, v2
	v_add_u32_e32 v1, v2, v1
	v_lshrrev_b32_e32 v1, s2, v1
	v_mul_lo_u32 v3, v1, s0
	v_sub_u32_e32 v2, v2, v3
	s_waitcnt lgkmcnt(0)
	v_mul_lo_u32 v4, v2, s3
	s_cbranch_scc1 .LBB127_1275
; %bb.1274:
	s_load_dwordx4 s[0:3], s[24:25], 0x10
	s_waitcnt lgkmcnt(0)
	s_load_dword s3, s[24:25], 0xc8
	v_mul_hi_u32 v2, s1, v1
	v_add_u32_e32 v2, v1, v2
	v_lshrrev_b32_e32 v2, s2, v2
	v_mul_lo_u32 v2, v2, s0
	v_sub_u32_e32 v1, v1, v2
	s_waitcnt lgkmcnt(0)
	v_mad_u64_u32 v[4:5], s[0:1], v1, s3, v[4:5]
.LBB127_1275:
	s_load_dwordx2 s[2:3], s[24:25], 0x108
	s_load_dword s16, s[24:25], 0x110
	s_waitcnt lgkmcnt(0)
	v_mov_b32_e32 v1, s3
	s_bfe_u32 s14, s16, 0x80008
	v_add_co_u32_e32 v9, vcc, s2, v0
	s_cmp_lt_i32 s14, 11
	v_addc_co_u32_e32 v10, vcc, 0, v1, vcc
	s_cbranch_scc1 .LBB127_1284
; %bb.1276:
	s_and_b32 s15, 0xffff, s14
	s_mov_b64 s[12:13], -1
	s_mov_b64 s[8:9], 0
	s_cmp_gt_i32 s15, 25
	s_mov_b64 s[10:11], 0
	s_mov_b64 s[0:1], 0
	s_cbranch_scc0 .LBB127_1360
; %bb.1277:
	s_cmp_gt_i32 s15, 28
	s_cbranch_scc0 .LBB127_1318
; %bb.1278:
	s_cmp_gt_i32 s15, 43
	;; [unrolled: 3-line block ×3, first 2 shown]
	s_cbranch_scc0 .LBB127_1292
; %bb.1280:
	s_mov_b64 s[0:1], -1
	s_mov_b64 s[12:13], 0
	s_cmp_eq_u32 s15, 46
	s_cbranch_scc0 .LBB127_1292
; %bb.1281:
	s_and_b32 s17, s16, 0xff
	s_cmpk_lt_i32 s17, 0x80
	s_cbranch_scc1 .LBB127_1288
; %bb.1282:
	s_and_b32 s0, 0xffff, s17
	s_cmpk_eq_i32 s0, 0x80
	s_mov_b64 s[0:1], -1
	s_cbranch_scc0 .LBB127_1286
; %bb.1283:
	s_mov_b64 s[0:1], 0
	s_mov_b32 s18, 0x7f800001
	s_and_b64 vcc, exec, s[10:11]
	s_cbranch_vccz .LBB127_1289
	s_branch .LBB127_1287
.LBB127_1284:
	s_mov_b64 s[10:11], 0
	s_mov_b64 s[0:1], s[6:7]
	s_cbranch_execnz .LBB127_1428
.LBB127_1285:
	s_andn2_b64 vcc, exec, s[10:11]
	s_cbranch_vccz .LBB127_1558
	s_branch .LBB127_2135
.LBB127_1286:
	s_mov_b32 s18, 0x7f800001
	s_and_b64 vcc, exec, s[10:11]
	s_cbranch_vccz .LBB127_1289
.LBB127_1287:
	s_and_b32 s0, 0xffff, s17
	s_cmp_lg_u32 s0, 0
	s_mov_b32 s18, 0
	s_cselect_b64 s[0:1], -1, 0
	s_andn2_b64 vcc, exec, s[0:1]
	s_cbranch_vccz .LBB127_1290
	s_branch .LBB127_1291
.LBB127_1288:
	s_mov_b64 s[0:1], 0
	s_mov_b32 s18, 0x7f800001
	s_cbranch_execnz .LBB127_1287
.LBB127_1289:
	s_andn2_b64 vcc, exec, s[0:1]
	s_cbranch_vccnz .LBB127_1291
.LBB127_1290:
	s_and_b32 s1, s16, 3
	s_flbit_i32_b32 s11, s1
	s_min_u32 s11, s11, 32
	s_sub_i32 s17, s11, 29
	s_lshl_b32 s17, s16, s17
	s_lshl_b32 s0, s16, 24
	s_bfe_u32 s10, s16, 0x50002
	s_sub_i32 s11, 30, s11
	s_and_b32 s17, s17, 3
	s_cmp_eq_u32 s10, 0
	s_cselect_b32 s10, s11, s10
	s_cselect_b32 s1, s17, s1
	s_lshl_b32 s10, s10, 23
	s_and_b32 s0, s0, 0x80000000
	s_add_i32 s10, s10, 0x37800000
	s_lshl_b32 s1, s1, 21
	s_or_b32 s0, s0, s10
	s_or_b32 s18, s0, s1
.LBB127_1291:
	s_bfe_u32 s0, s18, 0x10010
	s_add_i32 s0, s18, s0
	s_addk_i32 s0, 0x7fff
	s_lshr_b32 s10, s0, 16
	v_cmp_o_f32_e64 s[0:1], s18, s18
	s_and_b64 s[0:1], s[0:1], exec
	s_cselect_b32 s0, s10, 0x7fc0
	v_mov_b32_e32 v0, s0
	s_mov_b64 s[0:1], 0
	s_mov_b64 s[10:11], -1
	global_store_dword v[9:10], v0, off
.LBB127_1292:
	s_and_b64 vcc, exec, s[12:13]
	s_cbranch_vccz .LBB127_1304
; %bb.1293:
	s_cmp_eq_u32 s15, 44
	s_mov_b64 s[0:1], -1
	s_cbranch_scc0 .LBB127_1304
; %bb.1294:
	s_and_b32 s12, s16, 0xff
	s_cmpk_lt_i32 s12, 0x80
	s_cbranch_scc1 .LBB127_1298
; %bb.1295:
	s_and_b32 s0, 0xffff, s12
	s_cmpk_eq_i32 s0, 0x80
	s_mov_b64 s[0:1], -1
	s_cbranch_scc0 .LBB127_1297
; %bb.1296:
	s_mov_b64 s[0:1], 0
.LBB127_1297:
	s_mov_b64 s[10:11], 0
	s_branch .LBB127_1299
.LBB127_1298:
	s_mov_b64 s[10:11], -1
	s_mov_b64 s[0:1], 0
.LBB127_1299:
	s_mov_b32 s13, 0x7f800001
	s_and_b64 vcc, exec, s[10:11]
	s_cbranch_vccz .LBB127_1309
; %bb.1300:
	s_and_b32 s13, 0xffff, s12
	s_cmp_lg_u32 s13, 0
	s_cselect_b64 s[0:1], -1, 0
	s_andn2_b64 vcc, exec, s[0:1]
	s_cbranch_vccz .LBB127_1310
.LBB127_1301:
	s_lshr_b32 s0, s13, 23
	s_cmpk_eq_i32 s0, 0xff
	v_mov_b32_e32 v0, 0xff
	s_cbranch_scc1 .LBB127_1303
.LBB127_1302:
	s_bitcmp1_b32 s13, 22
	s_cselect_b64 s[10:11], -1, 0
	s_and_b32 s1, s13, 0x3fffff
	s_or_b32 s1, s0, s1
	s_cmp_lg_u32 s1, 0
	s_cselect_b64 s[12:13], -1, 0
	s_and_b64 s[10:11], s[10:11], s[12:13]
	v_cndmask_b32_e64 v0, 0, 1, s[10:11]
	v_add_u32_e32 v0, s0, v0
.LBB127_1303:
	s_mov_b64 s[0:1], 0
	s_mov_b64 s[10:11], -1
	global_store_byte v[9:10], v0, off
.LBB127_1304:
	s_mov_b64 s[12:13], 0
.LBB127_1305:
	s_and_b64 vcc, exec, s[12:13]
	s_cbranch_vccz .LBB127_1317
; %bb.1306:
	s_cmp_eq_u32 s15, 29
	s_mov_b64 s[0:1], -1
	s_cbranch_scc0 .LBB127_1317
; %bb.1307:
	s_and_b32 s12, s16, 0xff
	s_cmpk_lt_i32 s12, 0x80
	s_cbranch_scc1 .LBB127_1311
; %bb.1308:
	s_and_b32 s0, 0xffff, s12
	s_cmpk_lg_i32 s0, 0x80
	s_mov_b64 s[10:11], 0
	s_cselect_b64 s[0:1], -1, 0
	s_branch .LBB127_1312
.LBB127_1309:
	s_andn2_b64 vcc, exec, s[0:1]
	s_cbranch_vccnz .LBB127_1301
.LBB127_1310:
	s_and_b32 s0, s16, 3
	s_flbit_i32_b32 s10, s0
	s_min_u32 s10, s10, 32
	s_sub_i32 s11, s10, 29
	s_lshl_b32 s11, s16, s11
	s_bfe_u32 s1, s16, 0x50002
	s_sub_i32 s10, 30, s10
	s_and_b32 s11, s11, 3
	s_cmp_eq_u32 s1, 0
	s_cselect_b32 s1, s10, s1
	s_cselect_b32 s0, s11, s0
	s_lshl_b32 s0, s0, 21
	s_lshl_b32 s1, s1, 23
	s_or_b32 s0, s1, s0
	s_add_i32 s13, s0, 0x37800000
	s_lshr_b32 s0, s13, 23
	s_cmpk_eq_i32 s0, 0xff
	v_mov_b32_e32 v0, 0xff
	s_cbranch_scc0 .LBB127_1302
	s_branch .LBB127_1303
.LBB127_1311:
	s_mov_b64 s[10:11], -1
	s_mov_b64 s[0:1], 0
.LBB127_1312:
	s_andn2_b64 vcc, exec, s[10:11]
	s_cbranch_vccnz .LBB127_1314
; %bb.1313:
	s_and_b32 s0, 0xffff, s12
	s_cmp_lg_u32 s0, 0
	s_cselect_b64 s[0:1], -1, 0
.LBB127_1314:
	v_mov_b32_e32 v0, 0
	s_andn2_b64 vcc, exec, s[0:1]
	v_mov_b32_e32 v1, 0
	s_cbranch_vccnz .LBB127_1316
; %bb.1315:
	s_and_b32 s1, s16, 3
	s_flbit_i32_b32 s11, s1
	s_min_u32 s11, s11, 32
	s_sub_i32 s12, s11, 29
	s_lshl_b32 s12, s16, s12
	s_lshl_b32 s0, s16, 24
	s_bfe_u32 s10, s16, 0x50002
	s_sub_i32 s11, 30, s11
	s_and_b32 s12, s12, 3
	s_cmp_eq_u32 s10, 0
	s_cselect_b32 s10, s11, s10
	s_cselect_b32 s1, s12, s1
	s_lshl_b32 s10, s10, 23
	s_and_b32 s0, s0, 0x80000000
	s_add_i32 s10, s10, 0x37800000
	s_lshl_b32 s1, s1, 21
	s_or_b32 s0, s0, s10
	s_or_b32 s0, s0, s1
	v_trunc_f32_e32 v0, s0
	v_mul_f32_e32 v1, 0x2f800000, v0
	v_floor_f32_e32 v1, v1
	v_fmac_f32_e32 v0, 0xcf800000, v1
	v_cvt_u32_f32_e32 v0, v0
	v_cvt_u32_f32_e32 v1, v1
.LBB127_1316:
	global_store_dwordx2 v[9:10], v[0:1], off
	s_mov_b64 s[0:1], 0
	s_mov_b64 s[10:11], -1
.LBB127_1317:
	s_mov_b64 s[12:13], 0
.LBB127_1318:
	s_and_b64 vcc, exec, s[12:13]
	s_cbranch_vccz .LBB127_1359
; %bb.1319:
	s_cmp_lt_i32 s15, 27
	s_mov_b64 s[10:11], -1
	s_cbranch_scc1 .LBB127_1339
; %bb.1320:
	s_cmp_gt_i32 s15, 27
	s_cbranch_scc0 .LBB127_1329
; %bb.1321:
	s_and_b32 s17, s16, 0xff
	s_cmpk_lt_i32 s17, 0x80
	s_cbranch_scc1 .LBB127_1323
; %bb.1322:
	s_and_b32 s10, 0xffff, s17
	s_cmpk_lg_i32 s10, 0x80
	s_mov_b64 s[12:13], 0
	s_cselect_b64 s[10:11], -1, 0
	s_branch .LBB127_1324
.LBB127_1323:
	s_mov_b64 s[12:13], -1
	s_mov_b64 s[10:11], 0
.LBB127_1324:
	s_andn2_b64 vcc, exec, s[12:13]
	s_cbranch_vccnz .LBB127_1326
; %bb.1325:
	s_and_b32 s10, 0xffff, s17
	s_cmp_lg_u32 s10, 0
	s_cselect_b64 s[10:11], -1, 0
.LBB127_1326:
	s_andn2_b64 vcc, exec, s[10:11]
	v_mov_b32_e32 v0, 0
	s_cbranch_vccnz .LBB127_1328
; %bb.1327:
	s_and_b32 s11, s16, 3
	s_flbit_i32_b32 s13, s11
	s_min_u32 s13, s13, 32
	s_sub_i32 s17, s13, 29
	s_lshl_b32 s17, s16, s17
	s_lshl_b32 s10, s16, 24
	s_bfe_u32 s12, s16, 0x50002
	s_sub_i32 s13, 30, s13
	s_and_b32 s17, s17, 3
	s_cmp_eq_u32 s12, 0
	s_cselect_b32 s12, s13, s12
	s_cselect_b32 s11, s17, s11
	s_lshl_b32 s12, s12, 23
	s_and_b32 s10, s10, 0x80000000
	s_add_i32 s12, s12, 0x37800000
	s_lshl_b32 s11, s11, 21
	s_or_b32 s10, s10, s12
	s_or_b32 s10, s10, s11
	v_cvt_u32_f32_e32 v0, s10
.LBB127_1328:
	global_store_dword v[9:10], v0, off
	s_mov_b64 s[10:11], 0
.LBB127_1329:
	s_and_b64 vcc, exec, s[10:11]
	s_cbranch_vccz .LBB127_1338
; %bb.1330:
	s_and_b32 s17, s16, 0xff
	s_cmpk_lt_i32 s17, 0x80
	s_cbranch_scc1 .LBB127_1332
; %bb.1331:
	s_and_b32 s10, 0xffff, s17
	s_cmpk_lg_i32 s10, 0x80
	s_mov_b64 s[12:13], 0
	s_cselect_b64 s[10:11], -1, 0
	s_branch .LBB127_1333
.LBB127_1332:
	s_mov_b64 s[12:13], -1
	s_mov_b64 s[10:11], 0
.LBB127_1333:
	s_andn2_b64 vcc, exec, s[12:13]
	s_cbranch_vccnz .LBB127_1335
; %bb.1334:
	s_and_b32 s10, 0xffff, s17
	s_cmp_lg_u32 s10, 0
	s_cselect_b64 s[10:11], -1, 0
.LBB127_1335:
	s_andn2_b64 vcc, exec, s[10:11]
	v_mov_b32_e32 v0, 0
	s_cbranch_vccnz .LBB127_1337
; %bb.1336:
	s_and_b32 s11, s16, 3
	s_flbit_i32_b32 s13, s11
	s_min_u32 s13, s13, 32
	s_sub_i32 s17, s13, 29
	s_lshl_b32 s17, s16, s17
	s_lshl_b32 s10, s16, 24
	s_bfe_u32 s12, s16, 0x50002
	s_sub_i32 s13, 30, s13
	s_and_b32 s17, s17, 3
	s_cmp_eq_u32 s12, 0
	s_cselect_b32 s12, s13, s12
	s_cselect_b32 s11, s17, s11
	s_lshl_b32 s12, s12, 23
	s_and_b32 s10, s10, 0x80000000
	s_add_i32 s12, s12, 0x37800000
	s_lshl_b32 s11, s11, 21
	s_or_b32 s10, s10, s12
	s_or_b32 s10, s10, s11
	v_cvt_u32_f32_e32 v0, s10
.LBB127_1337:
	global_store_short v[9:10], v0, off
.LBB127_1338:
	s_mov_b64 s[10:11], 0
.LBB127_1339:
	s_andn2_b64 vcc, exec, s[10:11]
	s_cbranch_vccnz .LBB127_1358
; %bb.1340:
	s_and_b32 s18, s16, 0xff
	s_cmpk_lt_i32 s18, 0x80
	s_cbranch_scc1 .LBB127_1344
; %bb.1341:
	s_and_b32 s10, 0xffff, s18
	s_cmpk_eq_i32 s10, 0x80
	s_mov_b64 s[10:11], -1
	s_cbranch_scc0 .LBB127_1343
; %bb.1342:
	s_mov_b64 s[10:11], 0
.LBB127_1343:
	s_mov_b64 s[12:13], 0
	s_branch .LBB127_1345
.LBB127_1344:
	s_mov_b64 s[12:13], -1
	s_mov_b64 s[10:11], 0
.LBB127_1345:
	s_mov_b32 s17, 0x7f800001
	s_and_b64 vcc, exec, s[12:13]
	s_cbranch_vccz .LBB127_1348
; %bb.1346:
	s_and_b32 s10, 0xffff, s18
	s_cmp_lg_u32 s10, 0
	s_mov_b32 s17, 0
	s_cselect_b64 s[10:11], -1, 0
	s_andn2_b64 vcc, exec, s[10:11]
	s_cbranch_vccz .LBB127_1349
.LBB127_1347:
	s_and_b32 s10, s17, 0x7fffffff
	s_cmp_gt_u32 s10, 0x437fffff
	v_mov_b32_e32 v1, 0x80
	s_cbranch_scc0 .LBB127_1350
	s_branch .LBB127_1357
.LBB127_1348:
	s_andn2_b64 vcc, exec, s[10:11]
	s_cbranch_vccnz .LBB127_1347
.LBB127_1349:
	s_and_b32 s11, s16, 3
	s_flbit_i32_b32 s13, s11
	s_min_u32 s13, s13, 32
	s_sub_i32 s17, s13, 29
	s_lshl_b32 s17, s16, s17
	s_lshl_b32 s10, s16, 24
	s_bfe_u32 s12, s16, 0x50002
	s_sub_i32 s13, 30, s13
	s_and_b32 s17, s17, 3
	s_cmp_eq_u32 s12, 0
	s_cselect_b32 s12, s13, s12
	s_cselect_b32 s11, s17, s11
	s_lshl_b32 s12, s12, 23
	s_and_b32 s10, s10, 0x80000000
	s_add_i32 s12, s12, 0x37800000
	s_lshl_b32 s11, s11, 21
	s_or_b32 s10, s10, s12
	s_or_b32 s17, s10, s11
	s_and_b32 s10, s17, 0x7fffffff
	s_cmp_gt_u32 s10, 0x437fffff
	v_mov_b32_e32 v1, 0x80
	s_cbranch_scc1 .LBB127_1357
.LBB127_1350:
	s_cmp_gt_u32 s10, 0x3bffffff
	s_cbranch_scc0 .LBB127_1352
; %bb.1351:
	s_bfe_u32 s10, s17, 0x10014
	s_add_i32 s10, s17, s10
	s_add_i32 s10, s10, 0x487ffff
	s_lshr_b32 s18, s10, 20
	s_mov_b64 s[12:13], 0
	s_mov_b64 s[10:11], -1
	s_branch .LBB127_1353
.LBB127_1352:
	s_mov_b64 s[12:13], -1
	s_mov_b64 s[10:11], 0
                                        ; implicit-def: $sgpr18
.LBB127_1353:
	s_andn2_b64 vcc, exec, s[12:13]
	v_mov_b32_e32 v0, s18
	s_cbranch_vccnz .LBB127_1355
; %bb.1354:
	v_mov_b32_e32 v0, 0x46000000
	v_add_f32_e64 v0, |s17|, v0
	v_and_b32_e32 v0, 0xff, v0
	v_cmp_ne_u32_e64 s[10:11], 0, v0
.LBB127_1355:
	s_andn2_b64 vcc, exec, s[10:11]
	v_mov_b32_e32 v1, 0
	s_cbranch_vccnz .LBB127_1357
; %bb.1356:
	s_lshr_b32 s10, s17, 24
	s_and_b32 s10, s10, 0x80
	v_or_b32_e32 v1, s10, v0
.LBB127_1357:
	global_store_byte v[9:10], v1, off
.LBB127_1358:
	s_mov_b64 s[10:11], -1
.LBB127_1359:
	s_mov_b64 s[12:13], 0
.LBB127_1360:
	s_and_b64 vcc, exec, s[12:13]
	s_cbranch_vccz .LBB127_1424
; %bb.1361:
	s_cmp_gt_i32 s15, 22
	s_mov_b64 s[8:9], -1
	s_cbranch_scc0 .LBB127_1409
; %bb.1362:
	s_cmp_lt_i32 s15, 24
	s_cbranch_scc1 .LBB127_1387
; %bb.1363:
	s_cmp_gt_i32 s15, 24
	s_cbranch_scc0 .LBB127_1365
; %bb.1364:
	v_mov_b32_e32 v0, s16
	global_store_byte v[9:10], v0, off
	s_mov_b64 s[8:9], 0
.LBB127_1365:
	s_andn2_b64 vcc, exec, s[8:9]
	s_cbranch_vccnz .LBB127_1386
; %bb.1366:
	s_and_b32 s13, s16, 0xff
	s_cmpk_lt_i32 s13, 0x80
	s_cbranch_scc1 .LBB127_1370
; %bb.1367:
	s_and_b32 s8, 0xffff, s13
	s_cmpk_eq_i32 s8, 0x80
	s_mov_b64 s[8:9], -1
	s_cbranch_scc0 .LBB127_1369
; %bb.1368:
	s_mov_b64 s[8:9], 0
.LBB127_1369:
	s_mov_b64 s[10:11], 0
	s_branch .LBB127_1371
.LBB127_1370:
	s_mov_b64 s[10:11], -1
	s_mov_b64 s[8:9], 0
.LBB127_1371:
	s_mov_b32 s12, 0x7f800001
	s_and_b64 vcc, exec, s[10:11]
	s_cbranch_vccz .LBB127_1376
; %bb.1372:
	s_and_b32 s8, 0xffff, s13
	s_cmp_lg_u32 s8, 0
	s_mov_b32 s12, 0
	s_cselect_b64 s[8:9], -1, 0
	s_andn2_b64 vcc, exec, s[8:9]
	s_cbranch_vccz .LBB127_1377
.LBB127_1373:
	s_and_b32 s10, s12, 0x7fffffff
	s_cmp_lt_u32 s10, 0x43f00000
	s_cbranch_scc0 .LBB127_1378
.LBB127_1374:
	s_cmp_gt_u32 s10, 0x3c7fffff
	s_cbranch_scc0 .LBB127_1379
; %bb.1375:
	s_bfe_u32 s8, s12, 0x10014
	s_add_i32 s8, s12, s8
	s_add_i32 s8, s8, 0x407ffff
	s_lshr_b32 s9, s8, 20
	s_and_b32 s8, s8, 0xff00000
	s_cmp_lg_u32 s8, 0x7f00000
	s_cselect_b32 s11, s9, 0x7e
	s_mov_b64 s[8:9], 0
	s_branch .LBB127_1380
.LBB127_1376:
	s_andn2_b64 vcc, exec, s[8:9]
	s_cbranch_vccnz .LBB127_1373
.LBB127_1377:
	s_and_b32 s9, s16, 3
	s_flbit_i32_b32 s11, s9
	s_min_u32 s11, s11, 32
	s_sub_i32 s12, s11, 29
	s_lshl_b32 s12, s16, s12
	s_lshl_b32 s8, s16, 24
	s_bfe_u32 s10, s16, 0x50002
	s_sub_i32 s11, 30, s11
	s_and_b32 s12, s12, 3
	s_cmp_eq_u32 s10, 0
	s_cselect_b32 s10, s11, s10
	s_cselect_b32 s9, s12, s9
	s_lshl_b32 s10, s10, 23
	s_and_b32 s8, s8, 0x80000000
	s_add_i32 s10, s10, 0x37800000
	s_lshl_b32 s9, s9, 21
	s_or_b32 s8, s8, s10
	s_or_b32 s12, s8, s9
	s_and_b32 s10, s12, 0x7fffffff
	s_cmp_lt_u32 s10, 0x43f00000
	s_cbranch_scc1 .LBB127_1374
.LBB127_1378:
	s_mov_b64 s[8:9], -1
                                        ; implicit-def: $vgpr0
	s_branch .LBB127_1383
.LBB127_1379:
	s_mov_b64 s[8:9], -1
                                        ; implicit-def: $sgpr11
.LBB127_1380:
	s_andn2_b64 vcc, exec, s[8:9]
	v_mov_b32_e32 v0, s11
	s_cbranch_vccnz .LBB127_1382
; %bb.1381:
	v_mov_b32_e32 v0, 0x46800000
	v_add_f32_e64 v0, |s12|, v0
.LBB127_1382:
	s_mov_b64 s[8:9], 0
.LBB127_1383:
	s_andn2_b64 vcc, exec, s[8:9]
	s_cbranch_vccnz .LBB127_1385
; %bb.1384:
	s_cmp_gt_u32 s10, 0x7f800000
	s_movk_i32 s8, 0x7f
	s_cselect_b32 s8, s8, 0x7e
	v_mov_b32_e32 v0, s8
.LBB127_1385:
	s_lshr_b32 s8, s12, 24
	s_and_b32 s8, s8, 0x80
	v_or_b32_e32 v0, s8, v0
	global_store_byte v[9:10], v0, off
.LBB127_1386:
	s_mov_b64 s[8:9], 0
.LBB127_1387:
	s_andn2_b64 vcc, exec, s[8:9]
	s_cbranch_vccnz .LBB127_1408
; %bb.1388:
	s_and_b32 s13, s16, 0xff
	s_cmpk_lt_i32 s13, 0x80
	s_cbranch_scc1 .LBB127_1392
; %bb.1389:
	s_and_b32 s8, 0xffff, s13
	s_cmpk_eq_i32 s8, 0x80
	s_mov_b64 s[8:9], -1
	s_cbranch_scc0 .LBB127_1391
; %bb.1390:
	s_mov_b64 s[8:9], 0
.LBB127_1391:
	s_mov_b64 s[10:11], 0
	s_branch .LBB127_1393
.LBB127_1392:
	s_mov_b64 s[10:11], -1
	s_mov_b64 s[8:9], 0
.LBB127_1393:
	s_mov_b32 s12, 0x7f800001
	s_and_b64 vcc, exec, s[10:11]
	s_cbranch_vccz .LBB127_1398
; %bb.1394:
	s_and_b32 s8, 0xffff, s13
	s_cmp_lg_u32 s8, 0
	s_mov_b32 s12, 0
	s_cselect_b64 s[8:9], -1, 0
	s_andn2_b64 vcc, exec, s[8:9]
	s_cbranch_vccz .LBB127_1399
.LBB127_1395:
	s_and_b32 s10, s12, 0x7fffffff
	s_cmp_lt_u32 s10, 0x47800000
	s_cbranch_scc0 .LBB127_1400
.LBB127_1396:
	s_cmp_gt_u32 s10, 0x387fffff
	s_cbranch_scc0 .LBB127_1401
; %bb.1397:
	s_bfe_u32 s8, s12, 0x10015
	s_add_i32 s8, s12, s8
	s_add_i32 s8, s8, 0x80fffff
	s_lshr_b32 s11, s8, 21
	s_mov_b64 s[8:9], 0
	s_branch .LBB127_1402
.LBB127_1398:
	s_andn2_b64 vcc, exec, s[8:9]
	s_cbranch_vccnz .LBB127_1395
.LBB127_1399:
	s_and_b32 s9, s16, 3
	s_flbit_i32_b32 s11, s9
	s_min_u32 s11, s11, 32
	s_sub_i32 s12, s11, 29
	s_lshl_b32 s12, s16, s12
	s_lshl_b32 s8, s16, 24
	s_bfe_u32 s10, s16, 0x50002
	s_sub_i32 s11, 30, s11
	s_and_b32 s12, s12, 3
	s_cmp_eq_u32 s10, 0
	s_cselect_b32 s10, s11, s10
	s_cselect_b32 s9, s12, s9
	s_lshl_b32 s10, s10, 23
	s_and_b32 s8, s8, 0x80000000
	s_add_i32 s10, s10, 0x37800000
	s_lshl_b32 s9, s9, 21
	s_or_b32 s8, s8, s10
	s_or_b32 s12, s8, s9
	s_and_b32 s10, s12, 0x7fffffff
	s_cmp_lt_u32 s10, 0x47800000
	s_cbranch_scc1 .LBB127_1396
.LBB127_1400:
	s_mov_b64 s[8:9], -1
                                        ; implicit-def: $vgpr0
	s_branch .LBB127_1405
.LBB127_1401:
	s_mov_b64 s[8:9], -1
                                        ; implicit-def: $sgpr11
.LBB127_1402:
	s_andn2_b64 vcc, exec, s[8:9]
	v_mov_b32_e32 v0, s11
	s_cbranch_vccnz .LBB127_1404
; %bb.1403:
	v_mov_b32_e32 v0, 0x43000000
	v_add_f32_e64 v0, |s12|, v0
.LBB127_1404:
	s_mov_b64 s[8:9], 0
.LBB127_1405:
	s_andn2_b64 vcc, exec, s[8:9]
	s_cbranch_vccnz .LBB127_1407
; %bb.1406:
	s_cmp_gt_u32 s10, 0x7f800000
	s_movk_i32 s8, 0x7f
	s_cselect_b32 s8, s8, 0x7c
	v_mov_b32_e32 v0, s8
.LBB127_1407:
	s_lshr_b32 s8, s12, 24
	s_and_b32 s8, s8, 0x80
	v_or_b32_e32 v0, s8, v0
	global_store_byte v[9:10], v0, off
.LBB127_1408:
	s_mov_b64 s[8:9], 0
	s_mov_b64 s[10:11], -1
.LBB127_1409:
	s_andn2_b64 vcc, exec, s[8:9]
	s_mov_b64 s[8:9], 0
	s_cbranch_vccnz .LBB127_1424
; %bb.1410:
	s_cmp_gt_i32 s15, 14
	s_mov_b64 s[12:13], -1
	s_cbranch_scc0 .LBB127_1422
; %bb.1411:
	s_cmp_eq_u32 s15, 15
	s_mov_b64 s[0:1], -1
	s_cbranch_scc0 .LBB127_1421
; %bb.1412:
	s_and_b32 s10, s16, 0xff
	s_cmpk_lt_i32 s10, 0x80
	s_cbranch_scc1 .LBB127_1417
; %bb.1413:
	s_and_b32 s0, 0xffff, s10
	s_cmpk_eq_i32 s0, 0x80
	s_mov_b64 s[0:1], -1
	s_cbranch_scc0 .LBB127_1415
; %bb.1414:
	s_mov_b64 s[0:1], 0
	s_mov_b32 s11, 0x7f800001
	s_and_b64 vcc, exec, s[8:9]
	s_cbranch_vccz .LBB127_1418
	s_branch .LBB127_1416
.LBB127_1415:
	s_mov_b32 s11, 0x7f800001
	s_and_b64 vcc, exec, s[8:9]
	s_cbranch_vccz .LBB127_1418
.LBB127_1416:
	s_and_b32 s0, 0xffff, s10
	s_cmp_lg_u32 s0, 0
	s_mov_b32 s11, 0
	s_cselect_b64 s[0:1], -1, 0
	s_andn2_b64 vcc, exec, s[0:1]
	s_cbranch_vccz .LBB127_1419
	s_branch .LBB127_1420
.LBB127_1417:
	s_mov_b64 s[0:1], 0
	s_mov_b32 s11, 0x7f800001
	s_cbranch_execnz .LBB127_1416
.LBB127_1418:
	s_andn2_b64 vcc, exec, s[0:1]
	s_cbranch_vccnz .LBB127_1420
.LBB127_1419:
	s_and_b32 s1, s16, 3
	s_flbit_i32_b32 s9, s1
	s_min_u32 s9, s9, 32
	s_sub_i32 s10, s9, 29
	s_lshl_b32 s10, s16, s10
	s_lshl_b32 s0, s16, 24
	s_bfe_u32 s8, s16, 0x50002
	s_sub_i32 s9, 30, s9
	s_and_b32 s10, s10, 3
	s_cmp_eq_u32 s8, 0
	s_cselect_b32 s8, s9, s8
	s_cselect_b32 s1, s10, s1
	s_lshl_b32 s8, s8, 23
	s_and_b32 s0, s0, 0x80000000
	s_add_i32 s8, s8, 0x37800000
	s_lshl_b32 s1, s1, 21
	s_or_b32 s0, s0, s8
	s_or_b32 s11, s0, s1
.LBB127_1420:
	s_bfe_u32 s0, s11, 0x10010
	s_add_i32 s0, s11, s0
	s_addk_i32 s0, 0x7fff
	s_lshr_b32 s8, s0, 16
	v_cmp_o_f32_e64 s[0:1], s11, s11
	s_and_b64 s[0:1], s[0:1], exec
	s_cselect_b32 s0, s8, 0x7fc0
	v_mov_b32_e32 v0, s0
	global_store_short v[9:10], v0, off
	s_mov_b64 s[0:1], 0
	s_mov_b64 s[10:11], -1
.LBB127_1421:
	s_mov_b64 s[12:13], 0
.LBB127_1422:
	s_mov_b64 s[8:9], 0
	s_and_b64 vcc, exec, s[12:13]
	s_cbranch_vccz .LBB127_1424
; %bb.1423:
	s_cmp_lg_u32 s15, 11
	s_mov_b64 s[8:9], -1
	s_cselect_b64 s[0:1], -1, 0
.LBB127_1424:
	s_and_b64 vcc, exec, s[0:1]
	s_mov_b64 s[0:1], s[6:7]
	s_cbranch_vccnz .LBB127_1436
; %bb.1425:
	s_andn2_b64 vcc, exec, s[8:9]
	s_cbranch_vccnz .LBB127_1427
.LBB127_1426:
	s_and_b32 s8, s16, 0xff
	s_cmp_lg_u32 s8, 0
	s_cselect_b64 s[8:9], -1, 0
	v_cndmask_b32_e64 v0, 0, 1, s[8:9]
	s_mov_b64 s[10:11], -1
	global_store_byte v[9:10], v0, off
.LBB127_1427:
	s_branch .LBB127_1285
.LBB127_1428:
	s_and_b32 s12, 0xffff, s14
	s_cmp_lt_i32 s12, 5
	s_mov_b64 s[8:9], -1
	s_cbranch_scc1 .LBB127_1506
; %bb.1429:
	s_cmp_lt_i32 s12, 8
	s_cbranch_scc1 .LBB127_1468
; %bb.1430:
	s_cmp_lt_i32 s12, 9
	s_cbranch_scc1 .LBB127_1456
; %bb.1431:
	s_cmp_gt_i32 s12, 9
	s_cbranch_scc0 .LBB127_1444
; %bb.1432:
	s_and_b32 s13, s16, 0xff
	s_cmpk_lt_i32 s13, 0x80
	s_cbranch_scc1 .LBB127_1437
; %bb.1433:
	s_and_b32 s8, 0xffff, s13
	s_cmpk_eq_i32 s8, 0x80
	s_mov_b64 s[8:9], -1
	s_cbranch_scc0 .LBB127_1435
; %bb.1434:
	s_mov_b64 s[8:9], 0
.LBB127_1435:
	s_mov_b64 s[10:11], 0
	s_branch .LBB127_1438
.LBB127_1436:
	s_or_b64 s[0:1], s[6:7], exec
	s_trap 2
	s_cbranch_execz .LBB127_1426
	s_branch .LBB127_1427
.LBB127_1437:
	s_mov_b64 s[10:11], -1
	s_mov_b64 s[8:9], 0
.LBB127_1438:
	s_and_b64 vcc, exec, s[10:11]
	s_cbranch_vccz .LBB127_1440
; %bb.1439:
	s_and_b32 s8, 0xffff, s13
	s_cmp_lg_u32 s8, 0
	s_mov_b64 s[10:11], 0
	s_cselect_b64 s[8:9], -1, 0
	s_branch .LBB127_1441
.LBB127_1440:
	s_mov_b32 s11, 0x7ff80000
	s_brev_b32 s10, 4
.LBB127_1441:
	v_mov_b32_e32 v0, s10
	s_andn2_b64 vcc, exec, s[8:9]
	v_mov_b32_e32 v1, s11
	s_cbranch_vccnz .LBB127_1443
; %bb.1442:
	s_and_b32 s9, s16, 3
	s_flbit_i32_b32 s11, s9
	s_min_u32 s11, s11, 32
	s_sub_i32 s13, s11, 29
	s_lshl_b32 s13, s16, s13
	s_lshl_b32 s8, s16, 24
	s_bfe_u32 s10, s16, 0x50002
	s_sub_i32 s11, 30, s11
	s_and_b32 s13, s13, 3
	s_cmp_eq_u32 s10, 0
	s_cselect_b32 s10, s11, s10
	s_cselect_b32 s9, s13, s9
	s_lshl_b32 s10, s10, 23
	s_and_b32 s8, s8, 0x80000000
	s_add_i32 s10, s10, 0x37800000
	s_lshl_b32 s9, s9, 21
	s_or_b32 s8, s8, s10
	s_or_b32 s8, s8, s9
	v_cvt_f64_f32_e32 v[0:1], s8
.LBB127_1443:
	v_mov_b32_e32 v2, 0
	v_mov_b32_e32 v3, v2
	global_store_dwordx4 v[9:10], v[0:3], off
	s_mov_b64 s[8:9], 0
.LBB127_1444:
	s_and_b64 vcc, exec, s[8:9]
	s_cbranch_vccz .LBB127_1455
; %bb.1445:
	s_and_b32 s13, s16, 0xff
	s_cmpk_lt_i32 s13, 0x80
	s_cbranch_scc1 .LBB127_1449
; %bb.1446:
	s_and_b32 s8, 0xffff, s13
	s_cmpk_eq_i32 s8, 0x80
	s_mov_b64 s[8:9], -1
	s_cbranch_scc0 .LBB127_1448
; %bb.1447:
	s_mov_b64 s[8:9], 0
.LBB127_1448:
	s_mov_b64 s[10:11], 0
	s_branch .LBB127_1450
.LBB127_1449:
	s_mov_b64 s[10:11], -1
	s_mov_b64 s[8:9], 0
.LBB127_1450:
	s_mov_b32 s15, 0x7f800001
	s_and_b64 vcc, exec, s[10:11]
	s_cbranch_vccz .LBB127_1452
; %bb.1451:
	s_and_b32 s15, 0xffff, s13
	s_cmp_lg_u32 s15, 0
	s_cselect_b64 s[8:9], -1, 0
.LBB127_1452:
	s_andn2_b64 vcc, exec, s[8:9]
	s_cbranch_vccnz .LBB127_1454
; %bb.1453:
	s_and_b32 s9, s16, 3
	s_flbit_i32_b32 s11, s9
	s_min_u32 s11, s11, 32
	s_sub_i32 s13, s11, 29
	s_lshl_b32 s13, s16, s13
	s_lshl_b32 s8, s16, 24
	s_bfe_u32 s10, s16, 0x50002
	s_sub_i32 s11, 30, s11
	s_and_b32 s13, s13, 3
	s_cmp_eq_u32 s10, 0
	s_cselect_b32 s10, s11, s10
	s_cselect_b32 s9, s13, s9
	s_lshl_b32 s10, s10, 23
	s_and_b32 s8, s8, 0x80000000
	s_add_i32 s10, s10, 0x37800000
	s_lshl_b32 s9, s9, 21
	s_or_b32 s8, s8, s10
	s_or_b32 s15, s8, s9
.LBB127_1454:
	v_mov_b32_e32 v0, s15
	v_mov_b32_e32 v1, 0
	global_store_dwordx2 v[9:10], v[0:1], off
.LBB127_1455:
	s_mov_b64 s[8:9], 0
.LBB127_1456:
	s_andn2_b64 vcc, exec, s[8:9]
	s_cbranch_vccnz .LBB127_1467
; %bb.1457:
	s_and_b32 s13, s16, 0xff
	s_cmpk_lt_i32 s13, 0x80
	s_cbranch_scc1 .LBB127_1461
; %bb.1458:
	s_and_b32 s8, 0xffff, s13
	s_cmpk_eq_i32 s8, 0x80
	s_mov_b64 s[8:9], -1
	s_cbranch_scc0 .LBB127_1460
; %bb.1459:
	s_mov_b64 s[8:9], 0
.LBB127_1460:
	s_mov_b64 s[10:11], 0
	s_branch .LBB127_1462
.LBB127_1461:
	s_mov_b64 s[10:11], -1
	s_mov_b64 s[8:9], 0
.LBB127_1462:
	s_movk_i32 s15, 0x7e00
	s_and_b64 vcc, exec, s[10:11]
	s_cbranch_vccz .LBB127_1464
; %bb.1463:
	s_and_b32 s15, 0xffff, s13
	s_cmp_lg_u32 s15, 0
	s_cselect_b64 s[8:9], -1, 0
.LBB127_1464:
	s_andn2_b64 vcc, exec, s[8:9]
	v_mov_b32_e32 v0, s15
	s_cbranch_vccnz .LBB127_1466
; %bb.1465:
	s_and_b32 s9, s16, 3
	s_flbit_i32_b32 s11, s9
	s_min_u32 s11, s11, 32
	s_sub_i32 s13, s11, 29
	s_lshl_b32 s13, s16, s13
	s_lshl_b32 s8, s16, 24
	s_bfe_u32 s10, s16, 0x50002
	s_sub_i32 s11, 30, s11
	s_and_b32 s13, s13, 3
	s_cmp_eq_u32 s10, 0
	s_cselect_b32 s10, s11, s10
	s_cselect_b32 s9, s13, s9
	s_lshl_b32 s10, s10, 23
	s_and_b32 s8, s8, 0x80000000
	s_add_i32 s10, s10, 0x37800000
	s_lshl_b32 s9, s9, 21
	s_or_b32 s8, s8, s10
	s_or_b32 s8, s8, s9
	v_cvt_f16_f32_e32 v0, s8
.LBB127_1466:
	global_store_dword v[9:10], v0, off
.LBB127_1467:
	s_mov_b64 s[8:9], 0
.LBB127_1468:
	s_andn2_b64 vcc, exec, s[8:9]
	s_cbranch_vccnz .LBB127_1505
; %bb.1469:
	s_cmp_lt_i32 s12, 6
	s_mov_b64 s[8:9], -1
	s_cbranch_scc1 .LBB127_1494
; %bb.1470:
	s_cmp_gt_i32 s12, 6
	s_cbranch_scc0 .LBB127_1482
; %bb.1471:
	s_and_b32 s13, s16, 0xff
	s_cmpk_lt_i32 s13, 0x80
	s_cbranch_scc1 .LBB127_1475
; %bb.1472:
	s_and_b32 s8, 0xffff, s13
	s_cmpk_eq_i32 s8, 0x80
	s_mov_b64 s[8:9], -1
	s_cbranch_scc0 .LBB127_1474
; %bb.1473:
	s_mov_b64 s[8:9], 0
.LBB127_1474:
	s_mov_b64 s[10:11], 0
	s_branch .LBB127_1476
.LBB127_1475:
	s_mov_b64 s[10:11], -1
	s_mov_b64 s[8:9], 0
.LBB127_1476:
	s_and_b64 vcc, exec, s[10:11]
	s_cbranch_vccz .LBB127_1478
; %bb.1477:
	s_and_b32 s8, 0xffff, s13
	s_cmp_lg_u32 s8, 0
	s_mov_b64 s[10:11], 0
	s_cselect_b64 s[8:9], -1, 0
	s_branch .LBB127_1479
.LBB127_1478:
	s_mov_b32 s11, 0x7ff80000
	s_brev_b32 s10, 4
.LBB127_1479:
	v_mov_b32_e32 v0, s10
	s_andn2_b64 vcc, exec, s[8:9]
	v_mov_b32_e32 v1, s11
	s_cbranch_vccnz .LBB127_1481
; %bb.1480:
	s_and_b32 s9, s16, 3
	s_flbit_i32_b32 s11, s9
	s_min_u32 s11, s11, 32
	s_sub_i32 s13, s11, 29
	s_lshl_b32 s13, s16, s13
	s_lshl_b32 s8, s16, 24
	s_bfe_u32 s10, s16, 0x50002
	s_sub_i32 s11, 30, s11
	s_and_b32 s13, s13, 3
	s_cmp_eq_u32 s10, 0
	s_cselect_b32 s10, s11, s10
	s_cselect_b32 s9, s13, s9
	s_lshl_b32 s10, s10, 23
	s_and_b32 s8, s8, 0x80000000
	s_add_i32 s10, s10, 0x37800000
	s_lshl_b32 s9, s9, 21
	s_or_b32 s8, s8, s10
	s_or_b32 s8, s8, s9
	v_cvt_f64_f32_e32 v[0:1], s8
.LBB127_1481:
	global_store_dwordx2 v[9:10], v[0:1], off
	s_mov_b64 s[8:9], 0
.LBB127_1482:
	s_and_b64 vcc, exec, s[8:9]
	s_cbranch_vccz .LBB127_1493
; %bb.1483:
	s_and_b32 s13, s16, 0xff
	s_cmpk_lt_i32 s13, 0x80
	s_cbranch_scc1 .LBB127_1487
; %bb.1484:
	s_and_b32 s8, 0xffff, s13
	s_cmpk_eq_i32 s8, 0x80
	s_mov_b64 s[8:9], -1
	s_cbranch_scc0 .LBB127_1486
; %bb.1485:
	s_mov_b64 s[8:9], 0
.LBB127_1486:
	s_mov_b64 s[10:11], 0
	s_branch .LBB127_1488
.LBB127_1487:
	s_mov_b64 s[10:11], -1
	s_mov_b64 s[8:9], 0
.LBB127_1488:
	s_mov_b32 s15, 0x7f800001
	s_and_b64 vcc, exec, s[10:11]
	s_cbranch_vccz .LBB127_1490
; %bb.1489:
	s_and_b32 s15, 0xffff, s13
	s_cmp_lg_u32 s15, 0
	s_cselect_b64 s[8:9], -1, 0
.LBB127_1490:
	s_andn2_b64 vcc, exec, s[8:9]
	s_cbranch_vccnz .LBB127_1492
; %bb.1491:
	s_and_b32 s9, s16, 3
	s_flbit_i32_b32 s11, s9
	s_min_u32 s11, s11, 32
	s_sub_i32 s13, s11, 29
	s_lshl_b32 s13, s16, s13
	s_lshl_b32 s8, s16, 24
	s_bfe_u32 s10, s16, 0x50002
	s_sub_i32 s11, 30, s11
	s_and_b32 s13, s13, 3
	s_cmp_eq_u32 s10, 0
	s_cselect_b32 s10, s11, s10
	s_cselect_b32 s9, s13, s9
	s_lshl_b32 s10, s10, 23
	s_and_b32 s8, s8, 0x80000000
	s_add_i32 s10, s10, 0x37800000
	s_lshl_b32 s9, s9, 21
	s_or_b32 s8, s8, s10
	s_or_b32 s15, s8, s9
.LBB127_1492:
	v_mov_b32_e32 v0, s15
	global_store_dword v[9:10], v0, off
.LBB127_1493:
	s_mov_b64 s[8:9], 0
.LBB127_1494:
	s_andn2_b64 vcc, exec, s[8:9]
	s_cbranch_vccnz .LBB127_1505
; %bb.1495:
	s_and_b32 s13, s16, 0xff
	s_cmpk_lt_i32 s13, 0x80
	s_cbranch_scc1 .LBB127_1499
; %bb.1496:
	s_and_b32 s8, 0xffff, s13
	s_cmpk_eq_i32 s8, 0x80
	s_mov_b64 s[8:9], -1
	s_cbranch_scc0 .LBB127_1498
; %bb.1497:
	s_mov_b64 s[8:9], 0
.LBB127_1498:
	s_mov_b64 s[10:11], 0
	s_branch .LBB127_1500
.LBB127_1499:
	s_mov_b64 s[10:11], -1
	s_mov_b64 s[8:9], 0
.LBB127_1500:
	s_movk_i32 s15, 0x7e00
	s_and_b64 vcc, exec, s[10:11]
	s_cbranch_vccz .LBB127_1502
; %bb.1501:
	s_and_b32 s8, 0xffff, s13
	s_cmp_lg_u32 s8, 0
	s_cselect_b64 s[8:9], -1, 0
	s_mov_b32 s15, s13
.LBB127_1502:
	s_andn2_b64 vcc, exec, s[8:9]
	v_mov_b32_e32 v0, s15
	s_cbranch_vccnz .LBB127_1504
; %bb.1503:
	s_and_b32 s9, s16, 3
	s_flbit_i32_b32 s11, s9
	s_min_u32 s11, s11, 32
	s_sub_i32 s13, s11, 29
	s_lshl_b32 s13, s16, s13
	s_lshl_b32 s8, s16, 24
	s_bfe_u32 s10, s16, 0x50002
	s_sub_i32 s11, 30, s11
	s_and_b32 s13, s13, 3
	s_cmp_eq_u32 s10, 0
	s_cselect_b32 s10, s11, s10
	s_cselect_b32 s9, s13, s9
	s_lshl_b32 s10, s10, 23
	s_and_b32 s8, s8, 0x80000000
	s_add_i32 s10, s10, 0x37800000
	s_lshl_b32 s9, s9, 21
	s_or_b32 s8, s8, s10
	s_or_b32 s8, s8, s9
	v_cvt_f16_f32_e32 v0, s8
.LBB127_1504:
	global_store_short v[9:10], v0, off
.LBB127_1505:
	s_mov_b64 s[8:9], 0
.LBB127_1506:
	s_andn2_b64 vcc, exec, s[8:9]
	s_cbranch_vccnz .LBB127_1557
; %bb.1507:
	s_cmp_lt_i32 s12, 2
	s_mov_b64 s[8:9], -1
	s_cbranch_scc1 .LBB127_1538
; %bb.1508:
	s_cmp_lt_i32 s12, 3
	s_cbranch_scc1 .LBB127_1528
; %bb.1509:
	s_cmp_gt_i32 s12, 3
	s_cbranch_scc0 .LBB127_1518
; %bb.1510:
	s_and_b32 s13, s16, 0xff
	s_cmpk_lt_i32 s13, 0x80
	s_cbranch_scc1 .LBB127_1512
; %bb.1511:
	s_and_b32 s8, 0xffff, s13
	s_cmpk_lg_i32 s8, 0x80
	s_mov_b64 s[10:11], 0
	s_cselect_b64 s[8:9], -1, 0
	s_branch .LBB127_1513
.LBB127_1512:
	s_mov_b64 s[10:11], -1
	s_mov_b64 s[8:9], 0
.LBB127_1513:
	s_andn2_b64 vcc, exec, s[10:11]
	s_cbranch_vccnz .LBB127_1515
; %bb.1514:
	s_and_b32 s8, 0xffff, s13
	s_cmp_lg_u32 s8, 0
	s_cselect_b64 s[8:9], -1, 0
.LBB127_1515:
	v_mov_b32_e32 v0, 0
	s_andn2_b64 vcc, exec, s[8:9]
	v_mov_b32_e32 v1, 0
	s_cbranch_vccnz .LBB127_1517
; %bb.1516:
	s_and_b32 s9, s16, 3
	s_flbit_i32_b32 s11, s9
	s_min_u32 s11, s11, 32
	s_sub_i32 s13, s11, 29
	s_lshl_b32 s13, s16, s13
	s_lshl_b32 s8, s16, 24
	s_bfe_u32 s10, s16, 0x50002
	s_sub_i32 s11, 30, s11
	s_and_b32 s13, s13, 3
	s_cmp_eq_u32 s10, 0
	s_cselect_b32 s10, s11, s10
	s_cselect_b32 s9, s13, s9
	s_lshl_b32 s10, s10, 23
	s_and_b32 s8, s8, 0x80000000
	s_add_i32 s10, s10, 0x37800000
	s_lshl_b32 s9, s9, 21
	s_or_b32 s8, s8, s10
	s_or_b32 s8, s8, s9
	v_trunc_f32_e32 v0, s8
	s_mov_b32 s8, 0x2f800000
	v_mul_f32_e64 v1, |v0|, s8
	v_floor_f32_e32 v1, v1
	s_mov_b32 s8, 0xcf800000
	v_fma_f32 v2, v1, s8, |v0|
	v_cvt_u32_f32_e32 v2, v2
	v_cvt_u32_f32_e32 v1, v1
	v_ashrrev_i32_e32 v3, 31, v0
	v_xor_b32_e32 v0, v2, v3
	v_xor_b32_e32 v1, v1, v3
	v_sub_co_u32_e32 v0, vcc, v0, v3
	v_subb_co_u32_e32 v1, vcc, v1, v3, vcc
.LBB127_1517:
	global_store_dwordx2 v[9:10], v[0:1], off
	s_mov_b64 s[8:9], 0
.LBB127_1518:
	s_and_b64 vcc, exec, s[8:9]
	s_cbranch_vccz .LBB127_1527
; %bb.1519:
	s_and_b32 s13, s16, 0xff
	s_cmpk_lt_i32 s13, 0x80
	s_cbranch_scc1 .LBB127_1521
; %bb.1520:
	s_and_b32 s8, 0xffff, s13
	s_cmpk_lg_i32 s8, 0x80
	s_mov_b64 s[10:11], 0
	s_cselect_b64 s[8:9], -1, 0
	s_branch .LBB127_1522
.LBB127_1521:
	s_mov_b64 s[10:11], -1
	s_mov_b64 s[8:9], 0
.LBB127_1522:
	s_andn2_b64 vcc, exec, s[10:11]
	s_cbranch_vccnz .LBB127_1524
; %bb.1523:
	s_and_b32 s8, 0xffff, s13
	s_cmp_lg_u32 s8, 0
	s_cselect_b64 s[8:9], -1, 0
.LBB127_1524:
	s_andn2_b64 vcc, exec, s[8:9]
	v_mov_b32_e32 v0, 0
	s_cbranch_vccnz .LBB127_1526
; %bb.1525:
	s_and_b32 s9, s16, 3
	s_flbit_i32_b32 s11, s9
	s_min_u32 s11, s11, 32
	s_sub_i32 s13, s11, 29
	s_lshl_b32 s13, s16, s13
	s_lshl_b32 s8, s16, 24
	s_bfe_u32 s10, s16, 0x50002
	s_sub_i32 s11, 30, s11
	s_and_b32 s13, s13, 3
	s_cmp_eq_u32 s10, 0
	s_cselect_b32 s10, s11, s10
	s_cselect_b32 s9, s13, s9
	s_lshl_b32 s10, s10, 23
	s_and_b32 s8, s8, 0x80000000
	s_add_i32 s10, s10, 0x37800000
	s_lshl_b32 s9, s9, 21
	s_or_b32 s8, s8, s10
	s_or_b32 s8, s8, s9
	v_cvt_i32_f32_e32 v0, s8
.LBB127_1526:
	global_store_dword v[9:10], v0, off
.LBB127_1527:
	s_mov_b64 s[8:9], 0
.LBB127_1528:
	s_andn2_b64 vcc, exec, s[8:9]
	s_cbranch_vccnz .LBB127_1537
; %bb.1529:
	s_and_b32 s13, s16, 0xff
	s_cmpk_lt_i32 s13, 0x80
	s_cbranch_scc1 .LBB127_1531
; %bb.1530:
	s_and_b32 s8, 0xffff, s13
	s_cmpk_lg_i32 s8, 0x80
	s_mov_b64 s[10:11], 0
	s_cselect_b64 s[8:9], -1, 0
	s_branch .LBB127_1532
.LBB127_1531:
	s_mov_b64 s[10:11], -1
	s_mov_b64 s[8:9], 0
.LBB127_1532:
	s_andn2_b64 vcc, exec, s[10:11]
	s_cbranch_vccnz .LBB127_1534
; %bb.1533:
	s_and_b32 s8, 0xffff, s13
	s_cmp_lg_u32 s8, 0
	s_cselect_b64 s[8:9], -1, 0
.LBB127_1534:
	s_andn2_b64 vcc, exec, s[8:9]
	v_mov_b32_e32 v0, 0
	s_cbranch_vccnz .LBB127_1536
; %bb.1535:
	s_and_b32 s9, s16, 3
	s_flbit_i32_b32 s11, s9
	s_min_u32 s11, s11, 32
	s_sub_i32 s13, s11, 29
	s_lshl_b32 s13, s16, s13
	s_lshl_b32 s8, s16, 24
	s_bfe_u32 s10, s16, 0x50002
	s_sub_i32 s11, 30, s11
	s_and_b32 s13, s13, 3
	s_cmp_eq_u32 s10, 0
	s_cselect_b32 s10, s11, s10
	s_cselect_b32 s9, s13, s9
	s_lshl_b32 s10, s10, 23
	s_and_b32 s8, s8, 0x80000000
	s_add_i32 s10, s10, 0x37800000
	s_lshl_b32 s9, s9, 21
	s_or_b32 s8, s8, s10
	s_or_b32 s8, s8, s9
	v_cvt_i32_f32_e32 v0, s8
.LBB127_1536:
	global_store_short v[9:10], v0, off
.LBB127_1537:
	s_mov_b64 s[8:9], 0
.LBB127_1538:
	s_andn2_b64 vcc, exec, s[8:9]
	s_cbranch_vccnz .LBB127_1557
; %bb.1539:
	s_cmp_gt_i32 s12, 0
	s_mov_b64 s[8:9], -1
	s_cbranch_scc0 .LBB127_1548
; %bb.1540:
	s_and_b32 s12, s16, 0xff
	s_cmpk_lt_i32 s12, 0x80
	s_cbranch_scc1 .LBB127_1542
; %bb.1541:
	s_and_b32 s8, 0xffff, s12
	s_cmpk_lg_i32 s8, 0x80
	s_mov_b64 s[10:11], 0
	s_cselect_b64 s[8:9], -1, 0
	s_branch .LBB127_1543
.LBB127_1542:
	s_mov_b64 s[10:11], -1
	s_mov_b64 s[8:9], 0
.LBB127_1543:
	s_andn2_b64 vcc, exec, s[10:11]
	s_cbranch_vccnz .LBB127_1545
; %bb.1544:
	s_and_b32 s8, 0xffff, s12
	s_cmp_lg_u32 s8, 0
	s_cselect_b64 s[8:9], -1, 0
.LBB127_1545:
	s_andn2_b64 vcc, exec, s[8:9]
	v_mov_b32_e32 v0, 0
	s_cbranch_vccnz .LBB127_1547
; %bb.1546:
	s_and_b32 s9, s16, 3
	s_flbit_i32_b32 s11, s9
	s_min_u32 s11, s11, 32
	s_sub_i32 s12, s11, 29
	s_lshl_b32 s12, s16, s12
	s_lshl_b32 s8, s16, 24
	s_bfe_u32 s10, s16, 0x50002
	s_sub_i32 s11, 30, s11
	s_and_b32 s12, s12, 3
	s_cmp_eq_u32 s10, 0
	s_cselect_b32 s10, s11, s10
	s_cselect_b32 s9, s12, s9
	s_lshl_b32 s10, s10, 23
	s_and_b32 s8, s8, 0x80000000
	s_add_i32 s10, s10, 0x37800000
	s_lshl_b32 s9, s9, 21
	s_or_b32 s8, s8, s10
	s_or_b32 s8, s8, s9
	v_cvt_i32_f32_e32 v0, s8
.LBB127_1547:
	global_store_byte v[9:10], v0, off
	s_mov_b64 s[8:9], 0
.LBB127_1548:
	s_and_b64 vcc, exec, s[8:9]
	s_cbranch_vccz .LBB127_1557
; %bb.1549:
	s_and_b32 s12, s16, 0xff
	s_cmpk_lt_i32 s12, 0x80
	s_cbranch_scc1 .LBB127_1551
; %bb.1550:
	s_and_b32 s8, 0xffff, s12
	s_cmpk_lg_i32 s8, 0x80
	s_mov_b64 s[10:11], 0
	s_cselect_b64 s[8:9], -1, 0
	s_branch .LBB127_1552
.LBB127_1551:
	s_mov_b64 s[10:11], -1
	s_mov_b64 s[8:9], 0
.LBB127_1552:
	s_andn2_b64 vcc, exec, s[10:11]
	s_cbranch_vccnz .LBB127_1554
; %bb.1553:
	s_and_b32 s8, 0xffff, s12
	s_cmp_lg_u32 s8, 0
	s_cselect_b64 s[8:9], -1, 0
.LBB127_1554:
	s_andn2_b64 vcc, exec, s[8:9]
	v_mov_b32_e32 v0, 0
	s_cbranch_vccnz .LBB127_1556
; %bb.1555:
	s_and_b32 s9, s16, 3
	s_flbit_i32_b32 s11, s9
	s_min_u32 s11, s11, 32
	s_sub_i32 s12, s11, 29
	s_lshl_b32 s12, s16, s12
	s_lshl_b32 s8, s16, 24
	s_bfe_u32 s10, s16, 0x50002
	s_sub_i32 s11, 30, s11
	s_and_b32 s12, s12, 3
	s_cmp_eq_u32 s10, 0
	s_cselect_b32 s10, s11, s10
	s_cselect_b32 s9, s12, s9
	s_lshl_b32 s10, s10, 23
	s_and_b32 s8, s8, 0x80000000
	s_add_i32 s10, s10, 0x37800000
	s_lshl_b32 s9, s9, 21
	s_or_b32 s8, s8, s10
	s_or_b32 s8, s8, s9
	v_trunc_f32_e32 v0, s8
	s_mov_b32 s8, 0x2f800000
	v_mul_f32_e64 v1, |v0|, s8
	v_floor_f32_e32 v1, v1
	s_mov_b32 s8, 0xcf800000
	v_fma_f32 v1, v1, s8, |v0|
	v_cvt_u32_f32_e32 v1, v1
	v_ashrrev_i32_e32 v0, 31, v0
	v_xor_b32_e32 v1, v1, v0
	v_sub_u32_e32 v0, v1, v0
.LBB127_1556:
	global_store_byte v[9:10], v0, off
.LBB127_1557:
.LBB127_1558:
	v_mov_b32_e32 v0, s3
	s_and_b32 s17, 0xffff, s14
	v_add_co_u32_e32 v7, vcc, s2, v8
	s_cmp_lt_i32 s17, 11
	v_addc_co_u32_e32 v8, vcc, 0, v0, vcc
	s_cbranch_scc1 .LBB127_1567
; %bb.1559:
	s_mov_b64 s[14:15], -1
	s_mov_b64 s[10:11], 0
	s_cmp_gt_i32 s17, 25
	s_mov_b64 s[12:13], 0
	s_mov_b64 s[8:9], 0
	s_cbranch_scc0 .LBB127_1643
; %bb.1560:
	s_cmp_gt_i32 s17, 28
	s_cbranch_scc0 .LBB127_1601
; %bb.1561:
	s_cmp_gt_i32 s17, 43
	;; [unrolled: 3-line block ×3, first 2 shown]
	s_cbranch_scc0 .LBB127_1575
; %bb.1563:
	s_mov_b64 s[8:9], -1
	s_mov_b64 s[14:15], 0
	s_cmp_eq_u32 s17, 46
	s_cbranch_scc0 .LBB127_1575
; %bb.1564:
	s_and_b32 s18, s16, 0xff
	s_cmpk_lt_i32 s18, 0x80
	s_cbranch_scc1 .LBB127_1571
; %bb.1565:
	s_and_b32 s8, 0xffff, s18
	s_cmpk_eq_i32 s8, 0x80
	s_mov_b64 s[8:9], -1
	s_cbranch_scc0 .LBB127_1569
; %bb.1566:
	s_mov_b64 s[8:9], 0
	s_mov_b32 s19, 0x7f800001
	s_and_b64 vcc, exec, s[12:13]
	s_cbranch_vccz .LBB127_1572
	s_branch .LBB127_1570
.LBB127_1567:
	s_mov_b64 s[12:13], 0
	s_cbranch_execnz .LBB127_1711
.LBB127_1568:
	s_andn2_b64 vcc, exec, s[12:13]
	s_cbranch_vccz .LBB127_1841
	s_branch .LBB127_2135
.LBB127_1569:
	s_mov_b32 s19, 0x7f800001
	s_and_b64 vcc, exec, s[12:13]
	s_cbranch_vccz .LBB127_1572
.LBB127_1570:
	s_and_b32 s8, 0xffff, s18
	s_cmp_lg_u32 s8, 0
	s_mov_b32 s19, 0
	s_cselect_b64 s[8:9], -1, 0
	s_andn2_b64 vcc, exec, s[8:9]
	s_cbranch_vccz .LBB127_1573
	s_branch .LBB127_1574
.LBB127_1571:
	s_mov_b64 s[8:9], 0
	s_mov_b32 s19, 0x7f800001
	s_cbranch_execnz .LBB127_1570
.LBB127_1572:
	s_andn2_b64 vcc, exec, s[8:9]
	s_cbranch_vccnz .LBB127_1574
.LBB127_1573:
	s_and_b32 s9, s16, 3
	s_flbit_i32_b32 s13, s9
	s_min_u32 s13, s13, 32
	s_sub_i32 s18, s13, 29
	s_lshl_b32 s18, s16, s18
	s_lshl_b32 s8, s16, 24
	s_bfe_u32 s12, s16, 0x50002
	s_sub_i32 s13, 30, s13
	s_and_b32 s18, s18, 3
	s_cmp_eq_u32 s12, 0
	s_cselect_b32 s12, s13, s12
	s_cselect_b32 s9, s18, s9
	s_lshl_b32 s12, s12, 23
	s_and_b32 s8, s8, 0x80000000
	s_add_i32 s12, s12, 0x37800000
	s_lshl_b32 s9, s9, 21
	s_or_b32 s8, s8, s12
	s_or_b32 s19, s8, s9
.LBB127_1574:
	s_bfe_u32 s8, s19, 0x10010
	s_add_i32 s8, s19, s8
	s_addk_i32 s8, 0x7fff
	s_lshr_b32 s12, s8, 16
	v_cmp_o_f32_e64 s[8:9], s19, s19
	s_and_b64 s[8:9], s[8:9], exec
	s_cselect_b32 s8, s12, 0x7fc0
	v_mov_b32_e32 v0, s8
	s_mov_b64 s[8:9], 0
	s_mov_b64 s[12:13], -1
	global_store_dword v[7:8], v0, off
.LBB127_1575:
	s_and_b64 vcc, exec, s[14:15]
	s_cbranch_vccz .LBB127_1587
; %bb.1576:
	s_cmp_eq_u32 s17, 44
	s_mov_b64 s[8:9], -1
	s_cbranch_scc0 .LBB127_1587
; %bb.1577:
	s_and_b32 s14, s16, 0xff
	s_cmpk_lt_i32 s14, 0x80
	s_cbranch_scc1 .LBB127_1581
; %bb.1578:
	s_and_b32 s8, 0xffff, s14
	s_cmpk_eq_i32 s8, 0x80
	s_mov_b64 s[8:9], -1
	s_cbranch_scc0 .LBB127_1580
; %bb.1579:
	s_mov_b64 s[8:9], 0
.LBB127_1580:
	s_mov_b64 s[12:13], 0
	s_branch .LBB127_1582
.LBB127_1581:
	s_mov_b64 s[12:13], -1
	s_mov_b64 s[8:9], 0
.LBB127_1582:
	s_mov_b32 s15, 0x7f800001
	s_and_b64 vcc, exec, s[12:13]
	s_cbranch_vccz .LBB127_1592
; %bb.1583:
	s_and_b32 s15, 0xffff, s14
	s_cmp_lg_u32 s15, 0
	s_cselect_b64 s[8:9], -1, 0
	s_andn2_b64 vcc, exec, s[8:9]
	s_cbranch_vccz .LBB127_1593
.LBB127_1584:
	s_lshr_b32 s8, s15, 23
	s_cmpk_eq_i32 s8, 0xff
	v_mov_b32_e32 v0, 0xff
	s_cbranch_scc1 .LBB127_1586
.LBB127_1585:
	s_bitcmp1_b32 s15, 22
	s_cselect_b64 s[12:13], -1, 0
	s_and_b32 s9, s15, 0x3fffff
	s_or_b32 s9, s8, s9
	s_cmp_lg_u32 s9, 0
	s_cselect_b64 s[14:15], -1, 0
	s_and_b64 s[12:13], s[12:13], s[14:15]
	v_cndmask_b32_e64 v0, 0, 1, s[12:13]
	v_add_u32_e32 v0, s8, v0
.LBB127_1586:
	s_mov_b64 s[8:9], 0
	s_mov_b64 s[12:13], -1
	global_store_byte v[7:8], v0, off
.LBB127_1587:
	s_mov_b64 s[14:15], 0
.LBB127_1588:
	s_and_b64 vcc, exec, s[14:15]
	s_cbranch_vccz .LBB127_1600
; %bb.1589:
	s_cmp_eq_u32 s17, 29
	s_mov_b64 s[8:9], -1
	s_cbranch_scc0 .LBB127_1600
; %bb.1590:
	s_and_b32 s14, s16, 0xff
	s_cmpk_lt_i32 s14, 0x80
	s_cbranch_scc1 .LBB127_1594
; %bb.1591:
	s_and_b32 s8, 0xffff, s14
	s_cmpk_lg_i32 s8, 0x80
	s_mov_b64 s[12:13], 0
	s_cselect_b64 s[8:9], -1, 0
	s_branch .LBB127_1595
.LBB127_1592:
	s_andn2_b64 vcc, exec, s[8:9]
	s_cbranch_vccnz .LBB127_1584
.LBB127_1593:
	s_and_b32 s8, s16, 3
	s_flbit_i32_b32 s12, s8
	s_min_u32 s12, s12, 32
	s_sub_i32 s13, s12, 29
	s_lshl_b32 s13, s16, s13
	s_bfe_u32 s9, s16, 0x50002
	s_sub_i32 s12, 30, s12
	s_and_b32 s13, s13, 3
	s_cmp_eq_u32 s9, 0
	s_cselect_b32 s9, s12, s9
	s_cselect_b32 s8, s13, s8
	s_lshl_b32 s8, s8, 21
	s_lshl_b32 s9, s9, 23
	s_or_b32 s8, s9, s8
	s_add_i32 s15, s8, 0x37800000
	s_lshr_b32 s8, s15, 23
	s_cmpk_eq_i32 s8, 0xff
	v_mov_b32_e32 v0, 0xff
	s_cbranch_scc0 .LBB127_1585
	s_branch .LBB127_1586
.LBB127_1594:
	s_mov_b64 s[12:13], -1
	s_mov_b64 s[8:9], 0
.LBB127_1595:
	s_andn2_b64 vcc, exec, s[12:13]
	s_cbranch_vccnz .LBB127_1597
; %bb.1596:
	s_and_b32 s8, 0xffff, s14
	s_cmp_lg_u32 s8, 0
	s_cselect_b64 s[8:9], -1, 0
.LBB127_1597:
	v_mov_b32_e32 v0, 0
	s_andn2_b64 vcc, exec, s[8:9]
	v_mov_b32_e32 v1, 0
	s_cbranch_vccnz .LBB127_1599
; %bb.1598:
	s_and_b32 s9, s16, 3
	s_flbit_i32_b32 s13, s9
	s_min_u32 s13, s13, 32
	s_sub_i32 s14, s13, 29
	s_lshl_b32 s14, s16, s14
	s_lshl_b32 s8, s16, 24
	s_bfe_u32 s12, s16, 0x50002
	s_sub_i32 s13, 30, s13
	s_and_b32 s14, s14, 3
	s_cmp_eq_u32 s12, 0
	s_cselect_b32 s12, s13, s12
	s_cselect_b32 s9, s14, s9
	s_lshl_b32 s12, s12, 23
	s_and_b32 s8, s8, 0x80000000
	s_add_i32 s12, s12, 0x37800000
	s_lshl_b32 s9, s9, 21
	s_or_b32 s8, s8, s12
	s_or_b32 s8, s8, s9
	v_trunc_f32_e32 v0, s8
	v_mul_f32_e32 v1, 0x2f800000, v0
	v_floor_f32_e32 v1, v1
	v_fmac_f32_e32 v0, 0xcf800000, v1
	v_cvt_u32_f32_e32 v0, v0
	v_cvt_u32_f32_e32 v1, v1
.LBB127_1599:
	global_store_dwordx2 v[7:8], v[0:1], off
	s_mov_b64 s[8:9], 0
	s_mov_b64 s[12:13], -1
.LBB127_1600:
	s_mov_b64 s[14:15], 0
.LBB127_1601:
	s_and_b64 vcc, exec, s[14:15]
	s_cbranch_vccz .LBB127_1642
; %bb.1602:
	s_cmp_lt_i32 s17, 27
	s_mov_b64 s[12:13], -1
	s_cbranch_scc1 .LBB127_1622
; %bb.1603:
	s_cmp_gt_i32 s17, 27
	s_cbranch_scc0 .LBB127_1612
; %bb.1604:
	s_and_b32 s18, s16, 0xff
	s_cmpk_lt_i32 s18, 0x80
	s_cbranch_scc1 .LBB127_1606
; %bb.1605:
	s_and_b32 s12, 0xffff, s18
	s_cmpk_lg_i32 s12, 0x80
	s_mov_b64 s[14:15], 0
	s_cselect_b64 s[12:13], -1, 0
	s_branch .LBB127_1607
.LBB127_1606:
	s_mov_b64 s[14:15], -1
	s_mov_b64 s[12:13], 0
.LBB127_1607:
	s_andn2_b64 vcc, exec, s[14:15]
	s_cbranch_vccnz .LBB127_1609
; %bb.1608:
	s_and_b32 s12, 0xffff, s18
	s_cmp_lg_u32 s12, 0
	s_cselect_b64 s[12:13], -1, 0
.LBB127_1609:
	s_andn2_b64 vcc, exec, s[12:13]
	v_mov_b32_e32 v0, 0
	s_cbranch_vccnz .LBB127_1611
; %bb.1610:
	s_and_b32 s13, s16, 3
	s_flbit_i32_b32 s15, s13
	s_min_u32 s15, s15, 32
	s_sub_i32 s18, s15, 29
	s_lshl_b32 s18, s16, s18
	s_lshl_b32 s12, s16, 24
	s_bfe_u32 s14, s16, 0x50002
	s_sub_i32 s15, 30, s15
	s_and_b32 s18, s18, 3
	s_cmp_eq_u32 s14, 0
	s_cselect_b32 s14, s15, s14
	s_cselect_b32 s13, s18, s13
	s_lshl_b32 s14, s14, 23
	s_and_b32 s12, s12, 0x80000000
	s_add_i32 s14, s14, 0x37800000
	s_lshl_b32 s13, s13, 21
	s_or_b32 s12, s12, s14
	s_or_b32 s12, s12, s13
	v_cvt_u32_f32_e32 v0, s12
.LBB127_1611:
	global_store_dword v[7:8], v0, off
	s_mov_b64 s[12:13], 0
.LBB127_1612:
	s_and_b64 vcc, exec, s[12:13]
	s_cbranch_vccz .LBB127_1621
; %bb.1613:
	s_and_b32 s18, s16, 0xff
	s_cmpk_lt_i32 s18, 0x80
	s_cbranch_scc1 .LBB127_1615
; %bb.1614:
	s_and_b32 s12, 0xffff, s18
	s_cmpk_lg_i32 s12, 0x80
	s_mov_b64 s[14:15], 0
	s_cselect_b64 s[12:13], -1, 0
	s_branch .LBB127_1616
.LBB127_1615:
	s_mov_b64 s[14:15], -1
	s_mov_b64 s[12:13], 0
.LBB127_1616:
	s_andn2_b64 vcc, exec, s[14:15]
	s_cbranch_vccnz .LBB127_1618
; %bb.1617:
	s_and_b32 s12, 0xffff, s18
	s_cmp_lg_u32 s12, 0
	s_cselect_b64 s[12:13], -1, 0
.LBB127_1618:
	s_andn2_b64 vcc, exec, s[12:13]
	v_mov_b32_e32 v0, 0
	s_cbranch_vccnz .LBB127_1620
; %bb.1619:
	s_and_b32 s13, s16, 3
	s_flbit_i32_b32 s15, s13
	s_min_u32 s15, s15, 32
	s_sub_i32 s18, s15, 29
	s_lshl_b32 s18, s16, s18
	s_lshl_b32 s12, s16, 24
	s_bfe_u32 s14, s16, 0x50002
	s_sub_i32 s15, 30, s15
	s_and_b32 s18, s18, 3
	s_cmp_eq_u32 s14, 0
	s_cselect_b32 s14, s15, s14
	s_cselect_b32 s13, s18, s13
	s_lshl_b32 s14, s14, 23
	s_and_b32 s12, s12, 0x80000000
	s_add_i32 s14, s14, 0x37800000
	s_lshl_b32 s13, s13, 21
	s_or_b32 s12, s12, s14
	s_or_b32 s12, s12, s13
	v_cvt_u32_f32_e32 v0, s12
.LBB127_1620:
	global_store_short v[7:8], v0, off
.LBB127_1621:
	s_mov_b64 s[12:13], 0
.LBB127_1622:
	s_andn2_b64 vcc, exec, s[12:13]
	s_cbranch_vccnz .LBB127_1641
; %bb.1623:
	s_and_b32 s19, s16, 0xff
	s_cmpk_lt_i32 s19, 0x80
	s_cbranch_scc1 .LBB127_1627
; %bb.1624:
	s_and_b32 s12, 0xffff, s19
	s_cmpk_eq_i32 s12, 0x80
	s_mov_b64 s[12:13], -1
	s_cbranch_scc0 .LBB127_1626
; %bb.1625:
	s_mov_b64 s[12:13], 0
.LBB127_1626:
	s_mov_b64 s[14:15], 0
	s_branch .LBB127_1628
.LBB127_1627:
	s_mov_b64 s[14:15], -1
	s_mov_b64 s[12:13], 0
.LBB127_1628:
	s_mov_b32 s18, 0x7f800001
	s_and_b64 vcc, exec, s[14:15]
	s_cbranch_vccz .LBB127_1631
; %bb.1629:
	s_and_b32 s12, 0xffff, s19
	s_cmp_lg_u32 s12, 0
	s_mov_b32 s18, 0
	s_cselect_b64 s[12:13], -1, 0
	s_andn2_b64 vcc, exec, s[12:13]
	s_cbranch_vccz .LBB127_1632
.LBB127_1630:
	s_and_b32 s12, s18, 0x7fffffff
	s_cmp_gt_u32 s12, 0x437fffff
	v_mov_b32_e32 v1, 0x80
	s_cbranch_scc0 .LBB127_1633
	s_branch .LBB127_1640
.LBB127_1631:
	s_andn2_b64 vcc, exec, s[12:13]
	s_cbranch_vccnz .LBB127_1630
.LBB127_1632:
	s_and_b32 s13, s16, 3
	s_flbit_i32_b32 s15, s13
	s_min_u32 s15, s15, 32
	s_sub_i32 s18, s15, 29
	s_lshl_b32 s18, s16, s18
	s_lshl_b32 s12, s16, 24
	s_bfe_u32 s14, s16, 0x50002
	s_sub_i32 s15, 30, s15
	s_and_b32 s18, s18, 3
	s_cmp_eq_u32 s14, 0
	s_cselect_b32 s14, s15, s14
	s_cselect_b32 s13, s18, s13
	s_lshl_b32 s14, s14, 23
	s_and_b32 s12, s12, 0x80000000
	s_add_i32 s14, s14, 0x37800000
	s_lshl_b32 s13, s13, 21
	s_or_b32 s12, s12, s14
	s_or_b32 s18, s12, s13
	s_and_b32 s12, s18, 0x7fffffff
	s_cmp_gt_u32 s12, 0x437fffff
	v_mov_b32_e32 v1, 0x80
	s_cbranch_scc1 .LBB127_1640
.LBB127_1633:
	s_cmp_gt_u32 s12, 0x3bffffff
	s_cbranch_scc0 .LBB127_1635
; %bb.1634:
	s_bfe_u32 s12, s18, 0x10014
	s_add_i32 s12, s18, s12
	s_add_i32 s12, s12, 0x487ffff
	s_lshr_b32 s19, s12, 20
	s_mov_b64 s[14:15], 0
	s_mov_b64 s[12:13], -1
	s_branch .LBB127_1636
.LBB127_1635:
	s_mov_b64 s[14:15], -1
	s_mov_b64 s[12:13], 0
                                        ; implicit-def: $sgpr19
.LBB127_1636:
	s_andn2_b64 vcc, exec, s[14:15]
	v_mov_b32_e32 v0, s19
	s_cbranch_vccnz .LBB127_1638
; %bb.1637:
	v_mov_b32_e32 v0, 0x46000000
	v_add_f32_e64 v0, |s18|, v0
	v_and_b32_e32 v0, 0xff, v0
	v_cmp_ne_u32_e64 s[12:13], 0, v0
.LBB127_1638:
	s_andn2_b64 vcc, exec, s[12:13]
	v_mov_b32_e32 v1, 0
	s_cbranch_vccnz .LBB127_1640
; %bb.1639:
	s_lshr_b32 s12, s18, 24
	s_and_b32 s12, s12, 0x80
	v_or_b32_e32 v1, s12, v0
.LBB127_1640:
	global_store_byte v[7:8], v1, off
.LBB127_1641:
	s_mov_b64 s[12:13], -1
.LBB127_1642:
	s_mov_b64 s[14:15], 0
.LBB127_1643:
	s_and_b64 vcc, exec, s[14:15]
	s_cbranch_vccz .LBB127_1707
; %bb.1644:
	s_cmp_gt_i32 s17, 22
	s_mov_b64 s[10:11], -1
	s_cbranch_scc0 .LBB127_1692
; %bb.1645:
	s_cmp_lt_i32 s17, 24
	s_cbranch_scc1 .LBB127_1670
; %bb.1646:
	s_cmp_gt_i32 s17, 24
	s_cbranch_scc0 .LBB127_1648
; %bb.1647:
	v_mov_b32_e32 v0, s16
	global_store_byte v[7:8], v0, off
	s_mov_b64 s[10:11], 0
.LBB127_1648:
	s_andn2_b64 vcc, exec, s[10:11]
	s_cbranch_vccnz .LBB127_1669
; %bb.1649:
	s_and_b32 s15, s16, 0xff
	s_cmpk_lt_i32 s15, 0x80
	s_cbranch_scc1 .LBB127_1653
; %bb.1650:
	s_and_b32 s10, 0xffff, s15
	s_cmpk_eq_i32 s10, 0x80
	s_mov_b64 s[10:11], -1
	s_cbranch_scc0 .LBB127_1652
; %bb.1651:
	s_mov_b64 s[10:11], 0
.LBB127_1652:
	s_mov_b64 s[12:13], 0
	s_branch .LBB127_1654
.LBB127_1653:
	s_mov_b64 s[12:13], -1
	s_mov_b64 s[10:11], 0
.LBB127_1654:
	s_mov_b32 s14, 0x7f800001
	s_and_b64 vcc, exec, s[12:13]
	s_cbranch_vccz .LBB127_1659
; %bb.1655:
	s_and_b32 s10, 0xffff, s15
	s_cmp_lg_u32 s10, 0
	s_mov_b32 s14, 0
	s_cselect_b64 s[10:11], -1, 0
	s_andn2_b64 vcc, exec, s[10:11]
	s_cbranch_vccz .LBB127_1660
.LBB127_1656:
	s_and_b32 s12, s14, 0x7fffffff
	s_cmp_lt_u32 s12, 0x43f00000
	s_cbranch_scc0 .LBB127_1661
.LBB127_1657:
	s_cmp_gt_u32 s12, 0x3c7fffff
	s_cbranch_scc0 .LBB127_1662
; %bb.1658:
	s_bfe_u32 s10, s14, 0x10014
	s_add_i32 s10, s14, s10
	s_add_i32 s10, s10, 0x407ffff
	s_lshr_b32 s11, s10, 20
	s_and_b32 s10, s10, 0xff00000
	s_cmp_lg_u32 s10, 0x7f00000
	s_cselect_b32 s13, s11, 0x7e
	s_mov_b64 s[10:11], 0
	s_branch .LBB127_1663
.LBB127_1659:
	s_andn2_b64 vcc, exec, s[10:11]
	s_cbranch_vccnz .LBB127_1656
.LBB127_1660:
	s_and_b32 s11, s16, 3
	s_flbit_i32_b32 s13, s11
	s_min_u32 s13, s13, 32
	s_sub_i32 s14, s13, 29
	s_lshl_b32 s14, s16, s14
	s_lshl_b32 s10, s16, 24
	s_bfe_u32 s12, s16, 0x50002
	s_sub_i32 s13, 30, s13
	s_and_b32 s14, s14, 3
	s_cmp_eq_u32 s12, 0
	s_cselect_b32 s12, s13, s12
	s_cselect_b32 s11, s14, s11
	s_lshl_b32 s12, s12, 23
	s_and_b32 s10, s10, 0x80000000
	s_add_i32 s12, s12, 0x37800000
	s_lshl_b32 s11, s11, 21
	s_or_b32 s10, s10, s12
	s_or_b32 s14, s10, s11
	s_and_b32 s12, s14, 0x7fffffff
	s_cmp_lt_u32 s12, 0x43f00000
	s_cbranch_scc1 .LBB127_1657
.LBB127_1661:
	s_mov_b64 s[10:11], -1
                                        ; implicit-def: $vgpr0
	s_branch .LBB127_1666
.LBB127_1662:
	s_mov_b64 s[10:11], -1
                                        ; implicit-def: $sgpr13
.LBB127_1663:
	s_andn2_b64 vcc, exec, s[10:11]
	v_mov_b32_e32 v0, s13
	s_cbranch_vccnz .LBB127_1665
; %bb.1664:
	v_mov_b32_e32 v0, 0x46800000
	v_add_f32_e64 v0, |s14|, v0
.LBB127_1665:
	s_mov_b64 s[10:11], 0
.LBB127_1666:
	s_andn2_b64 vcc, exec, s[10:11]
	s_cbranch_vccnz .LBB127_1668
; %bb.1667:
	s_cmp_gt_u32 s12, 0x7f800000
	s_movk_i32 s10, 0x7f
	s_cselect_b32 s10, s10, 0x7e
	v_mov_b32_e32 v0, s10
.LBB127_1668:
	s_lshr_b32 s10, s14, 24
	s_and_b32 s10, s10, 0x80
	v_or_b32_e32 v0, s10, v0
	global_store_byte v[7:8], v0, off
.LBB127_1669:
	s_mov_b64 s[10:11], 0
.LBB127_1670:
	s_andn2_b64 vcc, exec, s[10:11]
	s_cbranch_vccnz .LBB127_1691
; %bb.1671:
	s_and_b32 s15, s16, 0xff
	s_cmpk_lt_i32 s15, 0x80
	s_cbranch_scc1 .LBB127_1675
; %bb.1672:
	s_and_b32 s10, 0xffff, s15
	s_cmpk_eq_i32 s10, 0x80
	s_mov_b64 s[10:11], -1
	s_cbranch_scc0 .LBB127_1674
; %bb.1673:
	s_mov_b64 s[10:11], 0
.LBB127_1674:
	s_mov_b64 s[12:13], 0
	s_branch .LBB127_1676
.LBB127_1675:
	s_mov_b64 s[12:13], -1
	s_mov_b64 s[10:11], 0
.LBB127_1676:
	s_mov_b32 s14, 0x7f800001
	s_and_b64 vcc, exec, s[12:13]
	s_cbranch_vccz .LBB127_1681
; %bb.1677:
	s_and_b32 s10, 0xffff, s15
	s_cmp_lg_u32 s10, 0
	s_mov_b32 s14, 0
	s_cselect_b64 s[10:11], -1, 0
	s_andn2_b64 vcc, exec, s[10:11]
	s_cbranch_vccz .LBB127_1682
.LBB127_1678:
	s_and_b32 s12, s14, 0x7fffffff
	s_cmp_lt_u32 s12, 0x47800000
	s_cbranch_scc0 .LBB127_1683
.LBB127_1679:
	s_cmp_gt_u32 s12, 0x387fffff
	s_cbranch_scc0 .LBB127_1684
; %bb.1680:
	s_bfe_u32 s10, s14, 0x10015
	s_add_i32 s10, s14, s10
	s_add_i32 s10, s10, 0x80fffff
	s_lshr_b32 s13, s10, 21
	s_mov_b64 s[10:11], 0
	s_branch .LBB127_1685
.LBB127_1681:
	s_andn2_b64 vcc, exec, s[10:11]
	s_cbranch_vccnz .LBB127_1678
.LBB127_1682:
	s_and_b32 s11, s16, 3
	s_flbit_i32_b32 s13, s11
	s_min_u32 s13, s13, 32
	s_sub_i32 s14, s13, 29
	s_lshl_b32 s14, s16, s14
	s_lshl_b32 s10, s16, 24
	s_bfe_u32 s12, s16, 0x50002
	s_sub_i32 s13, 30, s13
	s_and_b32 s14, s14, 3
	s_cmp_eq_u32 s12, 0
	s_cselect_b32 s12, s13, s12
	s_cselect_b32 s11, s14, s11
	s_lshl_b32 s12, s12, 23
	s_and_b32 s10, s10, 0x80000000
	s_add_i32 s12, s12, 0x37800000
	s_lshl_b32 s11, s11, 21
	s_or_b32 s10, s10, s12
	s_or_b32 s14, s10, s11
	s_and_b32 s12, s14, 0x7fffffff
	s_cmp_lt_u32 s12, 0x47800000
	s_cbranch_scc1 .LBB127_1679
.LBB127_1683:
	s_mov_b64 s[10:11], -1
                                        ; implicit-def: $vgpr0
	s_branch .LBB127_1688
.LBB127_1684:
	s_mov_b64 s[10:11], -1
                                        ; implicit-def: $sgpr13
.LBB127_1685:
	s_andn2_b64 vcc, exec, s[10:11]
	v_mov_b32_e32 v0, s13
	s_cbranch_vccnz .LBB127_1687
; %bb.1686:
	v_mov_b32_e32 v0, 0x43000000
	v_add_f32_e64 v0, |s14|, v0
.LBB127_1687:
	s_mov_b64 s[10:11], 0
.LBB127_1688:
	s_andn2_b64 vcc, exec, s[10:11]
	s_cbranch_vccnz .LBB127_1690
; %bb.1689:
	s_cmp_gt_u32 s12, 0x7f800000
	s_movk_i32 s10, 0x7f
	s_cselect_b32 s10, s10, 0x7c
	v_mov_b32_e32 v0, s10
.LBB127_1690:
	s_lshr_b32 s10, s14, 24
	s_and_b32 s10, s10, 0x80
	v_or_b32_e32 v0, s10, v0
	global_store_byte v[7:8], v0, off
.LBB127_1691:
	s_mov_b64 s[10:11], 0
	s_mov_b64 s[12:13], -1
.LBB127_1692:
	s_andn2_b64 vcc, exec, s[10:11]
	s_mov_b64 s[10:11], 0
	s_cbranch_vccnz .LBB127_1707
; %bb.1693:
	s_cmp_gt_i32 s17, 14
	s_mov_b64 s[14:15], -1
	s_cbranch_scc0 .LBB127_1705
; %bb.1694:
	s_cmp_eq_u32 s17, 15
	s_mov_b64 s[8:9], -1
	s_cbranch_scc0 .LBB127_1704
; %bb.1695:
	s_and_b32 s12, s16, 0xff
	s_cmpk_lt_i32 s12, 0x80
	s_cbranch_scc1 .LBB127_1700
; %bb.1696:
	s_and_b32 s8, 0xffff, s12
	s_cmpk_eq_i32 s8, 0x80
	s_mov_b64 s[8:9], -1
	s_cbranch_scc0 .LBB127_1698
; %bb.1697:
	s_mov_b64 s[8:9], 0
	s_mov_b32 s13, 0x7f800001
	s_and_b64 vcc, exec, s[10:11]
	s_cbranch_vccz .LBB127_1701
	s_branch .LBB127_1699
.LBB127_1698:
	s_mov_b32 s13, 0x7f800001
	s_and_b64 vcc, exec, s[10:11]
	s_cbranch_vccz .LBB127_1701
.LBB127_1699:
	s_and_b32 s8, 0xffff, s12
	s_cmp_lg_u32 s8, 0
	s_mov_b32 s13, 0
	s_cselect_b64 s[8:9], -1, 0
	s_andn2_b64 vcc, exec, s[8:9]
	s_cbranch_vccz .LBB127_1702
	s_branch .LBB127_1703
.LBB127_1700:
	s_mov_b64 s[8:9], 0
	s_mov_b32 s13, 0x7f800001
	s_cbranch_execnz .LBB127_1699
.LBB127_1701:
	s_andn2_b64 vcc, exec, s[8:9]
	s_cbranch_vccnz .LBB127_1703
.LBB127_1702:
	s_and_b32 s9, s16, 3
	s_flbit_i32_b32 s11, s9
	s_min_u32 s11, s11, 32
	s_sub_i32 s12, s11, 29
	s_lshl_b32 s12, s16, s12
	s_lshl_b32 s8, s16, 24
	s_bfe_u32 s10, s16, 0x50002
	s_sub_i32 s11, 30, s11
	s_and_b32 s12, s12, 3
	s_cmp_eq_u32 s10, 0
	s_cselect_b32 s10, s11, s10
	s_cselect_b32 s9, s12, s9
	s_lshl_b32 s10, s10, 23
	s_and_b32 s8, s8, 0x80000000
	s_add_i32 s10, s10, 0x37800000
	s_lshl_b32 s9, s9, 21
	s_or_b32 s8, s8, s10
	s_or_b32 s13, s8, s9
.LBB127_1703:
	s_bfe_u32 s8, s13, 0x10010
	s_add_i32 s8, s13, s8
	s_addk_i32 s8, 0x7fff
	s_lshr_b32 s10, s8, 16
	v_cmp_o_f32_e64 s[8:9], s13, s13
	s_and_b64 s[8:9], s[8:9], exec
	s_cselect_b32 s8, s10, 0x7fc0
	v_mov_b32_e32 v0, s8
	global_store_short v[7:8], v0, off
	s_mov_b64 s[8:9], 0
	s_mov_b64 s[12:13], -1
.LBB127_1704:
	s_mov_b64 s[14:15], 0
.LBB127_1705:
	s_mov_b64 s[10:11], 0
	s_and_b64 vcc, exec, s[14:15]
	s_cbranch_vccz .LBB127_1707
; %bb.1706:
	s_cmp_lg_u32 s17, 11
	s_mov_b64 s[10:11], -1
	s_cselect_b64 s[8:9], -1, 0
.LBB127_1707:
	s_and_b64 vcc, exec, s[8:9]
	s_cbranch_vccnz .LBB127_1719
; %bb.1708:
	s_andn2_b64 vcc, exec, s[10:11]
	s_cbranch_vccnz .LBB127_1710
.LBB127_1709:
	s_and_b32 s8, s16, 0xff
	s_cmp_lg_u32 s8, 0
	s_cselect_b64 s[8:9], -1, 0
	v_cndmask_b32_e64 v0, 0, 1, s[8:9]
	s_mov_b64 s[12:13], -1
	global_store_byte v[7:8], v0, off
.LBB127_1710:
	s_branch .LBB127_1568
.LBB127_1711:
	s_cmp_lt_i32 s17, 5
	s_mov_b64 s[8:9], -1
	s_cbranch_scc1 .LBB127_1789
; %bb.1712:
	s_cmp_lt_i32 s17, 8
	s_cbranch_scc1 .LBB127_1751
; %bb.1713:
	s_cmp_lt_i32 s17, 9
	s_cbranch_scc1 .LBB127_1739
; %bb.1714:
	s_cmp_gt_i32 s17, 9
	s_cbranch_scc0 .LBB127_1727
; %bb.1715:
	s_and_b32 s12, s16, 0xff
	s_cmpk_lt_i32 s12, 0x80
	s_cbranch_scc1 .LBB127_1720
; %bb.1716:
	s_and_b32 s8, 0xffff, s12
	s_cmpk_eq_i32 s8, 0x80
	s_mov_b64 s[8:9], -1
	s_cbranch_scc0 .LBB127_1718
; %bb.1717:
	s_mov_b64 s[8:9], 0
.LBB127_1718:
	s_mov_b64 s[10:11], 0
	s_branch .LBB127_1721
.LBB127_1719:
	s_trap 2
	s_or_b64 s[0:1], s[0:1], exec
	s_cbranch_execz .LBB127_1709
	s_branch .LBB127_1710
.LBB127_1720:
	s_mov_b64 s[10:11], -1
	s_mov_b64 s[8:9], 0
.LBB127_1721:
	s_and_b64 vcc, exec, s[10:11]
	s_cbranch_vccz .LBB127_1723
; %bb.1722:
	s_and_b32 s8, 0xffff, s12
	s_cmp_lg_u32 s8, 0
	s_mov_b64 s[10:11], 0
	s_cselect_b64 s[8:9], -1, 0
	s_branch .LBB127_1724
.LBB127_1723:
	s_mov_b32 s11, 0x7ff80000
	s_brev_b32 s10, 4
.LBB127_1724:
	v_mov_b32_e32 v0, s10
	s_andn2_b64 vcc, exec, s[8:9]
	v_mov_b32_e32 v1, s11
	s_cbranch_vccnz .LBB127_1726
; %bb.1725:
	s_and_b32 s9, s16, 3
	s_flbit_i32_b32 s11, s9
	s_min_u32 s11, s11, 32
	s_sub_i32 s12, s11, 29
	s_lshl_b32 s12, s16, s12
	s_lshl_b32 s8, s16, 24
	s_bfe_u32 s10, s16, 0x50002
	s_sub_i32 s11, 30, s11
	s_and_b32 s12, s12, 3
	s_cmp_eq_u32 s10, 0
	s_cselect_b32 s10, s11, s10
	s_cselect_b32 s9, s12, s9
	s_lshl_b32 s10, s10, 23
	s_and_b32 s8, s8, 0x80000000
	s_add_i32 s10, s10, 0x37800000
	s_lshl_b32 s9, s9, 21
	s_or_b32 s8, s8, s10
	s_or_b32 s8, s8, s9
	v_cvt_f64_f32_e32 v[0:1], s8
.LBB127_1726:
	v_mov_b32_e32 v2, 0
	v_mov_b32_e32 v3, v2
	global_store_dwordx4 v[7:8], v[0:3], off
	s_mov_b64 s[8:9], 0
.LBB127_1727:
	s_and_b64 vcc, exec, s[8:9]
	s_cbranch_vccz .LBB127_1738
; %bb.1728:
	s_and_b32 s12, s16, 0xff
	s_cmpk_lt_i32 s12, 0x80
	s_cbranch_scc1 .LBB127_1732
; %bb.1729:
	s_and_b32 s8, 0xffff, s12
	s_cmpk_eq_i32 s8, 0x80
	s_mov_b64 s[8:9], -1
	s_cbranch_scc0 .LBB127_1731
; %bb.1730:
	s_mov_b64 s[8:9], 0
.LBB127_1731:
	s_mov_b64 s[10:11], 0
	s_branch .LBB127_1733
.LBB127_1732:
	s_mov_b64 s[10:11], -1
	s_mov_b64 s[8:9], 0
.LBB127_1733:
	s_mov_b32 s13, 0x7f800001
	s_and_b64 vcc, exec, s[10:11]
	s_cbranch_vccz .LBB127_1735
; %bb.1734:
	s_and_b32 s13, 0xffff, s12
	s_cmp_lg_u32 s13, 0
	s_cselect_b64 s[8:9], -1, 0
.LBB127_1735:
	s_andn2_b64 vcc, exec, s[8:9]
	s_cbranch_vccnz .LBB127_1737
; %bb.1736:
	s_and_b32 s9, s16, 3
	s_flbit_i32_b32 s11, s9
	s_min_u32 s11, s11, 32
	s_sub_i32 s12, s11, 29
	s_lshl_b32 s12, s16, s12
	s_lshl_b32 s8, s16, 24
	s_bfe_u32 s10, s16, 0x50002
	s_sub_i32 s11, 30, s11
	s_and_b32 s12, s12, 3
	s_cmp_eq_u32 s10, 0
	s_cselect_b32 s10, s11, s10
	s_cselect_b32 s9, s12, s9
	s_lshl_b32 s10, s10, 23
	s_and_b32 s8, s8, 0x80000000
	s_add_i32 s10, s10, 0x37800000
	s_lshl_b32 s9, s9, 21
	s_or_b32 s8, s8, s10
	s_or_b32 s13, s8, s9
.LBB127_1737:
	v_mov_b32_e32 v0, s13
	v_mov_b32_e32 v1, 0
	global_store_dwordx2 v[7:8], v[0:1], off
.LBB127_1738:
	s_mov_b64 s[8:9], 0
.LBB127_1739:
	s_andn2_b64 vcc, exec, s[8:9]
	s_cbranch_vccnz .LBB127_1750
; %bb.1740:
	s_and_b32 s12, s16, 0xff
	s_cmpk_lt_i32 s12, 0x80
	s_cbranch_scc1 .LBB127_1744
; %bb.1741:
	s_and_b32 s8, 0xffff, s12
	s_cmpk_eq_i32 s8, 0x80
	s_mov_b64 s[8:9], -1
	s_cbranch_scc0 .LBB127_1743
; %bb.1742:
	s_mov_b64 s[8:9], 0
.LBB127_1743:
	s_mov_b64 s[10:11], 0
	s_branch .LBB127_1745
.LBB127_1744:
	s_mov_b64 s[10:11], -1
	s_mov_b64 s[8:9], 0
.LBB127_1745:
	s_movk_i32 s13, 0x7e00
	s_and_b64 vcc, exec, s[10:11]
	s_cbranch_vccz .LBB127_1747
; %bb.1746:
	s_and_b32 s13, 0xffff, s12
	s_cmp_lg_u32 s13, 0
	s_cselect_b64 s[8:9], -1, 0
.LBB127_1747:
	s_andn2_b64 vcc, exec, s[8:9]
	v_mov_b32_e32 v0, s13
	s_cbranch_vccnz .LBB127_1749
; %bb.1748:
	s_and_b32 s9, s16, 3
	s_flbit_i32_b32 s11, s9
	s_min_u32 s11, s11, 32
	s_sub_i32 s12, s11, 29
	s_lshl_b32 s12, s16, s12
	s_lshl_b32 s8, s16, 24
	s_bfe_u32 s10, s16, 0x50002
	s_sub_i32 s11, 30, s11
	s_and_b32 s12, s12, 3
	s_cmp_eq_u32 s10, 0
	s_cselect_b32 s10, s11, s10
	s_cselect_b32 s9, s12, s9
	s_lshl_b32 s10, s10, 23
	s_and_b32 s8, s8, 0x80000000
	s_add_i32 s10, s10, 0x37800000
	s_lshl_b32 s9, s9, 21
	s_or_b32 s8, s8, s10
	s_or_b32 s8, s8, s9
	v_cvt_f16_f32_e32 v0, s8
.LBB127_1749:
	global_store_dword v[7:8], v0, off
.LBB127_1750:
	s_mov_b64 s[8:9], 0
.LBB127_1751:
	s_andn2_b64 vcc, exec, s[8:9]
	s_cbranch_vccnz .LBB127_1788
; %bb.1752:
	s_cmp_lt_i32 s17, 6
	s_mov_b64 s[8:9], -1
	s_cbranch_scc1 .LBB127_1777
; %bb.1753:
	s_cmp_gt_i32 s17, 6
	s_cbranch_scc0 .LBB127_1765
; %bb.1754:
	s_and_b32 s12, s16, 0xff
	s_cmpk_lt_i32 s12, 0x80
	s_cbranch_scc1 .LBB127_1758
; %bb.1755:
	s_and_b32 s8, 0xffff, s12
	s_cmpk_eq_i32 s8, 0x80
	s_mov_b64 s[8:9], -1
	s_cbranch_scc0 .LBB127_1757
; %bb.1756:
	s_mov_b64 s[8:9], 0
.LBB127_1757:
	s_mov_b64 s[10:11], 0
	s_branch .LBB127_1759
.LBB127_1758:
	s_mov_b64 s[10:11], -1
	s_mov_b64 s[8:9], 0
.LBB127_1759:
	s_and_b64 vcc, exec, s[10:11]
	s_cbranch_vccz .LBB127_1761
; %bb.1760:
	s_and_b32 s8, 0xffff, s12
	s_cmp_lg_u32 s8, 0
	s_mov_b64 s[10:11], 0
	s_cselect_b64 s[8:9], -1, 0
	s_branch .LBB127_1762
.LBB127_1761:
	s_mov_b32 s11, 0x7ff80000
	s_brev_b32 s10, 4
.LBB127_1762:
	v_mov_b32_e32 v0, s10
	s_andn2_b64 vcc, exec, s[8:9]
	v_mov_b32_e32 v1, s11
	s_cbranch_vccnz .LBB127_1764
; %bb.1763:
	s_and_b32 s9, s16, 3
	s_flbit_i32_b32 s11, s9
	s_min_u32 s11, s11, 32
	s_sub_i32 s12, s11, 29
	s_lshl_b32 s12, s16, s12
	s_lshl_b32 s8, s16, 24
	s_bfe_u32 s10, s16, 0x50002
	s_sub_i32 s11, 30, s11
	s_and_b32 s12, s12, 3
	s_cmp_eq_u32 s10, 0
	s_cselect_b32 s10, s11, s10
	s_cselect_b32 s9, s12, s9
	s_lshl_b32 s10, s10, 23
	s_and_b32 s8, s8, 0x80000000
	s_add_i32 s10, s10, 0x37800000
	s_lshl_b32 s9, s9, 21
	s_or_b32 s8, s8, s10
	s_or_b32 s8, s8, s9
	v_cvt_f64_f32_e32 v[0:1], s8
.LBB127_1764:
	global_store_dwordx2 v[7:8], v[0:1], off
	s_mov_b64 s[8:9], 0
.LBB127_1765:
	s_and_b64 vcc, exec, s[8:9]
	s_cbranch_vccz .LBB127_1776
; %bb.1766:
	s_and_b32 s12, s16, 0xff
	s_cmpk_lt_i32 s12, 0x80
	s_cbranch_scc1 .LBB127_1770
; %bb.1767:
	s_and_b32 s8, 0xffff, s12
	s_cmpk_eq_i32 s8, 0x80
	s_mov_b64 s[8:9], -1
	s_cbranch_scc0 .LBB127_1769
; %bb.1768:
	s_mov_b64 s[8:9], 0
.LBB127_1769:
	s_mov_b64 s[10:11], 0
	s_branch .LBB127_1771
.LBB127_1770:
	s_mov_b64 s[10:11], -1
	s_mov_b64 s[8:9], 0
.LBB127_1771:
	s_mov_b32 s13, 0x7f800001
	s_and_b64 vcc, exec, s[10:11]
	s_cbranch_vccz .LBB127_1773
; %bb.1772:
	s_and_b32 s13, 0xffff, s12
	s_cmp_lg_u32 s13, 0
	s_cselect_b64 s[8:9], -1, 0
.LBB127_1773:
	s_andn2_b64 vcc, exec, s[8:9]
	s_cbranch_vccnz .LBB127_1775
; %bb.1774:
	s_and_b32 s9, s16, 3
	s_flbit_i32_b32 s11, s9
	s_min_u32 s11, s11, 32
	s_sub_i32 s12, s11, 29
	s_lshl_b32 s12, s16, s12
	s_lshl_b32 s8, s16, 24
	s_bfe_u32 s10, s16, 0x50002
	s_sub_i32 s11, 30, s11
	s_and_b32 s12, s12, 3
	s_cmp_eq_u32 s10, 0
	s_cselect_b32 s10, s11, s10
	s_cselect_b32 s9, s12, s9
	s_lshl_b32 s10, s10, 23
	s_and_b32 s8, s8, 0x80000000
	s_add_i32 s10, s10, 0x37800000
	s_lshl_b32 s9, s9, 21
	s_or_b32 s8, s8, s10
	s_or_b32 s13, s8, s9
.LBB127_1775:
	v_mov_b32_e32 v0, s13
	global_store_dword v[7:8], v0, off
.LBB127_1776:
	s_mov_b64 s[8:9], 0
.LBB127_1777:
	s_andn2_b64 vcc, exec, s[8:9]
	s_cbranch_vccnz .LBB127_1788
; %bb.1778:
	s_and_b32 s12, s16, 0xff
	s_cmpk_lt_i32 s12, 0x80
	s_cbranch_scc1 .LBB127_1782
; %bb.1779:
	s_and_b32 s8, 0xffff, s12
	s_cmpk_eq_i32 s8, 0x80
	s_mov_b64 s[8:9], -1
	s_cbranch_scc0 .LBB127_1781
; %bb.1780:
	s_mov_b64 s[8:9], 0
.LBB127_1781:
	s_mov_b64 s[10:11], 0
	s_branch .LBB127_1783
.LBB127_1782:
	s_mov_b64 s[10:11], -1
	s_mov_b64 s[8:9], 0
.LBB127_1783:
	s_movk_i32 s13, 0x7e00
	s_and_b64 vcc, exec, s[10:11]
	s_cbranch_vccz .LBB127_1785
; %bb.1784:
	s_and_b32 s8, 0xffff, s12
	s_cmp_lg_u32 s8, 0
	s_cselect_b64 s[8:9], -1, 0
	s_mov_b32 s13, s12
.LBB127_1785:
	s_andn2_b64 vcc, exec, s[8:9]
	v_mov_b32_e32 v0, s13
	s_cbranch_vccnz .LBB127_1787
; %bb.1786:
	s_and_b32 s9, s16, 3
	s_flbit_i32_b32 s11, s9
	s_min_u32 s11, s11, 32
	s_sub_i32 s12, s11, 29
	s_lshl_b32 s12, s16, s12
	s_lshl_b32 s8, s16, 24
	s_bfe_u32 s10, s16, 0x50002
	s_sub_i32 s11, 30, s11
	s_and_b32 s12, s12, 3
	s_cmp_eq_u32 s10, 0
	s_cselect_b32 s10, s11, s10
	s_cselect_b32 s9, s12, s9
	s_lshl_b32 s10, s10, 23
	s_and_b32 s8, s8, 0x80000000
	s_add_i32 s10, s10, 0x37800000
	s_lshl_b32 s9, s9, 21
	s_or_b32 s8, s8, s10
	s_or_b32 s8, s8, s9
	v_cvt_f16_f32_e32 v0, s8
.LBB127_1787:
	global_store_short v[7:8], v0, off
.LBB127_1788:
	s_mov_b64 s[8:9], 0
.LBB127_1789:
	s_andn2_b64 vcc, exec, s[8:9]
	s_cbranch_vccnz .LBB127_1840
; %bb.1790:
	s_cmp_lt_i32 s17, 2
	s_mov_b64 s[8:9], -1
	s_cbranch_scc1 .LBB127_1821
; %bb.1791:
	s_cmp_lt_i32 s17, 3
	s_cbranch_scc1 .LBB127_1811
; %bb.1792:
	s_cmp_gt_i32 s17, 3
	s_cbranch_scc0 .LBB127_1801
; %bb.1793:
	s_and_b32 s12, s16, 0xff
	s_cmpk_lt_i32 s12, 0x80
	s_cbranch_scc1 .LBB127_1795
; %bb.1794:
	s_and_b32 s8, 0xffff, s12
	s_cmpk_lg_i32 s8, 0x80
	s_mov_b64 s[10:11], 0
	s_cselect_b64 s[8:9], -1, 0
	s_branch .LBB127_1796
.LBB127_1795:
	s_mov_b64 s[10:11], -1
	s_mov_b64 s[8:9], 0
.LBB127_1796:
	s_andn2_b64 vcc, exec, s[10:11]
	s_cbranch_vccnz .LBB127_1798
; %bb.1797:
	s_and_b32 s8, 0xffff, s12
	s_cmp_lg_u32 s8, 0
	s_cselect_b64 s[8:9], -1, 0
.LBB127_1798:
	v_mov_b32_e32 v0, 0
	s_andn2_b64 vcc, exec, s[8:9]
	v_mov_b32_e32 v1, 0
	s_cbranch_vccnz .LBB127_1800
; %bb.1799:
	s_and_b32 s9, s16, 3
	s_flbit_i32_b32 s11, s9
	s_min_u32 s11, s11, 32
	s_sub_i32 s12, s11, 29
	s_lshl_b32 s12, s16, s12
	s_lshl_b32 s8, s16, 24
	s_bfe_u32 s10, s16, 0x50002
	s_sub_i32 s11, 30, s11
	s_and_b32 s12, s12, 3
	s_cmp_eq_u32 s10, 0
	s_cselect_b32 s10, s11, s10
	s_cselect_b32 s9, s12, s9
	s_lshl_b32 s10, s10, 23
	s_and_b32 s8, s8, 0x80000000
	s_add_i32 s10, s10, 0x37800000
	s_lshl_b32 s9, s9, 21
	s_or_b32 s8, s8, s10
	s_or_b32 s8, s8, s9
	v_trunc_f32_e32 v0, s8
	s_mov_b32 s8, 0x2f800000
	v_mul_f32_e64 v1, |v0|, s8
	v_floor_f32_e32 v1, v1
	s_mov_b32 s8, 0xcf800000
	v_fma_f32 v2, v1, s8, |v0|
	v_cvt_u32_f32_e32 v2, v2
	v_cvt_u32_f32_e32 v1, v1
	v_ashrrev_i32_e32 v3, 31, v0
	v_xor_b32_e32 v0, v2, v3
	v_xor_b32_e32 v1, v1, v3
	v_sub_co_u32_e32 v0, vcc, v0, v3
	v_subb_co_u32_e32 v1, vcc, v1, v3, vcc
.LBB127_1800:
	global_store_dwordx2 v[7:8], v[0:1], off
	s_mov_b64 s[8:9], 0
.LBB127_1801:
	s_and_b64 vcc, exec, s[8:9]
	s_cbranch_vccz .LBB127_1810
; %bb.1802:
	s_and_b32 s12, s16, 0xff
	s_cmpk_lt_i32 s12, 0x80
	s_cbranch_scc1 .LBB127_1804
; %bb.1803:
	s_and_b32 s8, 0xffff, s12
	s_cmpk_lg_i32 s8, 0x80
	s_mov_b64 s[10:11], 0
	s_cselect_b64 s[8:9], -1, 0
	s_branch .LBB127_1805
.LBB127_1804:
	s_mov_b64 s[10:11], -1
	s_mov_b64 s[8:9], 0
.LBB127_1805:
	s_andn2_b64 vcc, exec, s[10:11]
	s_cbranch_vccnz .LBB127_1807
; %bb.1806:
	s_and_b32 s8, 0xffff, s12
	s_cmp_lg_u32 s8, 0
	s_cselect_b64 s[8:9], -1, 0
.LBB127_1807:
	s_andn2_b64 vcc, exec, s[8:9]
	v_mov_b32_e32 v0, 0
	s_cbranch_vccnz .LBB127_1809
; %bb.1808:
	s_and_b32 s9, s16, 3
	s_flbit_i32_b32 s11, s9
	s_min_u32 s11, s11, 32
	s_sub_i32 s12, s11, 29
	s_lshl_b32 s12, s16, s12
	s_lshl_b32 s8, s16, 24
	s_bfe_u32 s10, s16, 0x50002
	s_sub_i32 s11, 30, s11
	s_and_b32 s12, s12, 3
	s_cmp_eq_u32 s10, 0
	s_cselect_b32 s10, s11, s10
	s_cselect_b32 s9, s12, s9
	s_lshl_b32 s10, s10, 23
	s_and_b32 s8, s8, 0x80000000
	s_add_i32 s10, s10, 0x37800000
	s_lshl_b32 s9, s9, 21
	s_or_b32 s8, s8, s10
	s_or_b32 s8, s8, s9
	v_cvt_i32_f32_e32 v0, s8
.LBB127_1809:
	global_store_dword v[7:8], v0, off
.LBB127_1810:
	s_mov_b64 s[8:9], 0
.LBB127_1811:
	s_andn2_b64 vcc, exec, s[8:9]
	s_cbranch_vccnz .LBB127_1820
; %bb.1812:
	s_and_b32 s12, s16, 0xff
	s_cmpk_lt_i32 s12, 0x80
	s_cbranch_scc1 .LBB127_1814
; %bb.1813:
	s_and_b32 s8, 0xffff, s12
	s_cmpk_lg_i32 s8, 0x80
	s_mov_b64 s[10:11], 0
	s_cselect_b64 s[8:9], -1, 0
	s_branch .LBB127_1815
.LBB127_1814:
	s_mov_b64 s[10:11], -1
	s_mov_b64 s[8:9], 0
.LBB127_1815:
	s_andn2_b64 vcc, exec, s[10:11]
	s_cbranch_vccnz .LBB127_1817
; %bb.1816:
	s_and_b32 s8, 0xffff, s12
	s_cmp_lg_u32 s8, 0
	s_cselect_b64 s[8:9], -1, 0
.LBB127_1817:
	s_andn2_b64 vcc, exec, s[8:9]
	v_mov_b32_e32 v0, 0
	s_cbranch_vccnz .LBB127_1819
; %bb.1818:
	s_and_b32 s9, s16, 3
	s_flbit_i32_b32 s11, s9
	s_min_u32 s11, s11, 32
	s_sub_i32 s12, s11, 29
	s_lshl_b32 s12, s16, s12
	s_lshl_b32 s8, s16, 24
	s_bfe_u32 s10, s16, 0x50002
	s_sub_i32 s11, 30, s11
	s_and_b32 s12, s12, 3
	s_cmp_eq_u32 s10, 0
	s_cselect_b32 s10, s11, s10
	s_cselect_b32 s9, s12, s9
	s_lshl_b32 s10, s10, 23
	s_and_b32 s8, s8, 0x80000000
	s_add_i32 s10, s10, 0x37800000
	s_lshl_b32 s9, s9, 21
	s_or_b32 s8, s8, s10
	s_or_b32 s8, s8, s9
	v_cvt_i32_f32_e32 v0, s8
.LBB127_1819:
	global_store_short v[7:8], v0, off
.LBB127_1820:
	s_mov_b64 s[8:9], 0
.LBB127_1821:
	s_andn2_b64 vcc, exec, s[8:9]
	s_cbranch_vccnz .LBB127_1840
; %bb.1822:
	s_cmp_gt_i32 s17, 0
	s_mov_b64 s[8:9], -1
	s_cbranch_scc0 .LBB127_1831
; %bb.1823:
	s_and_b32 s12, s16, 0xff
	s_cmpk_lt_i32 s12, 0x80
	s_cbranch_scc1 .LBB127_1825
; %bb.1824:
	s_and_b32 s8, 0xffff, s12
	s_cmpk_lg_i32 s8, 0x80
	s_mov_b64 s[10:11], 0
	s_cselect_b64 s[8:9], -1, 0
	s_branch .LBB127_1826
.LBB127_1825:
	s_mov_b64 s[10:11], -1
	s_mov_b64 s[8:9], 0
.LBB127_1826:
	s_andn2_b64 vcc, exec, s[10:11]
	s_cbranch_vccnz .LBB127_1828
; %bb.1827:
	s_and_b32 s8, 0xffff, s12
	s_cmp_lg_u32 s8, 0
	s_cselect_b64 s[8:9], -1, 0
.LBB127_1828:
	s_andn2_b64 vcc, exec, s[8:9]
	v_mov_b32_e32 v0, 0
	s_cbranch_vccnz .LBB127_1830
; %bb.1829:
	s_and_b32 s9, s16, 3
	s_flbit_i32_b32 s11, s9
	s_min_u32 s11, s11, 32
	s_sub_i32 s12, s11, 29
	s_lshl_b32 s12, s16, s12
	s_lshl_b32 s8, s16, 24
	s_bfe_u32 s10, s16, 0x50002
	s_sub_i32 s11, 30, s11
	s_and_b32 s12, s12, 3
	s_cmp_eq_u32 s10, 0
	s_cselect_b32 s10, s11, s10
	s_cselect_b32 s9, s12, s9
	s_lshl_b32 s10, s10, 23
	s_and_b32 s8, s8, 0x80000000
	s_add_i32 s10, s10, 0x37800000
	s_lshl_b32 s9, s9, 21
	s_or_b32 s8, s8, s10
	s_or_b32 s8, s8, s9
	v_cvt_i32_f32_e32 v0, s8
.LBB127_1830:
	global_store_byte v[7:8], v0, off
	s_mov_b64 s[8:9], 0
.LBB127_1831:
	s_and_b64 vcc, exec, s[8:9]
	s_cbranch_vccz .LBB127_1840
; %bb.1832:
	s_and_b32 s12, s16, 0xff
	s_cmpk_lt_i32 s12, 0x80
	s_cbranch_scc1 .LBB127_1834
; %bb.1833:
	s_and_b32 s8, 0xffff, s12
	s_cmpk_lg_i32 s8, 0x80
	s_mov_b64 s[10:11], 0
	s_cselect_b64 s[8:9], -1, 0
	s_branch .LBB127_1835
.LBB127_1834:
	s_mov_b64 s[10:11], -1
	s_mov_b64 s[8:9], 0
.LBB127_1835:
	s_andn2_b64 vcc, exec, s[10:11]
	s_cbranch_vccnz .LBB127_1837
; %bb.1836:
	s_and_b32 s8, 0xffff, s12
	s_cmp_lg_u32 s8, 0
	s_cselect_b64 s[8:9], -1, 0
.LBB127_1837:
	s_andn2_b64 vcc, exec, s[8:9]
	v_mov_b32_e32 v0, 0
	s_cbranch_vccnz .LBB127_1839
; %bb.1838:
	s_and_b32 s9, s16, 3
	s_flbit_i32_b32 s11, s9
	s_min_u32 s11, s11, 32
	s_sub_i32 s12, s11, 29
	s_lshl_b32 s12, s16, s12
	s_lshl_b32 s8, s16, 24
	s_bfe_u32 s10, s16, 0x50002
	s_sub_i32 s11, 30, s11
	s_and_b32 s12, s12, 3
	s_cmp_eq_u32 s10, 0
	s_cselect_b32 s10, s11, s10
	s_cselect_b32 s9, s12, s9
	s_lshl_b32 s10, s10, 23
	s_and_b32 s8, s8, 0x80000000
	s_add_i32 s10, s10, 0x37800000
	s_lshl_b32 s9, s9, 21
	s_or_b32 s8, s8, s10
	s_or_b32 s8, s8, s9
	v_trunc_f32_e32 v0, s8
	s_mov_b32 s8, 0x2f800000
	v_mul_f32_e64 v1, |v0|, s8
	v_floor_f32_e32 v1, v1
	s_mov_b32 s8, 0xcf800000
	v_fma_f32 v1, v1, s8, |v0|
	v_cvt_u32_f32_e32 v1, v1
	v_ashrrev_i32_e32 v0, 31, v0
	v_xor_b32_e32 v1, v1, v0
	v_sub_u32_e32 v0, v1, v0
.LBB127_1839:
	global_store_byte v[7:8], v0, off
.LBB127_1840:
.LBB127_1841:
	v_mov_b32_e32 v0, s3
	v_add_co_u32_e32 v5, vcc, s2, v6
	s_cmp_lt_i32 s17, 11
	v_addc_co_u32_e32 v6, vcc, 0, v0, vcc
	s_cbranch_scc1 .LBB127_1850
; %bb.1842:
	s_mov_b64 s[14:15], -1
	s_mov_b64 s[10:11], 0
	s_cmp_gt_i32 s17, 25
	s_mov_b64 s[12:13], 0
	s_mov_b64 s[8:9], 0
	s_cbranch_scc0 .LBB127_1937
; %bb.1843:
	s_cmp_gt_i32 s17, 28
	s_cbranch_scc0 .LBB127_1895
; %bb.1844:
	s_cmp_gt_i32 s17, 43
	;; [unrolled: 3-line block ×3, first 2 shown]
	s_cbranch_scc0 .LBB127_1869
; %bb.1846:
	s_mov_b64 s[8:9], -1
	s_mov_b64 s[14:15], 0
	s_cmp_eq_u32 s17, 46
	s_cbranch_scc0 .LBB127_1869
; %bb.1847:
	s_and_b32 s18, s16, 0xff
	s_cmpk_lt_i32 s18, 0x80
	s_cbranch_scc1 .LBB127_1865
; %bb.1848:
	s_and_b32 s8, 0xffff, s18
	s_cmpk_eq_i32 s8, 0x80
	s_mov_b64 s[8:9], -1
	s_cbranch_scc0 .LBB127_1863
; %bb.1849:
	s_mov_b64 s[8:9], 0
	s_mov_b32 s19, 0x7f800001
	s_and_b64 vcc, exec, s[12:13]
	s_cbranch_vccz .LBB127_1866
	s_branch .LBB127_1864
.LBB127_1850:
	s_mov_b64 s[12:13], 0
	s_cbranch_execnz .LBB127_2005
.LBB127_1851:
	s_andn2_b64 vcc, exec, s[12:13]
	s_cbranch_vccnz .LBB127_2135
.LBB127_1852:
	s_load_dword s4, s[4:5], 0x118
	v_mov_b32_e32 v0, s3
	v_add_co_u32_e32 v4, vcc, s2, v4
	v_addc_co_u32_e32 v5, vcc, 0, v0, vcc
	s_waitcnt lgkmcnt(0)
	s_bfe_u32 s12, s4, 0x80008
	s_cmp_lt_i32 s12, 11
	s_cbranch_scc1 .LBB127_1862
; %bb.1853:
	s_and_b32 s13, 0xffff, s12
	s_mov_b64 s[8:9], -1
	s_mov_b64 s[4:5], 0
	s_cmp_gt_i32 s13, 25
	s_mov_b64 s[2:3], 0
	s_cbranch_scc0 .LBB127_2345
; %bb.1854:
	s_cmp_gt_i32 s13, 28
	s_cbranch_scc0 .LBB127_2304
; %bb.1855:
	s_cmp_gt_i32 s13, 43
	;; [unrolled: 3-line block ×3, first 2 shown]
	s_cbranch_scc0 .LBB127_2278
; %bb.1857:
	s_cmp_eq_u32 s13, 46
	s_mov_b64 s[2:3], -1
	s_cbranch_scc0 .LBB127_2277
; %bb.1858:
	s_and_b32 s10, s16, 0xff
	s_cmpk_lt_i32 s10, 0x80
	s_cbranch_scc1 .LBB127_2271
; %bb.1859:
	s_and_b32 s2, 0xffff, s10
	s_cmpk_eq_i32 s2, 0x80
	s_mov_b64 s[2:3], -1
	s_cbranch_scc0 .LBB127_1861
; %bb.1860:
	s_mov_b64 s[2:3], 0
.LBB127_1861:
	s_mov_b64 s[8:9], 0
	s_branch .LBB127_2272
.LBB127_1862:
	s_mov_b64 s[4:5], 0
	s_mov_b64 s[2:3], -1
	s_branch .LBB127_2136
.LBB127_1863:
	s_mov_b32 s19, 0x7f800001
	s_and_b64 vcc, exec, s[12:13]
	s_cbranch_vccz .LBB127_1866
.LBB127_1864:
	s_and_b32 s8, 0xffff, s18
	s_cmp_lg_u32 s8, 0
	s_mov_b32 s19, 0
	s_cselect_b64 s[8:9], -1, 0
	s_andn2_b64 vcc, exec, s[8:9]
	s_cbranch_vccz .LBB127_1867
	s_branch .LBB127_1868
.LBB127_1865:
	s_mov_b64 s[8:9], 0
	s_mov_b32 s19, 0x7f800001
	s_cbranch_execnz .LBB127_1864
.LBB127_1866:
	s_andn2_b64 vcc, exec, s[8:9]
	s_cbranch_vccnz .LBB127_1868
.LBB127_1867:
	s_and_b32 s9, s16, 3
	s_flbit_i32_b32 s13, s9
	s_min_u32 s13, s13, 32
	s_sub_i32 s18, s13, 29
	s_lshl_b32 s18, s16, s18
	s_lshl_b32 s8, s16, 24
	s_bfe_u32 s12, s16, 0x50002
	s_sub_i32 s13, 30, s13
	s_and_b32 s18, s18, 3
	s_cmp_eq_u32 s12, 0
	s_cselect_b32 s12, s13, s12
	s_cselect_b32 s9, s18, s9
	s_lshl_b32 s12, s12, 23
	s_and_b32 s8, s8, 0x80000000
	s_add_i32 s12, s12, 0x37800000
	s_lshl_b32 s9, s9, 21
	s_or_b32 s8, s8, s12
	s_or_b32 s19, s8, s9
.LBB127_1868:
	s_bfe_u32 s8, s19, 0x10010
	s_add_i32 s8, s19, s8
	s_addk_i32 s8, 0x7fff
	s_lshr_b32 s12, s8, 16
	v_cmp_o_f32_e64 s[8:9], s19, s19
	s_and_b64 s[8:9], s[8:9], exec
	s_cselect_b32 s8, s12, 0x7fc0
	v_mov_b32_e32 v0, s8
	s_mov_b64 s[8:9], 0
	s_mov_b64 s[12:13], -1
	global_store_dword v[5:6], v0, off
.LBB127_1869:
	s_and_b64 vcc, exec, s[14:15]
	s_cbranch_vccz .LBB127_1881
; %bb.1870:
	s_cmp_eq_u32 s17, 44
	s_mov_b64 s[8:9], -1
	s_cbranch_scc0 .LBB127_1881
; %bb.1871:
	s_and_b32 s14, s16, 0xff
	s_cmpk_lt_i32 s14, 0x80
	s_cbranch_scc1 .LBB127_1875
; %bb.1872:
	s_and_b32 s8, 0xffff, s14
	s_cmpk_eq_i32 s8, 0x80
	s_mov_b64 s[8:9], -1
	s_cbranch_scc0 .LBB127_1874
; %bb.1873:
	s_mov_b64 s[8:9], 0
.LBB127_1874:
	s_mov_b64 s[12:13], 0
	s_branch .LBB127_1876
.LBB127_1875:
	s_mov_b64 s[12:13], -1
	s_mov_b64 s[8:9], 0
.LBB127_1876:
	s_mov_b32 s15, 0x7f800001
	s_and_b64 vcc, exec, s[12:13]
	s_cbranch_vccz .LBB127_1886
; %bb.1877:
	s_and_b32 s15, 0xffff, s14
	s_cmp_lg_u32 s15, 0
	s_cselect_b64 s[8:9], -1, 0
	s_andn2_b64 vcc, exec, s[8:9]
	s_cbranch_vccz .LBB127_1887
.LBB127_1878:
	s_lshr_b32 s8, s15, 23
	s_cmpk_eq_i32 s8, 0xff
	v_mov_b32_e32 v0, 0xff
	s_cbranch_scc1 .LBB127_1880
.LBB127_1879:
	s_bitcmp1_b32 s15, 22
	s_cselect_b64 s[12:13], -1, 0
	s_and_b32 s9, s15, 0x3fffff
	s_or_b32 s9, s8, s9
	s_cmp_lg_u32 s9, 0
	s_cselect_b64 s[14:15], -1, 0
	s_and_b64 s[12:13], s[12:13], s[14:15]
	v_cndmask_b32_e64 v0, 0, 1, s[12:13]
	v_add_u32_e32 v0, s8, v0
.LBB127_1880:
	s_mov_b64 s[8:9], 0
	s_mov_b64 s[12:13], -1
	global_store_byte v[5:6], v0, off
.LBB127_1881:
	s_mov_b64 s[14:15], 0
.LBB127_1882:
	s_and_b64 vcc, exec, s[14:15]
	s_cbranch_vccz .LBB127_1894
; %bb.1883:
	s_cmp_eq_u32 s17, 29
	s_mov_b64 s[8:9], -1
	s_cbranch_scc0 .LBB127_1894
; %bb.1884:
	s_and_b32 s14, s16, 0xff
	s_cmpk_lt_i32 s14, 0x80
	s_cbranch_scc1 .LBB127_1888
; %bb.1885:
	s_and_b32 s8, 0xffff, s14
	s_cmpk_lg_i32 s8, 0x80
	s_mov_b64 s[12:13], 0
	s_cselect_b64 s[8:9], -1, 0
	s_branch .LBB127_1889
.LBB127_1886:
	s_andn2_b64 vcc, exec, s[8:9]
	s_cbranch_vccnz .LBB127_1878
.LBB127_1887:
	s_and_b32 s8, s16, 3
	s_flbit_i32_b32 s12, s8
	s_min_u32 s12, s12, 32
	s_sub_i32 s13, s12, 29
	s_lshl_b32 s13, s16, s13
	s_bfe_u32 s9, s16, 0x50002
	s_sub_i32 s12, 30, s12
	s_and_b32 s13, s13, 3
	s_cmp_eq_u32 s9, 0
	s_cselect_b32 s9, s12, s9
	s_cselect_b32 s8, s13, s8
	s_lshl_b32 s8, s8, 21
	s_lshl_b32 s9, s9, 23
	s_or_b32 s8, s9, s8
	s_add_i32 s15, s8, 0x37800000
	s_lshr_b32 s8, s15, 23
	s_cmpk_eq_i32 s8, 0xff
	v_mov_b32_e32 v0, 0xff
	s_cbranch_scc0 .LBB127_1879
	s_branch .LBB127_1880
.LBB127_1888:
	s_mov_b64 s[12:13], -1
	s_mov_b64 s[8:9], 0
.LBB127_1889:
	s_andn2_b64 vcc, exec, s[12:13]
	s_cbranch_vccnz .LBB127_1891
; %bb.1890:
	s_and_b32 s8, 0xffff, s14
	s_cmp_lg_u32 s8, 0
	s_cselect_b64 s[8:9], -1, 0
.LBB127_1891:
	v_mov_b32_e32 v0, 0
	s_andn2_b64 vcc, exec, s[8:9]
	v_mov_b32_e32 v1, 0
	s_cbranch_vccnz .LBB127_1893
; %bb.1892:
	s_and_b32 s9, s16, 3
	s_flbit_i32_b32 s13, s9
	s_min_u32 s13, s13, 32
	s_sub_i32 s14, s13, 29
	s_lshl_b32 s14, s16, s14
	s_lshl_b32 s8, s16, 24
	s_bfe_u32 s12, s16, 0x50002
	s_sub_i32 s13, 30, s13
	s_and_b32 s14, s14, 3
	s_cmp_eq_u32 s12, 0
	s_cselect_b32 s12, s13, s12
	s_cselect_b32 s9, s14, s9
	s_lshl_b32 s12, s12, 23
	s_and_b32 s8, s8, 0x80000000
	s_add_i32 s12, s12, 0x37800000
	s_lshl_b32 s9, s9, 21
	s_or_b32 s8, s8, s12
	s_or_b32 s8, s8, s9
	v_trunc_f32_e32 v0, s8
	v_mul_f32_e32 v1, 0x2f800000, v0
	v_floor_f32_e32 v1, v1
	v_fmac_f32_e32 v0, 0xcf800000, v1
	v_cvt_u32_f32_e32 v0, v0
	v_cvt_u32_f32_e32 v1, v1
.LBB127_1893:
	global_store_dwordx2 v[5:6], v[0:1], off
	s_mov_b64 s[8:9], 0
	s_mov_b64 s[12:13], -1
.LBB127_1894:
	s_mov_b64 s[14:15], 0
.LBB127_1895:
	s_and_b64 vcc, exec, s[14:15]
	s_cbranch_vccz .LBB127_1936
; %bb.1896:
	s_cmp_lt_i32 s17, 27
	s_mov_b64 s[12:13], -1
	s_cbranch_scc1 .LBB127_1916
; %bb.1897:
	s_cmp_gt_i32 s17, 27
	s_cbranch_scc0 .LBB127_1906
; %bb.1898:
	s_and_b32 s18, s16, 0xff
	s_cmpk_lt_i32 s18, 0x80
	s_cbranch_scc1 .LBB127_1900
; %bb.1899:
	s_and_b32 s12, 0xffff, s18
	s_cmpk_lg_i32 s12, 0x80
	s_mov_b64 s[14:15], 0
	s_cselect_b64 s[12:13], -1, 0
	s_branch .LBB127_1901
.LBB127_1900:
	s_mov_b64 s[14:15], -1
	s_mov_b64 s[12:13], 0
.LBB127_1901:
	s_andn2_b64 vcc, exec, s[14:15]
	s_cbranch_vccnz .LBB127_1903
; %bb.1902:
	s_and_b32 s12, 0xffff, s18
	s_cmp_lg_u32 s12, 0
	s_cselect_b64 s[12:13], -1, 0
.LBB127_1903:
	s_andn2_b64 vcc, exec, s[12:13]
	v_mov_b32_e32 v0, 0
	s_cbranch_vccnz .LBB127_1905
; %bb.1904:
	s_and_b32 s13, s16, 3
	s_flbit_i32_b32 s15, s13
	s_min_u32 s15, s15, 32
	s_sub_i32 s18, s15, 29
	s_lshl_b32 s18, s16, s18
	s_lshl_b32 s12, s16, 24
	s_bfe_u32 s14, s16, 0x50002
	s_sub_i32 s15, 30, s15
	s_and_b32 s18, s18, 3
	s_cmp_eq_u32 s14, 0
	s_cselect_b32 s14, s15, s14
	s_cselect_b32 s13, s18, s13
	s_lshl_b32 s14, s14, 23
	s_and_b32 s12, s12, 0x80000000
	s_add_i32 s14, s14, 0x37800000
	s_lshl_b32 s13, s13, 21
	s_or_b32 s12, s12, s14
	s_or_b32 s12, s12, s13
	v_cvt_u32_f32_e32 v0, s12
.LBB127_1905:
	global_store_dword v[5:6], v0, off
	s_mov_b64 s[12:13], 0
.LBB127_1906:
	s_and_b64 vcc, exec, s[12:13]
	s_cbranch_vccz .LBB127_1915
; %bb.1907:
	s_and_b32 s18, s16, 0xff
	s_cmpk_lt_i32 s18, 0x80
	s_cbranch_scc1 .LBB127_1909
; %bb.1908:
	s_and_b32 s12, 0xffff, s18
	s_cmpk_lg_i32 s12, 0x80
	s_mov_b64 s[14:15], 0
	s_cselect_b64 s[12:13], -1, 0
	s_branch .LBB127_1910
.LBB127_1909:
	s_mov_b64 s[14:15], -1
	s_mov_b64 s[12:13], 0
.LBB127_1910:
	s_andn2_b64 vcc, exec, s[14:15]
	s_cbranch_vccnz .LBB127_1912
; %bb.1911:
	s_and_b32 s12, 0xffff, s18
	s_cmp_lg_u32 s12, 0
	s_cselect_b64 s[12:13], -1, 0
.LBB127_1912:
	s_andn2_b64 vcc, exec, s[12:13]
	v_mov_b32_e32 v0, 0
	s_cbranch_vccnz .LBB127_1914
; %bb.1913:
	s_and_b32 s13, s16, 3
	s_flbit_i32_b32 s15, s13
	s_min_u32 s15, s15, 32
	s_sub_i32 s18, s15, 29
	s_lshl_b32 s18, s16, s18
	s_lshl_b32 s12, s16, 24
	s_bfe_u32 s14, s16, 0x50002
	s_sub_i32 s15, 30, s15
	s_and_b32 s18, s18, 3
	s_cmp_eq_u32 s14, 0
	s_cselect_b32 s14, s15, s14
	s_cselect_b32 s13, s18, s13
	s_lshl_b32 s14, s14, 23
	s_and_b32 s12, s12, 0x80000000
	s_add_i32 s14, s14, 0x37800000
	s_lshl_b32 s13, s13, 21
	s_or_b32 s12, s12, s14
	s_or_b32 s12, s12, s13
	v_cvt_u32_f32_e32 v0, s12
.LBB127_1914:
	global_store_short v[5:6], v0, off
.LBB127_1915:
	s_mov_b64 s[12:13], 0
.LBB127_1916:
	s_andn2_b64 vcc, exec, s[12:13]
	s_cbranch_vccnz .LBB127_1935
; %bb.1917:
	s_and_b32 s19, s16, 0xff
	s_cmpk_lt_i32 s19, 0x80
	s_cbranch_scc1 .LBB127_1921
; %bb.1918:
	s_and_b32 s12, 0xffff, s19
	s_cmpk_eq_i32 s12, 0x80
	s_mov_b64 s[12:13], -1
	s_cbranch_scc0 .LBB127_1920
; %bb.1919:
	s_mov_b64 s[12:13], 0
.LBB127_1920:
	s_mov_b64 s[14:15], 0
	s_branch .LBB127_1922
.LBB127_1921:
	s_mov_b64 s[14:15], -1
	s_mov_b64 s[12:13], 0
.LBB127_1922:
	s_mov_b32 s18, 0x7f800001
	s_and_b64 vcc, exec, s[14:15]
	s_cbranch_vccz .LBB127_1925
; %bb.1923:
	s_and_b32 s12, 0xffff, s19
	s_cmp_lg_u32 s12, 0
	s_mov_b32 s18, 0
	s_cselect_b64 s[12:13], -1, 0
	s_andn2_b64 vcc, exec, s[12:13]
	s_cbranch_vccz .LBB127_1926
.LBB127_1924:
	s_and_b32 s12, s18, 0x7fffffff
	s_cmp_gt_u32 s12, 0x437fffff
	v_mov_b32_e32 v1, 0x80
	s_cbranch_scc0 .LBB127_1927
	s_branch .LBB127_1934
.LBB127_1925:
	s_andn2_b64 vcc, exec, s[12:13]
	s_cbranch_vccnz .LBB127_1924
.LBB127_1926:
	s_and_b32 s13, s16, 3
	s_flbit_i32_b32 s15, s13
	s_min_u32 s15, s15, 32
	s_sub_i32 s18, s15, 29
	s_lshl_b32 s18, s16, s18
	s_lshl_b32 s12, s16, 24
	s_bfe_u32 s14, s16, 0x50002
	s_sub_i32 s15, 30, s15
	s_and_b32 s18, s18, 3
	s_cmp_eq_u32 s14, 0
	s_cselect_b32 s14, s15, s14
	s_cselect_b32 s13, s18, s13
	s_lshl_b32 s14, s14, 23
	s_and_b32 s12, s12, 0x80000000
	s_add_i32 s14, s14, 0x37800000
	s_lshl_b32 s13, s13, 21
	s_or_b32 s12, s12, s14
	s_or_b32 s18, s12, s13
	s_and_b32 s12, s18, 0x7fffffff
	s_cmp_gt_u32 s12, 0x437fffff
	v_mov_b32_e32 v1, 0x80
	s_cbranch_scc1 .LBB127_1934
.LBB127_1927:
	s_cmp_gt_u32 s12, 0x3bffffff
	s_cbranch_scc0 .LBB127_1929
; %bb.1928:
	s_bfe_u32 s12, s18, 0x10014
	s_add_i32 s12, s18, s12
	s_add_i32 s12, s12, 0x487ffff
	s_lshr_b32 s19, s12, 20
	s_mov_b64 s[14:15], 0
	s_mov_b64 s[12:13], -1
	s_branch .LBB127_1930
.LBB127_1929:
	s_mov_b64 s[14:15], -1
	s_mov_b64 s[12:13], 0
                                        ; implicit-def: $sgpr19
.LBB127_1930:
	s_andn2_b64 vcc, exec, s[14:15]
	v_mov_b32_e32 v0, s19
	s_cbranch_vccnz .LBB127_1932
; %bb.1931:
	v_mov_b32_e32 v0, 0x46000000
	v_add_f32_e64 v0, |s18|, v0
	v_and_b32_e32 v0, 0xff, v0
	v_cmp_ne_u32_e64 s[12:13], 0, v0
.LBB127_1932:
	s_andn2_b64 vcc, exec, s[12:13]
	v_mov_b32_e32 v1, 0
	s_cbranch_vccnz .LBB127_1934
; %bb.1933:
	s_lshr_b32 s12, s18, 24
	s_and_b32 s12, s12, 0x80
	v_or_b32_e32 v1, s12, v0
.LBB127_1934:
	global_store_byte v[5:6], v1, off
.LBB127_1935:
	s_mov_b64 s[12:13], -1
.LBB127_1936:
	s_mov_b64 s[14:15], 0
.LBB127_1937:
	s_and_b64 vcc, exec, s[14:15]
	s_cbranch_vccz .LBB127_2001
; %bb.1938:
	s_cmp_gt_i32 s17, 22
	s_mov_b64 s[10:11], -1
	s_cbranch_scc0 .LBB127_1986
; %bb.1939:
	s_cmp_lt_i32 s17, 24
	s_cbranch_scc1 .LBB127_1964
; %bb.1940:
	s_cmp_gt_i32 s17, 24
	s_cbranch_scc0 .LBB127_1942
; %bb.1941:
	v_mov_b32_e32 v0, s16
	global_store_byte v[5:6], v0, off
	s_mov_b64 s[10:11], 0
.LBB127_1942:
	s_andn2_b64 vcc, exec, s[10:11]
	s_cbranch_vccnz .LBB127_1963
; %bb.1943:
	s_and_b32 s15, s16, 0xff
	s_cmpk_lt_i32 s15, 0x80
	s_cbranch_scc1 .LBB127_1947
; %bb.1944:
	s_and_b32 s10, 0xffff, s15
	s_cmpk_eq_i32 s10, 0x80
	s_mov_b64 s[10:11], -1
	s_cbranch_scc0 .LBB127_1946
; %bb.1945:
	s_mov_b64 s[10:11], 0
.LBB127_1946:
	s_mov_b64 s[12:13], 0
	s_branch .LBB127_1948
.LBB127_1947:
	s_mov_b64 s[12:13], -1
	s_mov_b64 s[10:11], 0
.LBB127_1948:
	s_mov_b32 s14, 0x7f800001
	s_and_b64 vcc, exec, s[12:13]
	s_cbranch_vccz .LBB127_1953
; %bb.1949:
	s_and_b32 s10, 0xffff, s15
	s_cmp_lg_u32 s10, 0
	s_mov_b32 s14, 0
	s_cselect_b64 s[10:11], -1, 0
	s_andn2_b64 vcc, exec, s[10:11]
	s_cbranch_vccz .LBB127_1954
.LBB127_1950:
	s_and_b32 s12, s14, 0x7fffffff
	s_cmp_lt_u32 s12, 0x43f00000
	s_cbranch_scc0 .LBB127_1955
.LBB127_1951:
	s_cmp_gt_u32 s12, 0x3c7fffff
	s_cbranch_scc0 .LBB127_1956
; %bb.1952:
	s_bfe_u32 s10, s14, 0x10014
	s_add_i32 s10, s14, s10
	s_add_i32 s10, s10, 0x407ffff
	s_lshr_b32 s11, s10, 20
	s_and_b32 s10, s10, 0xff00000
	s_cmp_lg_u32 s10, 0x7f00000
	s_cselect_b32 s13, s11, 0x7e
	s_mov_b64 s[10:11], 0
	s_branch .LBB127_1957
.LBB127_1953:
	s_andn2_b64 vcc, exec, s[10:11]
	s_cbranch_vccnz .LBB127_1950
.LBB127_1954:
	s_and_b32 s11, s16, 3
	s_flbit_i32_b32 s13, s11
	s_min_u32 s13, s13, 32
	s_sub_i32 s14, s13, 29
	s_lshl_b32 s14, s16, s14
	s_lshl_b32 s10, s16, 24
	s_bfe_u32 s12, s16, 0x50002
	s_sub_i32 s13, 30, s13
	s_and_b32 s14, s14, 3
	s_cmp_eq_u32 s12, 0
	s_cselect_b32 s12, s13, s12
	s_cselect_b32 s11, s14, s11
	s_lshl_b32 s12, s12, 23
	s_and_b32 s10, s10, 0x80000000
	s_add_i32 s12, s12, 0x37800000
	s_lshl_b32 s11, s11, 21
	s_or_b32 s10, s10, s12
	s_or_b32 s14, s10, s11
	s_and_b32 s12, s14, 0x7fffffff
	s_cmp_lt_u32 s12, 0x43f00000
	s_cbranch_scc1 .LBB127_1951
.LBB127_1955:
	s_mov_b64 s[10:11], -1
                                        ; implicit-def: $vgpr0
	s_branch .LBB127_1960
.LBB127_1956:
	s_mov_b64 s[10:11], -1
                                        ; implicit-def: $sgpr13
.LBB127_1957:
	s_andn2_b64 vcc, exec, s[10:11]
	v_mov_b32_e32 v0, s13
	s_cbranch_vccnz .LBB127_1959
; %bb.1958:
	v_mov_b32_e32 v0, 0x46800000
	v_add_f32_e64 v0, |s14|, v0
.LBB127_1959:
	s_mov_b64 s[10:11], 0
.LBB127_1960:
	s_andn2_b64 vcc, exec, s[10:11]
	s_cbranch_vccnz .LBB127_1962
; %bb.1961:
	s_cmp_gt_u32 s12, 0x7f800000
	s_movk_i32 s10, 0x7f
	s_cselect_b32 s10, s10, 0x7e
	v_mov_b32_e32 v0, s10
.LBB127_1962:
	s_lshr_b32 s10, s14, 24
	s_and_b32 s10, s10, 0x80
	v_or_b32_e32 v0, s10, v0
	global_store_byte v[5:6], v0, off
.LBB127_1963:
	s_mov_b64 s[10:11], 0
.LBB127_1964:
	s_andn2_b64 vcc, exec, s[10:11]
	s_cbranch_vccnz .LBB127_1985
; %bb.1965:
	s_and_b32 s15, s16, 0xff
	s_cmpk_lt_i32 s15, 0x80
	s_cbranch_scc1 .LBB127_1969
; %bb.1966:
	s_and_b32 s10, 0xffff, s15
	s_cmpk_eq_i32 s10, 0x80
	s_mov_b64 s[10:11], -1
	s_cbranch_scc0 .LBB127_1968
; %bb.1967:
	s_mov_b64 s[10:11], 0
.LBB127_1968:
	s_mov_b64 s[12:13], 0
	s_branch .LBB127_1970
.LBB127_1969:
	s_mov_b64 s[12:13], -1
	s_mov_b64 s[10:11], 0
.LBB127_1970:
	s_mov_b32 s14, 0x7f800001
	s_and_b64 vcc, exec, s[12:13]
	s_cbranch_vccz .LBB127_1975
; %bb.1971:
	s_and_b32 s10, 0xffff, s15
	s_cmp_lg_u32 s10, 0
	s_mov_b32 s14, 0
	s_cselect_b64 s[10:11], -1, 0
	s_andn2_b64 vcc, exec, s[10:11]
	s_cbranch_vccz .LBB127_1976
.LBB127_1972:
	s_and_b32 s12, s14, 0x7fffffff
	s_cmp_lt_u32 s12, 0x47800000
	s_cbranch_scc0 .LBB127_1977
.LBB127_1973:
	s_cmp_gt_u32 s12, 0x387fffff
	s_cbranch_scc0 .LBB127_1978
; %bb.1974:
	s_bfe_u32 s10, s14, 0x10015
	s_add_i32 s10, s14, s10
	s_add_i32 s10, s10, 0x80fffff
	s_lshr_b32 s13, s10, 21
	s_mov_b64 s[10:11], 0
	s_branch .LBB127_1979
.LBB127_1975:
	s_andn2_b64 vcc, exec, s[10:11]
	s_cbranch_vccnz .LBB127_1972
.LBB127_1976:
	s_and_b32 s11, s16, 3
	s_flbit_i32_b32 s13, s11
	s_min_u32 s13, s13, 32
	s_sub_i32 s14, s13, 29
	s_lshl_b32 s14, s16, s14
	s_lshl_b32 s10, s16, 24
	s_bfe_u32 s12, s16, 0x50002
	s_sub_i32 s13, 30, s13
	s_and_b32 s14, s14, 3
	s_cmp_eq_u32 s12, 0
	s_cselect_b32 s12, s13, s12
	s_cselect_b32 s11, s14, s11
	s_lshl_b32 s12, s12, 23
	s_and_b32 s10, s10, 0x80000000
	s_add_i32 s12, s12, 0x37800000
	s_lshl_b32 s11, s11, 21
	s_or_b32 s10, s10, s12
	s_or_b32 s14, s10, s11
	s_and_b32 s12, s14, 0x7fffffff
	s_cmp_lt_u32 s12, 0x47800000
	s_cbranch_scc1 .LBB127_1973
.LBB127_1977:
	s_mov_b64 s[10:11], -1
                                        ; implicit-def: $vgpr0
	s_branch .LBB127_1982
.LBB127_1978:
	s_mov_b64 s[10:11], -1
                                        ; implicit-def: $sgpr13
.LBB127_1979:
	s_andn2_b64 vcc, exec, s[10:11]
	v_mov_b32_e32 v0, s13
	s_cbranch_vccnz .LBB127_1981
; %bb.1980:
	v_mov_b32_e32 v0, 0x43000000
	v_add_f32_e64 v0, |s14|, v0
.LBB127_1981:
	s_mov_b64 s[10:11], 0
.LBB127_1982:
	s_andn2_b64 vcc, exec, s[10:11]
	s_cbranch_vccnz .LBB127_1984
; %bb.1983:
	s_cmp_gt_u32 s12, 0x7f800000
	s_movk_i32 s10, 0x7f
	s_cselect_b32 s10, s10, 0x7c
	v_mov_b32_e32 v0, s10
.LBB127_1984:
	s_lshr_b32 s10, s14, 24
	s_and_b32 s10, s10, 0x80
	v_or_b32_e32 v0, s10, v0
	global_store_byte v[5:6], v0, off
.LBB127_1985:
	s_mov_b64 s[10:11], 0
	s_mov_b64 s[12:13], -1
.LBB127_1986:
	s_andn2_b64 vcc, exec, s[10:11]
	s_mov_b64 s[10:11], 0
	s_cbranch_vccnz .LBB127_2001
; %bb.1987:
	s_cmp_gt_i32 s17, 14
	s_mov_b64 s[14:15], -1
	s_cbranch_scc0 .LBB127_1999
; %bb.1988:
	s_cmp_eq_u32 s17, 15
	s_mov_b64 s[8:9], -1
	s_cbranch_scc0 .LBB127_1998
; %bb.1989:
	s_and_b32 s12, s16, 0xff
	s_cmpk_lt_i32 s12, 0x80
	s_cbranch_scc1 .LBB127_1994
; %bb.1990:
	s_and_b32 s8, 0xffff, s12
	s_cmpk_eq_i32 s8, 0x80
	s_mov_b64 s[8:9], -1
	s_cbranch_scc0 .LBB127_1992
; %bb.1991:
	s_mov_b64 s[8:9], 0
	s_mov_b32 s13, 0x7f800001
	s_and_b64 vcc, exec, s[10:11]
	s_cbranch_vccz .LBB127_1995
	s_branch .LBB127_1993
.LBB127_1992:
	s_mov_b32 s13, 0x7f800001
	s_and_b64 vcc, exec, s[10:11]
	s_cbranch_vccz .LBB127_1995
.LBB127_1993:
	s_and_b32 s8, 0xffff, s12
	s_cmp_lg_u32 s8, 0
	s_mov_b32 s13, 0
	s_cselect_b64 s[8:9], -1, 0
	s_andn2_b64 vcc, exec, s[8:9]
	s_cbranch_vccz .LBB127_1996
	s_branch .LBB127_1997
.LBB127_1994:
	s_mov_b64 s[8:9], 0
	s_mov_b32 s13, 0x7f800001
	s_cbranch_execnz .LBB127_1993
.LBB127_1995:
	s_andn2_b64 vcc, exec, s[8:9]
	s_cbranch_vccnz .LBB127_1997
.LBB127_1996:
	s_and_b32 s9, s16, 3
	s_flbit_i32_b32 s11, s9
	s_min_u32 s11, s11, 32
	s_sub_i32 s12, s11, 29
	s_lshl_b32 s12, s16, s12
	s_lshl_b32 s8, s16, 24
	s_bfe_u32 s10, s16, 0x50002
	s_sub_i32 s11, 30, s11
	s_and_b32 s12, s12, 3
	s_cmp_eq_u32 s10, 0
	s_cselect_b32 s10, s11, s10
	s_cselect_b32 s9, s12, s9
	s_lshl_b32 s10, s10, 23
	s_and_b32 s8, s8, 0x80000000
	s_add_i32 s10, s10, 0x37800000
	s_lshl_b32 s9, s9, 21
	s_or_b32 s8, s8, s10
	s_or_b32 s13, s8, s9
.LBB127_1997:
	s_bfe_u32 s8, s13, 0x10010
	s_add_i32 s8, s13, s8
	s_addk_i32 s8, 0x7fff
	s_lshr_b32 s10, s8, 16
	v_cmp_o_f32_e64 s[8:9], s13, s13
	s_and_b64 s[8:9], s[8:9], exec
	s_cselect_b32 s8, s10, 0x7fc0
	v_mov_b32_e32 v0, s8
	global_store_short v[5:6], v0, off
	s_mov_b64 s[8:9], 0
	s_mov_b64 s[12:13], -1
.LBB127_1998:
	s_mov_b64 s[14:15], 0
.LBB127_1999:
	s_mov_b64 s[10:11], 0
	s_and_b64 vcc, exec, s[14:15]
	s_cbranch_vccz .LBB127_2001
; %bb.2000:
	s_cmp_lg_u32 s17, 11
	s_mov_b64 s[10:11], -1
	s_cselect_b64 s[8:9], -1, 0
.LBB127_2001:
	s_and_b64 vcc, exec, s[8:9]
	s_cbranch_vccnz .LBB127_2013
; %bb.2002:
	s_andn2_b64 vcc, exec, s[10:11]
	s_cbranch_vccnz .LBB127_2004
.LBB127_2003:
	s_and_b32 s8, s16, 0xff
	s_cmp_lg_u32 s8, 0
	s_cselect_b64 s[8:9], -1, 0
	v_cndmask_b32_e64 v0, 0, 1, s[8:9]
	s_mov_b64 s[12:13], -1
	global_store_byte v[5:6], v0, off
.LBB127_2004:
	s_branch .LBB127_1851
.LBB127_2005:
	s_cmp_lt_i32 s17, 5
	s_mov_b64 s[8:9], -1
	s_cbranch_scc1 .LBB127_2083
; %bb.2006:
	s_cmp_lt_i32 s17, 8
	s_cbranch_scc1 .LBB127_2045
; %bb.2007:
	s_cmp_lt_i32 s17, 9
	s_cbranch_scc1 .LBB127_2033
; %bb.2008:
	s_cmp_gt_i32 s17, 9
	s_cbranch_scc0 .LBB127_2021
; %bb.2009:
	s_and_b32 s12, s16, 0xff
	s_cmpk_lt_i32 s12, 0x80
	s_cbranch_scc1 .LBB127_2014
; %bb.2010:
	s_and_b32 s8, 0xffff, s12
	s_cmpk_eq_i32 s8, 0x80
	s_mov_b64 s[8:9], -1
	s_cbranch_scc0 .LBB127_2012
; %bb.2011:
	s_mov_b64 s[8:9], 0
.LBB127_2012:
	s_mov_b64 s[10:11], 0
	s_branch .LBB127_2015
.LBB127_2013:
	s_trap 2
	s_or_b64 s[0:1], s[0:1], exec
	s_cbranch_execz .LBB127_2003
	s_branch .LBB127_2004
.LBB127_2014:
	s_mov_b64 s[10:11], -1
	s_mov_b64 s[8:9], 0
.LBB127_2015:
	s_and_b64 vcc, exec, s[10:11]
	s_cbranch_vccz .LBB127_2017
; %bb.2016:
	s_and_b32 s8, 0xffff, s12
	s_cmp_lg_u32 s8, 0
	s_mov_b64 s[10:11], 0
	s_cselect_b64 s[8:9], -1, 0
	s_branch .LBB127_2018
.LBB127_2017:
	s_mov_b32 s11, 0x7ff80000
	s_brev_b32 s10, 4
.LBB127_2018:
	v_mov_b32_e32 v0, s10
	s_andn2_b64 vcc, exec, s[8:9]
	v_mov_b32_e32 v1, s11
	s_cbranch_vccnz .LBB127_2020
; %bb.2019:
	s_and_b32 s9, s16, 3
	s_flbit_i32_b32 s11, s9
	s_min_u32 s11, s11, 32
	s_sub_i32 s12, s11, 29
	s_lshl_b32 s12, s16, s12
	s_lshl_b32 s8, s16, 24
	s_bfe_u32 s10, s16, 0x50002
	s_sub_i32 s11, 30, s11
	s_and_b32 s12, s12, 3
	s_cmp_eq_u32 s10, 0
	s_cselect_b32 s10, s11, s10
	s_cselect_b32 s9, s12, s9
	s_lshl_b32 s10, s10, 23
	s_and_b32 s8, s8, 0x80000000
	s_add_i32 s10, s10, 0x37800000
	s_lshl_b32 s9, s9, 21
	s_or_b32 s8, s8, s10
	s_or_b32 s8, s8, s9
	v_cvt_f64_f32_e32 v[0:1], s8
.LBB127_2020:
	v_mov_b32_e32 v2, 0
	v_mov_b32_e32 v3, v2
	global_store_dwordx4 v[5:6], v[0:3], off
	s_mov_b64 s[8:9], 0
.LBB127_2021:
	s_and_b64 vcc, exec, s[8:9]
	s_cbranch_vccz .LBB127_2032
; %bb.2022:
	s_and_b32 s12, s16, 0xff
	s_cmpk_lt_i32 s12, 0x80
	s_cbranch_scc1 .LBB127_2026
; %bb.2023:
	s_and_b32 s8, 0xffff, s12
	s_cmpk_eq_i32 s8, 0x80
	s_mov_b64 s[8:9], -1
	s_cbranch_scc0 .LBB127_2025
; %bb.2024:
	s_mov_b64 s[8:9], 0
.LBB127_2025:
	s_mov_b64 s[10:11], 0
	s_branch .LBB127_2027
.LBB127_2026:
	s_mov_b64 s[10:11], -1
	s_mov_b64 s[8:9], 0
.LBB127_2027:
	s_mov_b32 s13, 0x7f800001
	s_and_b64 vcc, exec, s[10:11]
	s_cbranch_vccz .LBB127_2029
; %bb.2028:
	s_and_b32 s13, 0xffff, s12
	s_cmp_lg_u32 s13, 0
	s_cselect_b64 s[8:9], -1, 0
.LBB127_2029:
	s_andn2_b64 vcc, exec, s[8:9]
	s_cbranch_vccnz .LBB127_2031
; %bb.2030:
	s_and_b32 s9, s16, 3
	s_flbit_i32_b32 s11, s9
	s_min_u32 s11, s11, 32
	s_sub_i32 s12, s11, 29
	s_lshl_b32 s12, s16, s12
	s_lshl_b32 s8, s16, 24
	s_bfe_u32 s10, s16, 0x50002
	s_sub_i32 s11, 30, s11
	s_and_b32 s12, s12, 3
	s_cmp_eq_u32 s10, 0
	s_cselect_b32 s10, s11, s10
	s_cselect_b32 s9, s12, s9
	s_lshl_b32 s10, s10, 23
	s_and_b32 s8, s8, 0x80000000
	s_add_i32 s10, s10, 0x37800000
	s_lshl_b32 s9, s9, 21
	s_or_b32 s8, s8, s10
	s_or_b32 s13, s8, s9
.LBB127_2031:
	v_mov_b32_e32 v0, s13
	v_mov_b32_e32 v1, 0
	global_store_dwordx2 v[5:6], v[0:1], off
.LBB127_2032:
	s_mov_b64 s[8:9], 0
.LBB127_2033:
	s_andn2_b64 vcc, exec, s[8:9]
	s_cbranch_vccnz .LBB127_2044
; %bb.2034:
	s_and_b32 s12, s16, 0xff
	s_cmpk_lt_i32 s12, 0x80
	s_cbranch_scc1 .LBB127_2038
; %bb.2035:
	s_and_b32 s8, 0xffff, s12
	s_cmpk_eq_i32 s8, 0x80
	s_mov_b64 s[8:9], -1
	s_cbranch_scc0 .LBB127_2037
; %bb.2036:
	s_mov_b64 s[8:9], 0
.LBB127_2037:
	s_mov_b64 s[10:11], 0
	s_branch .LBB127_2039
.LBB127_2038:
	s_mov_b64 s[10:11], -1
	s_mov_b64 s[8:9], 0
.LBB127_2039:
	s_movk_i32 s13, 0x7e00
	s_and_b64 vcc, exec, s[10:11]
	s_cbranch_vccz .LBB127_2041
; %bb.2040:
	s_and_b32 s13, 0xffff, s12
	s_cmp_lg_u32 s13, 0
	s_cselect_b64 s[8:9], -1, 0
.LBB127_2041:
	s_andn2_b64 vcc, exec, s[8:9]
	v_mov_b32_e32 v0, s13
	s_cbranch_vccnz .LBB127_2043
; %bb.2042:
	s_and_b32 s9, s16, 3
	s_flbit_i32_b32 s11, s9
	s_min_u32 s11, s11, 32
	s_sub_i32 s12, s11, 29
	s_lshl_b32 s12, s16, s12
	s_lshl_b32 s8, s16, 24
	s_bfe_u32 s10, s16, 0x50002
	s_sub_i32 s11, 30, s11
	s_and_b32 s12, s12, 3
	s_cmp_eq_u32 s10, 0
	s_cselect_b32 s10, s11, s10
	s_cselect_b32 s9, s12, s9
	s_lshl_b32 s10, s10, 23
	s_and_b32 s8, s8, 0x80000000
	s_add_i32 s10, s10, 0x37800000
	s_lshl_b32 s9, s9, 21
	s_or_b32 s8, s8, s10
	s_or_b32 s8, s8, s9
	v_cvt_f16_f32_e32 v0, s8
.LBB127_2043:
	global_store_dword v[5:6], v0, off
.LBB127_2044:
	s_mov_b64 s[8:9], 0
.LBB127_2045:
	s_andn2_b64 vcc, exec, s[8:9]
	s_cbranch_vccnz .LBB127_2082
; %bb.2046:
	s_cmp_lt_i32 s17, 6
	s_mov_b64 s[8:9], -1
	s_cbranch_scc1 .LBB127_2071
; %bb.2047:
	s_cmp_gt_i32 s17, 6
	s_cbranch_scc0 .LBB127_2059
; %bb.2048:
	s_and_b32 s12, s16, 0xff
	s_cmpk_lt_i32 s12, 0x80
	s_cbranch_scc1 .LBB127_2052
; %bb.2049:
	s_and_b32 s8, 0xffff, s12
	s_cmpk_eq_i32 s8, 0x80
	s_mov_b64 s[8:9], -1
	s_cbranch_scc0 .LBB127_2051
; %bb.2050:
	s_mov_b64 s[8:9], 0
.LBB127_2051:
	s_mov_b64 s[10:11], 0
	s_branch .LBB127_2053
.LBB127_2052:
	s_mov_b64 s[10:11], -1
	s_mov_b64 s[8:9], 0
.LBB127_2053:
	s_and_b64 vcc, exec, s[10:11]
	s_cbranch_vccz .LBB127_2055
; %bb.2054:
	s_and_b32 s8, 0xffff, s12
	s_cmp_lg_u32 s8, 0
	s_mov_b64 s[10:11], 0
	s_cselect_b64 s[8:9], -1, 0
	s_branch .LBB127_2056
.LBB127_2055:
	s_mov_b32 s11, 0x7ff80000
	s_brev_b32 s10, 4
.LBB127_2056:
	v_mov_b32_e32 v0, s10
	s_andn2_b64 vcc, exec, s[8:9]
	v_mov_b32_e32 v1, s11
	s_cbranch_vccnz .LBB127_2058
; %bb.2057:
	s_and_b32 s9, s16, 3
	s_flbit_i32_b32 s11, s9
	s_min_u32 s11, s11, 32
	s_sub_i32 s12, s11, 29
	s_lshl_b32 s12, s16, s12
	s_lshl_b32 s8, s16, 24
	s_bfe_u32 s10, s16, 0x50002
	s_sub_i32 s11, 30, s11
	s_and_b32 s12, s12, 3
	s_cmp_eq_u32 s10, 0
	s_cselect_b32 s10, s11, s10
	s_cselect_b32 s9, s12, s9
	s_lshl_b32 s10, s10, 23
	s_and_b32 s8, s8, 0x80000000
	s_add_i32 s10, s10, 0x37800000
	s_lshl_b32 s9, s9, 21
	s_or_b32 s8, s8, s10
	s_or_b32 s8, s8, s9
	v_cvt_f64_f32_e32 v[0:1], s8
.LBB127_2058:
	global_store_dwordx2 v[5:6], v[0:1], off
	s_mov_b64 s[8:9], 0
.LBB127_2059:
	s_and_b64 vcc, exec, s[8:9]
	s_cbranch_vccz .LBB127_2070
; %bb.2060:
	s_and_b32 s12, s16, 0xff
	s_cmpk_lt_i32 s12, 0x80
	s_cbranch_scc1 .LBB127_2064
; %bb.2061:
	s_and_b32 s8, 0xffff, s12
	s_cmpk_eq_i32 s8, 0x80
	s_mov_b64 s[8:9], -1
	s_cbranch_scc0 .LBB127_2063
; %bb.2062:
	s_mov_b64 s[8:9], 0
.LBB127_2063:
	s_mov_b64 s[10:11], 0
	s_branch .LBB127_2065
.LBB127_2064:
	s_mov_b64 s[10:11], -1
	s_mov_b64 s[8:9], 0
.LBB127_2065:
	s_mov_b32 s13, 0x7f800001
	s_and_b64 vcc, exec, s[10:11]
	s_cbranch_vccz .LBB127_2067
; %bb.2066:
	s_and_b32 s13, 0xffff, s12
	s_cmp_lg_u32 s13, 0
	s_cselect_b64 s[8:9], -1, 0
.LBB127_2067:
	s_andn2_b64 vcc, exec, s[8:9]
	s_cbranch_vccnz .LBB127_2069
; %bb.2068:
	s_and_b32 s9, s16, 3
	s_flbit_i32_b32 s11, s9
	s_min_u32 s11, s11, 32
	s_sub_i32 s12, s11, 29
	s_lshl_b32 s12, s16, s12
	s_lshl_b32 s8, s16, 24
	s_bfe_u32 s10, s16, 0x50002
	s_sub_i32 s11, 30, s11
	s_and_b32 s12, s12, 3
	s_cmp_eq_u32 s10, 0
	s_cselect_b32 s10, s11, s10
	s_cselect_b32 s9, s12, s9
	s_lshl_b32 s10, s10, 23
	s_and_b32 s8, s8, 0x80000000
	s_add_i32 s10, s10, 0x37800000
	s_lshl_b32 s9, s9, 21
	s_or_b32 s8, s8, s10
	s_or_b32 s13, s8, s9
.LBB127_2069:
	v_mov_b32_e32 v0, s13
	global_store_dword v[5:6], v0, off
.LBB127_2070:
	s_mov_b64 s[8:9], 0
.LBB127_2071:
	s_andn2_b64 vcc, exec, s[8:9]
	s_cbranch_vccnz .LBB127_2082
; %bb.2072:
	s_and_b32 s12, s16, 0xff
	s_cmpk_lt_i32 s12, 0x80
	s_cbranch_scc1 .LBB127_2076
; %bb.2073:
	s_and_b32 s8, 0xffff, s12
	s_cmpk_eq_i32 s8, 0x80
	s_mov_b64 s[8:9], -1
	s_cbranch_scc0 .LBB127_2075
; %bb.2074:
	s_mov_b64 s[8:9], 0
.LBB127_2075:
	s_mov_b64 s[10:11], 0
	s_branch .LBB127_2077
.LBB127_2076:
	s_mov_b64 s[10:11], -1
	s_mov_b64 s[8:9], 0
.LBB127_2077:
	s_movk_i32 s13, 0x7e00
	s_and_b64 vcc, exec, s[10:11]
	s_cbranch_vccz .LBB127_2079
; %bb.2078:
	s_and_b32 s8, 0xffff, s12
	s_cmp_lg_u32 s8, 0
	s_cselect_b64 s[8:9], -1, 0
	s_mov_b32 s13, s12
.LBB127_2079:
	s_andn2_b64 vcc, exec, s[8:9]
	v_mov_b32_e32 v0, s13
	s_cbranch_vccnz .LBB127_2081
; %bb.2080:
	s_and_b32 s9, s16, 3
	s_flbit_i32_b32 s11, s9
	s_min_u32 s11, s11, 32
	s_sub_i32 s12, s11, 29
	s_lshl_b32 s12, s16, s12
	s_lshl_b32 s8, s16, 24
	s_bfe_u32 s10, s16, 0x50002
	s_sub_i32 s11, 30, s11
	s_and_b32 s12, s12, 3
	s_cmp_eq_u32 s10, 0
	s_cselect_b32 s10, s11, s10
	s_cselect_b32 s9, s12, s9
	s_lshl_b32 s10, s10, 23
	s_and_b32 s8, s8, 0x80000000
	s_add_i32 s10, s10, 0x37800000
	s_lshl_b32 s9, s9, 21
	s_or_b32 s8, s8, s10
	s_or_b32 s8, s8, s9
	v_cvt_f16_f32_e32 v0, s8
.LBB127_2081:
	global_store_short v[5:6], v0, off
.LBB127_2082:
	s_mov_b64 s[8:9], 0
.LBB127_2083:
	s_andn2_b64 vcc, exec, s[8:9]
	s_cbranch_vccnz .LBB127_2134
; %bb.2084:
	s_cmp_lt_i32 s17, 2
	s_mov_b64 s[8:9], -1
	s_cbranch_scc1 .LBB127_2115
; %bb.2085:
	s_cmp_lt_i32 s17, 3
	s_cbranch_scc1 .LBB127_2105
; %bb.2086:
	s_cmp_gt_i32 s17, 3
	s_cbranch_scc0 .LBB127_2095
; %bb.2087:
	s_and_b32 s12, s16, 0xff
	s_cmpk_lt_i32 s12, 0x80
	s_cbranch_scc1 .LBB127_2089
; %bb.2088:
	s_and_b32 s8, 0xffff, s12
	s_cmpk_lg_i32 s8, 0x80
	s_mov_b64 s[10:11], 0
	s_cselect_b64 s[8:9], -1, 0
	s_branch .LBB127_2090
.LBB127_2089:
	s_mov_b64 s[10:11], -1
	s_mov_b64 s[8:9], 0
.LBB127_2090:
	s_andn2_b64 vcc, exec, s[10:11]
	s_cbranch_vccnz .LBB127_2092
; %bb.2091:
	s_and_b32 s8, 0xffff, s12
	s_cmp_lg_u32 s8, 0
	s_cselect_b64 s[8:9], -1, 0
.LBB127_2092:
	v_mov_b32_e32 v0, 0
	s_andn2_b64 vcc, exec, s[8:9]
	v_mov_b32_e32 v1, 0
	s_cbranch_vccnz .LBB127_2094
; %bb.2093:
	s_and_b32 s9, s16, 3
	s_flbit_i32_b32 s11, s9
	s_min_u32 s11, s11, 32
	s_sub_i32 s12, s11, 29
	s_lshl_b32 s12, s16, s12
	s_lshl_b32 s8, s16, 24
	s_bfe_u32 s10, s16, 0x50002
	s_sub_i32 s11, 30, s11
	s_and_b32 s12, s12, 3
	s_cmp_eq_u32 s10, 0
	s_cselect_b32 s10, s11, s10
	s_cselect_b32 s9, s12, s9
	s_lshl_b32 s10, s10, 23
	s_and_b32 s8, s8, 0x80000000
	s_add_i32 s10, s10, 0x37800000
	s_lshl_b32 s9, s9, 21
	s_or_b32 s8, s8, s10
	s_or_b32 s8, s8, s9
	v_trunc_f32_e32 v0, s8
	s_mov_b32 s8, 0x2f800000
	v_mul_f32_e64 v1, |v0|, s8
	v_floor_f32_e32 v1, v1
	s_mov_b32 s8, 0xcf800000
	v_fma_f32 v2, v1, s8, |v0|
	v_cvt_u32_f32_e32 v2, v2
	v_cvt_u32_f32_e32 v1, v1
	v_ashrrev_i32_e32 v3, 31, v0
	v_xor_b32_e32 v0, v2, v3
	v_xor_b32_e32 v1, v1, v3
	v_sub_co_u32_e32 v0, vcc, v0, v3
	v_subb_co_u32_e32 v1, vcc, v1, v3, vcc
.LBB127_2094:
	global_store_dwordx2 v[5:6], v[0:1], off
	s_mov_b64 s[8:9], 0
.LBB127_2095:
	s_and_b64 vcc, exec, s[8:9]
	s_cbranch_vccz .LBB127_2104
; %bb.2096:
	s_and_b32 s12, s16, 0xff
	s_cmpk_lt_i32 s12, 0x80
	s_cbranch_scc1 .LBB127_2098
; %bb.2097:
	s_and_b32 s8, 0xffff, s12
	s_cmpk_lg_i32 s8, 0x80
	s_mov_b64 s[10:11], 0
	s_cselect_b64 s[8:9], -1, 0
	s_branch .LBB127_2099
.LBB127_2098:
	s_mov_b64 s[10:11], -1
	s_mov_b64 s[8:9], 0
.LBB127_2099:
	s_andn2_b64 vcc, exec, s[10:11]
	s_cbranch_vccnz .LBB127_2101
; %bb.2100:
	s_and_b32 s8, 0xffff, s12
	s_cmp_lg_u32 s8, 0
	s_cselect_b64 s[8:9], -1, 0
.LBB127_2101:
	s_andn2_b64 vcc, exec, s[8:9]
	v_mov_b32_e32 v0, 0
	s_cbranch_vccnz .LBB127_2103
; %bb.2102:
	s_and_b32 s9, s16, 3
	s_flbit_i32_b32 s11, s9
	s_min_u32 s11, s11, 32
	s_sub_i32 s12, s11, 29
	s_lshl_b32 s12, s16, s12
	s_lshl_b32 s8, s16, 24
	s_bfe_u32 s10, s16, 0x50002
	s_sub_i32 s11, 30, s11
	s_and_b32 s12, s12, 3
	s_cmp_eq_u32 s10, 0
	s_cselect_b32 s10, s11, s10
	s_cselect_b32 s9, s12, s9
	s_lshl_b32 s10, s10, 23
	s_and_b32 s8, s8, 0x80000000
	s_add_i32 s10, s10, 0x37800000
	s_lshl_b32 s9, s9, 21
	s_or_b32 s8, s8, s10
	s_or_b32 s8, s8, s9
	v_cvt_i32_f32_e32 v0, s8
.LBB127_2103:
	global_store_dword v[5:6], v0, off
.LBB127_2104:
	s_mov_b64 s[8:9], 0
.LBB127_2105:
	s_andn2_b64 vcc, exec, s[8:9]
	s_cbranch_vccnz .LBB127_2114
; %bb.2106:
	s_and_b32 s12, s16, 0xff
	s_cmpk_lt_i32 s12, 0x80
	s_cbranch_scc1 .LBB127_2108
; %bb.2107:
	s_and_b32 s8, 0xffff, s12
	s_cmpk_lg_i32 s8, 0x80
	s_mov_b64 s[10:11], 0
	s_cselect_b64 s[8:9], -1, 0
	s_branch .LBB127_2109
.LBB127_2108:
	s_mov_b64 s[10:11], -1
	s_mov_b64 s[8:9], 0
.LBB127_2109:
	s_andn2_b64 vcc, exec, s[10:11]
	s_cbranch_vccnz .LBB127_2111
; %bb.2110:
	s_and_b32 s8, 0xffff, s12
	s_cmp_lg_u32 s8, 0
	s_cselect_b64 s[8:9], -1, 0
.LBB127_2111:
	s_andn2_b64 vcc, exec, s[8:9]
	v_mov_b32_e32 v0, 0
	s_cbranch_vccnz .LBB127_2113
; %bb.2112:
	s_and_b32 s9, s16, 3
	s_flbit_i32_b32 s11, s9
	s_min_u32 s11, s11, 32
	s_sub_i32 s12, s11, 29
	s_lshl_b32 s12, s16, s12
	s_lshl_b32 s8, s16, 24
	s_bfe_u32 s10, s16, 0x50002
	s_sub_i32 s11, 30, s11
	s_and_b32 s12, s12, 3
	s_cmp_eq_u32 s10, 0
	s_cselect_b32 s10, s11, s10
	s_cselect_b32 s9, s12, s9
	s_lshl_b32 s10, s10, 23
	s_and_b32 s8, s8, 0x80000000
	s_add_i32 s10, s10, 0x37800000
	s_lshl_b32 s9, s9, 21
	s_or_b32 s8, s8, s10
	s_or_b32 s8, s8, s9
	v_cvt_i32_f32_e32 v0, s8
.LBB127_2113:
	global_store_short v[5:6], v0, off
.LBB127_2114:
	s_mov_b64 s[8:9], 0
.LBB127_2115:
	s_andn2_b64 vcc, exec, s[8:9]
	s_cbranch_vccnz .LBB127_2134
; %bb.2116:
	s_cmp_gt_i32 s17, 0
	s_mov_b64 s[8:9], -1
	s_cbranch_scc0 .LBB127_2125
; %bb.2117:
	s_and_b32 s12, s16, 0xff
	s_cmpk_lt_i32 s12, 0x80
	s_cbranch_scc1 .LBB127_2119
; %bb.2118:
	s_and_b32 s8, 0xffff, s12
	s_cmpk_lg_i32 s8, 0x80
	s_mov_b64 s[10:11], 0
	s_cselect_b64 s[8:9], -1, 0
	s_branch .LBB127_2120
.LBB127_2119:
	s_mov_b64 s[10:11], -1
	s_mov_b64 s[8:9], 0
.LBB127_2120:
	s_andn2_b64 vcc, exec, s[10:11]
	s_cbranch_vccnz .LBB127_2122
; %bb.2121:
	s_and_b32 s8, 0xffff, s12
	s_cmp_lg_u32 s8, 0
	s_cselect_b64 s[8:9], -1, 0
.LBB127_2122:
	s_andn2_b64 vcc, exec, s[8:9]
	v_mov_b32_e32 v0, 0
	s_cbranch_vccnz .LBB127_2124
; %bb.2123:
	s_and_b32 s9, s16, 3
	s_flbit_i32_b32 s11, s9
	s_min_u32 s11, s11, 32
	s_sub_i32 s12, s11, 29
	s_lshl_b32 s12, s16, s12
	s_lshl_b32 s8, s16, 24
	s_bfe_u32 s10, s16, 0x50002
	s_sub_i32 s11, 30, s11
	s_and_b32 s12, s12, 3
	s_cmp_eq_u32 s10, 0
	s_cselect_b32 s10, s11, s10
	s_cselect_b32 s9, s12, s9
	s_lshl_b32 s10, s10, 23
	s_and_b32 s8, s8, 0x80000000
	s_add_i32 s10, s10, 0x37800000
	s_lshl_b32 s9, s9, 21
	s_or_b32 s8, s8, s10
	s_or_b32 s8, s8, s9
	v_cvt_i32_f32_e32 v0, s8
.LBB127_2124:
	global_store_byte v[5:6], v0, off
	s_mov_b64 s[8:9], 0
.LBB127_2125:
	s_and_b64 vcc, exec, s[8:9]
	s_cbranch_vccz .LBB127_2134
; %bb.2126:
	s_and_b32 s12, s16, 0xff
	s_cmpk_lt_i32 s12, 0x80
	s_cbranch_scc1 .LBB127_2128
; %bb.2127:
	s_and_b32 s8, 0xffff, s12
	s_cmpk_lg_i32 s8, 0x80
	s_mov_b64 s[10:11], 0
	s_cselect_b64 s[8:9], -1, 0
	s_branch .LBB127_2129
.LBB127_2128:
	s_mov_b64 s[10:11], -1
	s_mov_b64 s[8:9], 0
.LBB127_2129:
	s_andn2_b64 vcc, exec, s[10:11]
	s_cbranch_vccnz .LBB127_2131
; %bb.2130:
	s_and_b32 s8, 0xffff, s12
	s_cmp_lg_u32 s8, 0
	s_cselect_b64 s[8:9], -1, 0
.LBB127_2131:
	s_andn2_b64 vcc, exec, s[8:9]
	v_mov_b32_e32 v0, 0
	s_cbranch_vccnz .LBB127_2133
; %bb.2132:
	s_and_b32 s9, s16, 3
	s_flbit_i32_b32 s11, s9
	s_min_u32 s11, s11, 32
	s_sub_i32 s12, s11, 29
	s_lshl_b32 s12, s16, s12
	s_lshl_b32 s8, s16, 24
	s_bfe_u32 s10, s16, 0x50002
	s_sub_i32 s11, 30, s11
	s_and_b32 s12, s12, 3
	s_cmp_eq_u32 s10, 0
	s_cselect_b32 s10, s11, s10
	s_cselect_b32 s9, s12, s9
	s_lshl_b32 s10, s10, 23
	s_and_b32 s8, s8, 0x80000000
	s_add_i32 s10, s10, 0x37800000
	s_lshl_b32 s9, s9, 21
	s_or_b32 s8, s8, s10
	s_or_b32 s8, s8, s9
	v_trunc_f32_e32 v0, s8
	s_mov_b32 s8, 0x2f800000
	v_mul_f32_e64 v1, |v0|, s8
	v_floor_f32_e32 v1, v1
	s_mov_b32 s8, 0xcf800000
	v_fma_f32 v1, v1, s8, |v0|
	v_cvt_u32_f32_e32 v1, v1
	v_ashrrev_i32_e32 v0, 31, v0
	v_xor_b32_e32 v1, v1, v0
	v_sub_u32_e32 v0, v1, v0
.LBB127_2133:
	global_store_byte v[5:6], v0, off
.LBB127_2134:
	s_branch .LBB127_1852
.LBB127_2135:
	s_mov_b64 s[2:3], 0
	s_mov_b64 s[4:5], 0
                                        ; implicit-def: $vgpr4_vgpr5
                                        ; implicit-def: $sgpr12
.LBB127_2136:
	s_and_b64 s[28:29], s[4:5], exec
	s_andn2_b64 s[4:5], s[6:7], exec
	s_and_b64 s[0:1], s[0:1], exec
	s_and_b64 s[2:3], s[2:3], exec
	s_or_b64 s[6:7], s[4:5], s[0:1]
.LBB127_2137:
	s_or_b64 exec, exec, s[26:27]
	s_and_saveexec_b64 s[0:1], s[6:7]
	s_cbranch_execz .LBB127_2140
; %bb.2138:
	; divergent unreachable
	s_or_b64 exec, exec, s[0:1]
	s_and_saveexec_b64 s[0:1], s[28:29]
	s_xor_b64 s[0:1], exec, s[0:1]
	s_cbranch_execnz .LBB127_2141
.LBB127_2139:
	s_or_b64 exec, exec, s[0:1]
	s_and_saveexec_b64 s[0:1], s[2:3]
	s_cbranch_execnz .LBB127_2142
	s_branch .LBB127_2264
.LBB127_2140:
	s_or_b64 exec, exec, s[0:1]
	s_and_saveexec_b64 s[0:1], s[28:29]
	s_xor_b64 s[0:1], exec, s[0:1]
	s_cbranch_execz .LBB127_2139
.LBB127_2141:
	s_and_b32 s4, s16, 0xff
	s_cmp_lg_u32 s4, 0
	s_cselect_b64 s[4:5], -1, 0
	v_cndmask_b32_e64 v0, 0, 1, s[4:5]
	global_store_byte v[4:5], v0, off
	s_or_b64 exec, exec, s[0:1]
	s_and_saveexec_b64 s[0:1], s[2:3]
	s_cbranch_execz .LBB127_2264
.LBB127_2142:
	s_sext_i32_i16 s2, s12
	s_cmp_lt_i32 s2, 5
	s_mov_b64 s[0:1], -1
	s_cbranch_scc1 .LBB127_2219
; %bb.2143:
	s_cmp_lt_i32 s2, 8
	s_cbranch_scc1 .LBB127_2175
; %bb.2144:
	s_cmp_lt_i32 s2, 9
	s_cbranch_scc1 .LBB127_2169
; %bb.2145:
	s_cmp_gt_i32 s2, 9
	s_cbranch_scc0 .LBB127_2157
; %bb.2146:
	s_and_b32 s4, s16, 0xff
	s_cmpk_lt_i32 s4, 0x80
	s_cbranch_scc1 .LBB127_2150
; %bb.2147:
	s_and_b32 s0, 0xffff, s4
	s_cmpk_eq_i32 s0, 0x80
	s_mov_b64 s[0:1], -1
	s_cbranch_scc0 .LBB127_2149
; %bb.2148:
	s_mov_b64 s[0:1], 0
.LBB127_2149:
	s_mov_b64 s[2:3], 0
	s_branch .LBB127_2151
.LBB127_2150:
	s_mov_b64 s[2:3], -1
	s_mov_b64 s[0:1], 0
.LBB127_2151:
	s_and_b64 vcc, exec, s[2:3]
	s_cbranch_vccz .LBB127_2153
; %bb.2152:
	s_and_b32 s0, 0xffff, s4
	s_cmp_lg_u32 s0, 0
	s_mov_b64 s[2:3], 0
	s_cselect_b64 s[0:1], -1, 0
	s_branch .LBB127_2154
.LBB127_2153:
	s_mov_b32 s3, 0x7ff80000
	s_brev_b32 s2, 4
.LBB127_2154:
	v_mov_b32_e32 v0, s2
	s_andn2_b64 vcc, exec, s[0:1]
	v_mov_b32_e32 v1, s3
	s_cbranch_vccnz .LBB127_2156
; %bb.2155:
	s_and_b32 s1, s16, 3
	s_flbit_i32_b32 s3, s1
	s_min_u32 s3, s3, 32
	s_sub_i32 s4, s3, 29
	s_lshl_b32 s4, s16, s4
	s_lshl_b32 s0, s16, 24
	s_bfe_u32 s2, s16, 0x50002
	s_sub_i32 s3, 30, s3
	s_and_b32 s4, s4, 3
	s_cmp_eq_u32 s2, 0
	s_cselect_b32 s2, s3, s2
	s_cselect_b32 s1, s4, s1
	s_lshl_b32 s2, s2, 23
	s_and_b32 s0, s0, 0x80000000
	s_add_i32 s2, s2, 0x37800000
	s_lshl_b32 s1, s1, 21
	s_or_b32 s0, s0, s2
	s_or_b32 s0, s0, s1
	v_cvt_f64_f32_e32 v[0:1], s0
.LBB127_2156:
	v_mov_b32_e32 v2, 0
	v_mov_b32_e32 v3, v2
	global_store_dwordx4 v[4:5], v[0:3], off
	s_mov_b64 s[0:1], 0
.LBB127_2157:
	s_and_b64 vcc, exec, s[0:1]
	s_cbranch_vccz .LBB127_2168
; %bb.2158:
	s_and_b32 s4, s16, 0xff
	s_cmpk_lt_i32 s4, 0x80
	s_cbranch_scc1 .LBB127_2162
; %bb.2159:
	s_and_b32 s0, 0xffff, s4
	s_cmpk_eq_i32 s0, 0x80
	s_mov_b64 s[0:1], -1
	s_cbranch_scc0 .LBB127_2161
; %bb.2160:
	s_mov_b64 s[0:1], 0
.LBB127_2161:
	s_mov_b64 s[2:3], 0
	s_branch .LBB127_2163
.LBB127_2162:
	s_mov_b64 s[2:3], -1
	s_mov_b64 s[0:1], 0
.LBB127_2163:
	s_mov_b32 s5, 0x7f800001
	s_and_b64 vcc, exec, s[2:3]
	s_cbranch_vccz .LBB127_2165
; %bb.2164:
	s_and_b32 s5, 0xffff, s4
	s_cmp_lg_u32 s5, 0
	s_cselect_b64 s[0:1], -1, 0
.LBB127_2165:
	s_andn2_b64 vcc, exec, s[0:1]
	s_cbranch_vccnz .LBB127_2167
; %bb.2166:
	s_and_b32 s1, s16, 3
	s_flbit_i32_b32 s3, s1
	s_min_u32 s3, s3, 32
	s_sub_i32 s4, s3, 29
	s_lshl_b32 s4, s16, s4
	s_lshl_b32 s0, s16, 24
	s_bfe_u32 s2, s16, 0x50002
	s_sub_i32 s3, 30, s3
	s_and_b32 s4, s4, 3
	s_cmp_eq_u32 s2, 0
	s_cselect_b32 s2, s3, s2
	s_cselect_b32 s1, s4, s1
	s_lshl_b32 s2, s2, 23
	s_and_b32 s0, s0, 0x80000000
	s_add_i32 s2, s2, 0x37800000
	s_lshl_b32 s1, s1, 21
	s_or_b32 s0, s0, s2
	s_or_b32 s5, s0, s1
.LBB127_2167:
	v_mov_b32_e32 v0, s5
	v_mov_b32_e32 v1, 0
	global_store_dwordx2 v[4:5], v[0:1], off
.LBB127_2168:
	s_mov_b64 s[0:1], 0
.LBB127_2169:
	s_andn2_b64 vcc, exec, s[0:1]
	s_cbranch_vccnz .LBB127_2174
; %bb.2170:
	s_and_b32 s4, s16, 0xff
	s_cmpk_lt_i32 s4, 0x80
	s_cbranch_scc1 .LBB127_2182
; %bb.2171:
	s_and_b32 s0, 0xffff, s4
	s_cmpk_eq_i32 s0, 0x80
	s_mov_b64 s[0:1], -1
	s_cbranch_scc0 .LBB127_2173
; %bb.2172:
	s_mov_b64 s[0:1], 0
.LBB127_2173:
	s_mov_b64 s[2:3], 0
	s_branch .LBB127_2183
.LBB127_2174:
	s_mov_b64 s[0:1], 0
.LBB127_2175:
	s_andn2_b64 vcc, exec, s[0:1]
	s_cbranch_vccnz .LBB127_2218
.LBB127_2176:
	s_sext_i32_i16 s2, s12
	s_cmp_lt_i32 s2, 6
	s_mov_b64 s[0:1], -1
	s_cbranch_scc1 .LBB127_2207
; %bb.2177:
	s_cmp_gt_i32 s2, 6
	s_cbranch_scc0 .LBB127_2195
; %bb.2178:
	s_and_b32 s4, s16, 0xff
	s_cmpk_lt_i32 s4, 0x80
	s_cbranch_scc1 .LBB127_2188
; %bb.2179:
	s_and_b32 s0, 0xffff, s4
	s_cmpk_eq_i32 s0, 0x80
	s_mov_b64 s[0:1], -1
	s_cbranch_scc0 .LBB127_2181
; %bb.2180:
	s_mov_b64 s[0:1], 0
.LBB127_2181:
	s_mov_b64 s[2:3], 0
	s_branch .LBB127_2189
.LBB127_2182:
	s_mov_b64 s[2:3], -1
	s_mov_b64 s[0:1], 0
.LBB127_2183:
	s_movk_i32 s5, 0x7e00
	s_and_b64 vcc, exec, s[2:3]
	s_cbranch_vccz .LBB127_2185
; %bb.2184:
	s_and_b32 s5, 0xffff, s4
	s_cmp_lg_u32 s5, 0
	s_cselect_b64 s[0:1], -1, 0
.LBB127_2185:
	s_andn2_b64 vcc, exec, s[0:1]
	v_mov_b32_e32 v0, s5
	s_cbranch_vccnz .LBB127_2187
; %bb.2186:
	s_and_b32 s1, s16, 3
	s_flbit_i32_b32 s3, s1
	s_min_u32 s3, s3, 32
	s_sub_i32 s4, s3, 29
	s_lshl_b32 s4, s16, s4
	s_lshl_b32 s0, s16, 24
	s_bfe_u32 s2, s16, 0x50002
	s_sub_i32 s3, 30, s3
	s_and_b32 s4, s4, 3
	s_cmp_eq_u32 s2, 0
	s_cselect_b32 s2, s3, s2
	s_cselect_b32 s1, s4, s1
	s_lshl_b32 s2, s2, 23
	s_and_b32 s0, s0, 0x80000000
	s_add_i32 s2, s2, 0x37800000
	s_lshl_b32 s1, s1, 21
	s_or_b32 s0, s0, s2
	s_or_b32 s0, s0, s1
	v_cvt_f16_f32_e32 v0, s0
.LBB127_2187:
	global_store_dword v[4:5], v0, off
	s_cbranch_execz .LBB127_2176
	s_branch .LBB127_2218
.LBB127_2188:
	s_mov_b64 s[2:3], -1
	s_mov_b64 s[0:1], 0
.LBB127_2189:
	s_and_b64 vcc, exec, s[2:3]
	s_cbranch_vccz .LBB127_2191
; %bb.2190:
	s_and_b32 s0, 0xffff, s4
	s_cmp_lg_u32 s0, 0
	s_mov_b64 s[2:3], 0
	s_cselect_b64 s[0:1], -1, 0
	s_branch .LBB127_2192
.LBB127_2191:
	s_mov_b32 s3, 0x7ff80000
	s_brev_b32 s2, 4
.LBB127_2192:
	v_mov_b32_e32 v0, s2
	s_andn2_b64 vcc, exec, s[0:1]
	v_mov_b32_e32 v1, s3
	s_cbranch_vccnz .LBB127_2194
; %bb.2193:
	s_and_b32 s1, s16, 3
	s_flbit_i32_b32 s3, s1
	s_min_u32 s3, s3, 32
	s_sub_i32 s4, s3, 29
	s_lshl_b32 s4, s16, s4
	s_lshl_b32 s0, s16, 24
	s_bfe_u32 s2, s16, 0x50002
	s_sub_i32 s3, 30, s3
	s_and_b32 s4, s4, 3
	s_cmp_eq_u32 s2, 0
	s_cselect_b32 s2, s3, s2
	s_cselect_b32 s1, s4, s1
	s_lshl_b32 s2, s2, 23
	s_and_b32 s0, s0, 0x80000000
	s_add_i32 s2, s2, 0x37800000
	s_lshl_b32 s1, s1, 21
	s_or_b32 s0, s0, s2
	s_or_b32 s0, s0, s1
	v_cvt_f64_f32_e32 v[0:1], s0
.LBB127_2194:
	global_store_dwordx2 v[4:5], v[0:1], off
	s_mov_b64 s[0:1], 0
.LBB127_2195:
	s_and_b64 vcc, exec, s[0:1]
	s_cbranch_vccz .LBB127_2206
; %bb.2196:
	s_and_b32 s4, s16, 0xff
	s_cmpk_lt_i32 s4, 0x80
	s_cbranch_scc1 .LBB127_2200
; %bb.2197:
	s_and_b32 s0, 0xffff, s4
	s_cmpk_eq_i32 s0, 0x80
	s_mov_b64 s[0:1], -1
	s_cbranch_scc0 .LBB127_2199
; %bb.2198:
	s_mov_b64 s[0:1], 0
.LBB127_2199:
	s_mov_b64 s[2:3], 0
	s_branch .LBB127_2201
.LBB127_2200:
	s_mov_b64 s[2:3], -1
	s_mov_b64 s[0:1], 0
.LBB127_2201:
	s_mov_b32 s5, 0x7f800001
	s_and_b64 vcc, exec, s[2:3]
	s_cbranch_vccz .LBB127_2203
; %bb.2202:
	s_and_b32 s5, 0xffff, s4
	s_cmp_lg_u32 s5, 0
	s_cselect_b64 s[0:1], -1, 0
.LBB127_2203:
	s_andn2_b64 vcc, exec, s[0:1]
	s_cbranch_vccnz .LBB127_2205
; %bb.2204:
	s_and_b32 s1, s16, 3
	s_flbit_i32_b32 s3, s1
	s_min_u32 s3, s3, 32
	s_sub_i32 s4, s3, 29
	s_lshl_b32 s4, s16, s4
	s_lshl_b32 s0, s16, 24
	s_bfe_u32 s2, s16, 0x50002
	s_sub_i32 s3, 30, s3
	s_and_b32 s4, s4, 3
	s_cmp_eq_u32 s2, 0
	s_cselect_b32 s2, s3, s2
	s_cselect_b32 s1, s4, s1
	s_lshl_b32 s2, s2, 23
	s_and_b32 s0, s0, 0x80000000
	s_add_i32 s2, s2, 0x37800000
	s_lshl_b32 s1, s1, 21
	s_or_b32 s0, s0, s2
	s_or_b32 s5, s0, s1
.LBB127_2205:
	v_mov_b32_e32 v0, s5
	global_store_dword v[4:5], v0, off
.LBB127_2206:
	s_mov_b64 s[0:1], 0
.LBB127_2207:
	s_andn2_b64 vcc, exec, s[0:1]
	s_cbranch_vccnz .LBB127_2218
; %bb.2208:
	s_and_b32 s4, s16, 0xff
	s_cmpk_lt_i32 s4, 0x80
	s_cbranch_scc1 .LBB127_2212
; %bb.2209:
	s_and_b32 s0, 0xffff, s4
	s_cmpk_eq_i32 s0, 0x80
	s_mov_b64 s[0:1], -1
	s_cbranch_scc0 .LBB127_2211
; %bb.2210:
	s_mov_b64 s[0:1], 0
.LBB127_2211:
	s_mov_b64 s[2:3], 0
	s_branch .LBB127_2213
.LBB127_2212:
	s_mov_b64 s[2:3], -1
	s_mov_b64 s[0:1], 0
.LBB127_2213:
	s_movk_i32 s5, 0x7e00
	s_and_b64 vcc, exec, s[2:3]
	s_cbranch_vccz .LBB127_2215
; %bb.2214:
	s_and_b32 s0, 0xffff, s4
	s_cmp_lg_u32 s0, 0
	s_cselect_b64 s[0:1], -1, 0
	s_mov_b32 s5, s4
.LBB127_2215:
	s_andn2_b64 vcc, exec, s[0:1]
	v_mov_b32_e32 v0, s5
	s_cbranch_vccnz .LBB127_2217
; %bb.2216:
	s_and_b32 s1, s16, 3
	s_flbit_i32_b32 s3, s1
	s_min_u32 s3, s3, 32
	s_sub_i32 s4, s3, 29
	s_lshl_b32 s4, s16, s4
	s_lshl_b32 s0, s16, 24
	s_bfe_u32 s2, s16, 0x50002
	s_sub_i32 s3, 30, s3
	s_and_b32 s4, s4, 3
	s_cmp_eq_u32 s2, 0
	s_cselect_b32 s2, s3, s2
	s_cselect_b32 s1, s4, s1
	s_lshl_b32 s2, s2, 23
	s_and_b32 s0, s0, 0x80000000
	s_add_i32 s2, s2, 0x37800000
	s_lshl_b32 s1, s1, 21
	s_or_b32 s0, s0, s2
	s_or_b32 s0, s0, s1
	v_cvt_f16_f32_e32 v0, s0
.LBB127_2217:
	global_store_short v[4:5], v0, off
.LBB127_2218:
	s_mov_b64 s[0:1], 0
.LBB127_2219:
	s_andn2_b64 vcc, exec, s[0:1]
	s_cbranch_vccnz .LBB127_2264
; %bb.2220:
	s_sext_i32_i16 s2, s12
	s_cmp_lt_i32 s2, 2
	s_mov_b64 s[0:1], -1
	s_cbranch_scc1 .LBB127_2245
; %bb.2221:
	s_cmp_lt_i32 s2, 3
	s_cbranch_scc1 .LBB127_2241
; %bb.2222:
	s_cmp_gt_i32 s2, 3
	s_cbranch_scc0 .LBB127_2231
; %bb.2223:
	s_and_b32 s4, s16, 0xff
	s_cmpk_lt_i32 s4, 0x80
	s_cbranch_scc1 .LBB127_2225
; %bb.2224:
	s_and_b32 s0, 0xffff, s4
	s_cmpk_lg_i32 s0, 0x80
	s_mov_b64 s[2:3], 0
	s_cselect_b64 s[0:1], -1, 0
	s_branch .LBB127_2226
.LBB127_2225:
	s_mov_b64 s[2:3], -1
	s_mov_b64 s[0:1], 0
.LBB127_2226:
	s_andn2_b64 vcc, exec, s[2:3]
	s_cbranch_vccnz .LBB127_2228
; %bb.2227:
	s_and_b32 s0, 0xffff, s4
	s_cmp_lg_u32 s0, 0
	s_cselect_b64 s[0:1], -1, 0
.LBB127_2228:
	v_mov_b32_e32 v0, 0
	s_andn2_b64 vcc, exec, s[0:1]
	v_mov_b32_e32 v1, 0
	s_cbranch_vccnz .LBB127_2230
; %bb.2229:
	s_and_b32 s1, s16, 3
	s_flbit_i32_b32 s3, s1
	s_min_u32 s3, s3, 32
	s_sub_i32 s4, s3, 29
	s_lshl_b32 s4, s16, s4
	s_lshl_b32 s0, s16, 24
	s_bfe_u32 s2, s16, 0x50002
	s_sub_i32 s3, 30, s3
	s_and_b32 s4, s4, 3
	s_cmp_eq_u32 s2, 0
	s_cselect_b32 s2, s3, s2
	s_cselect_b32 s1, s4, s1
	s_lshl_b32 s2, s2, 23
	s_and_b32 s0, s0, 0x80000000
	s_add_i32 s2, s2, 0x37800000
	s_lshl_b32 s1, s1, 21
	s_or_b32 s0, s0, s2
	s_or_b32 s0, s0, s1
	v_trunc_f32_e32 v0, s0
	s_mov_b32 s0, 0x2f800000
	v_mul_f32_e64 v1, |v0|, s0
	v_floor_f32_e32 v1, v1
	s_mov_b32 s0, 0xcf800000
	v_fma_f32 v2, v1, s0, |v0|
	v_cvt_u32_f32_e32 v2, v2
	v_cvt_u32_f32_e32 v1, v1
	v_ashrrev_i32_e32 v3, 31, v0
	v_xor_b32_e32 v0, v2, v3
	v_xor_b32_e32 v1, v1, v3
	v_sub_co_u32_e32 v0, vcc, v0, v3
	v_subb_co_u32_e32 v1, vcc, v1, v3, vcc
.LBB127_2230:
	global_store_dwordx2 v[4:5], v[0:1], off
	s_mov_b64 s[0:1], 0
.LBB127_2231:
	s_and_b64 vcc, exec, s[0:1]
	s_cbranch_vccz .LBB127_2240
; %bb.2232:
	s_and_b32 s4, s16, 0xff
	s_cmpk_lt_i32 s4, 0x80
	s_cbranch_scc1 .LBB127_2234
; %bb.2233:
	s_and_b32 s0, 0xffff, s4
	s_cmpk_lg_i32 s0, 0x80
	s_mov_b64 s[2:3], 0
	s_cselect_b64 s[0:1], -1, 0
	s_branch .LBB127_2235
.LBB127_2234:
	s_mov_b64 s[2:3], -1
	s_mov_b64 s[0:1], 0
.LBB127_2235:
	s_andn2_b64 vcc, exec, s[2:3]
	s_cbranch_vccnz .LBB127_2237
; %bb.2236:
	s_and_b32 s0, 0xffff, s4
	s_cmp_lg_u32 s0, 0
	s_cselect_b64 s[0:1], -1, 0
.LBB127_2237:
	s_andn2_b64 vcc, exec, s[0:1]
	v_mov_b32_e32 v0, 0
	s_cbranch_vccnz .LBB127_2239
; %bb.2238:
	s_and_b32 s1, s16, 3
	s_flbit_i32_b32 s3, s1
	s_min_u32 s3, s3, 32
	s_sub_i32 s4, s3, 29
	s_lshl_b32 s4, s16, s4
	s_lshl_b32 s0, s16, 24
	s_bfe_u32 s2, s16, 0x50002
	s_sub_i32 s3, 30, s3
	s_and_b32 s4, s4, 3
	s_cmp_eq_u32 s2, 0
	s_cselect_b32 s2, s3, s2
	s_cselect_b32 s1, s4, s1
	s_lshl_b32 s2, s2, 23
	s_and_b32 s0, s0, 0x80000000
	s_add_i32 s2, s2, 0x37800000
	s_lshl_b32 s1, s1, 21
	s_or_b32 s0, s0, s2
	s_or_b32 s0, s0, s1
	v_cvt_i32_f32_e32 v0, s0
.LBB127_2239:
	global_store_dword v[4:5], v0, off
.LBB127_2240:
	s_mov_b64 s[0:1], 0
.LBB127_2241:
	s_andn2_b64 vcc, exec, s[0:1]
	s_cbranch_vccnz .LBB127_2244
; %bb.2242:
	s_and_b32 s4, s16, 0xff
	s_cmpk_lt_i32 s4, 0x80
	s_cbranch_scc1 .LBB127_2249
; %bb.2243:
	s_and_b32 s0, 0xffff, s4
	s_cmpk_lg_i32 s0, 0x80
	s_mov_b64 s[2:3], 0
	s_cselect_b64 s[0:1], -1, 0
	s_branch .LBB127_2250
.LBB127_2244:
	s_mov_b64 s[0:1], 0
.LBB127_2245:
	s_andn2_b64 vcc, exec, s[0:1]
	s_cbranch_vccnz .LBB127_2264
.LBB127_2246:
	s_sext_i32_i16 s0, s12
	s_cmp_gt_i32 s0, 0
	s_mov_b64 s[0:1], -1
	s_cbranch_scc0 .LBB127_2261
; %bb.2247:
	s_and_b32 s4, s16, 0xff
	s_cmpk_lt_i32 s4, 0x80
	s_cbranch_scc1 .LBB127_2255
; %bb.2248:
	s_and_b32 s0, 0xffff, s4
	s_cmpk_lg_i32 s0, 0x80
	s_mov_b64 s[2:3], 0
	s_cselect_b64 s[0:1], -1, 0
	s_branch .LBB127_2256
.LBB127_2249:
	s_mov_b64 s[2:3], -1
	s_mov_b64 s[0:1], 0
.LBB127_2250:
	s_andn2_b64 vcc, exec, s[2:3]
	s_cbranch_vccnz .LBB127_2252
; %bb.2251:
	s_and_b32 s0, 0xffff, s4
	s_cmp_lg_u32 s0, 0
	s_cselect_b64 s[0:1], -1, 0
.LBB127_2252:
	s_andn2_b64 vcc, exec, s[0:1]
	v_mov_b32_e32 v0, 0
	s_cbranch_vccnz .LBB127_2254
; %bb.2253:
	s_and_b32 s1, s16, 3
	s_flbit_i32_b32 s3, s1
	s_min_u32 s3, s3, 32
	s_sub_i32 s4, s3, 29
	s_lshl_b32 s4, s16, s4
	s_lshl_b32 s0, s16, 24
	s_bfe_u32 s2, s16, 0x50002
	s_sub_i32 s3, 30, s3
	s_and_b32 s4, s4, 3
	s_cmp_eq_u32 s2, 0
	s_cselect_b32 s2, s3, s2
	s_cselect_b32 s1, s4, s1
	s_lshl_b32 s2, s2, 23
	s_and_b32 s0, s0, 0x80000000
	s_add_i32 s2, s2, 0x37800000
	s_lshl_b32 s1, s1, 21
	s_or_b32 s0, s0, s2
	s_or_b32 s0, s0, s1
	v_cvt_i32_f32_e32 v0, s0
.LBB127_2254:
	global_store_short v[4:5], v0, off
	s_cbranch_execnz .LBB127_2264
	s_branch .LBB127_2246
.LBB127_2255:
	s_mov_b64 s[2:3], -1
	s_mov_b64 s[0:1], 0
.LBB127_2256:
	s_andn2_b64 vcc, exec, s[2:3]
	s_cbranch_vccnz .LBB127_2258
; %bb.2257:
	s_and_b32 s0, 0xffff, s4
	s_cmp_lg_u32 s0, 0
	s_cselect_b64 s[0:1], -1, 0
.LBB127_2258:
	s_andn2_b64 vcc, exec, s[0:1]
	v_mov_b32_e32 v0, 0
	s_cbranch_vccnz .LBB127_2260
; %bb.2259:
	s_and_b32 s1, s16, 3
	s_flbit_i32_b32 s3, s1
	s_min_u32 s3, s3, 32
	s_sub_i32 s4, s3, 29
	s_lshl_b32 s4, s16, s4
	s_lshl_b32 s0, s16, 24
	s_bfe_u32 s2, s16, 0x50002
	s_sub_i32 s3, 30, s3
	s_and_b32 s4, s4, 3
	s_cmp_eq_u32 s2, 0
	s_cselect_b32 s2, s3, s2
	s_cselect_b32 s1, s4, s1
	s_lshl_b32 s2, s2, 23
	s_and_b32 s0, s0, 0x80000000
	s_add_i32 s2, s2, 0x37800000
	s_lshl_b32 s1, s1, 21
	s_or_b32 s0, s0, s2
	s_or_b32 s0, s0, s1
	v_cvt_i32_f32_e32 v0, s0
.LBB127_2260:
	global_store_byte v[4:5], v0, off
	s_mov_b64 s[0:1], 0
.LBB127_2261:
	s_and_b64 vcc, exec, s[0:1]
	s_cbranch_vccz .LBB127_2264
; %bb.2262:
	s_and_b32 s4, s16, 0xff
	s_cmpk_lt_i32 s4, 0x80
	s_cbranch_scc1 .LBB127_2265
; %bb.2263:
	s_and_b32 s0, 0xffff, s4
	s_cmpk_lg_i32 s0, 0x80
	s_mov_b64 s[2:3], 0
	s_cselect_b64 s[0:1], -1, 0
	s_branch .LBB127_2266
.LBB127_2264:
	s_endpgm
.LBB127_2265:
	s_mov_b64 s[2:3], -1
	s_mov_b64 s[0:1], 0
.LBB127_2266:
	s_andn2_b64 vcc, exec, s[2:3]
	s_cbranch_vccnz .LBB127_2268
; %bb.2267:
	s_and_b32 s0, 0xffff, s4
	s_cmp_lg_u32 s0, 0
	s_cselect_b64 s[0:1], -1, 0
.LBB127_2268:
	s_andn2_b64 vcc, exec, s[0:1]
	v_mov_b32_e32 v0, 0
	s_cbranch_vccnz .LBB127_2270
; %bb.2269:
	s_and_b32 s1, s16, 3
	s_flbit_i32_b32 s3, s1
	s_min_u32 s3, s3, 32
	s_sub_i32 s4, s3, 29
	s_lshl_b32 s4, s16, s4
	s_lshl_b32 s0, s16, 24
	s_bfe_u32 s2, s16, 0x50002
	s_sub_i32 s3, 30, s3
	s_and_b32 s4, s4, 3
	s_cmp_eq_u32 s2, 0
	s_cselect_b32 s2, s3, s2
	s_cselect_b32 s1, s4, s1
	s_lshl_b32 s2, s2, 23
	s_and_b32 s0, s0, 0x80000000
	s_add_i32 s2, s2, 0x37800000
	s_lshl_b32 s1, s1, 21
	s_or_b32 s0, s0, s2
	s_or_b32 s0, s0, s1
	v_trunc_f32_e32 v0, s0
	s_mov_b32 s0, 0x2f800000
	v_mul_f32_e64 v1, |v0|, s0
	v_floor_f32_e32 v1, v1
	s_mov_b32 s0, 0xcf800000
	v_fma_f32 v1, v1, s0, |v0|
	v_cvt_u32_f32_e32 v1, v1
	v_ashrrev_i32_e32 v0, 31, v0
	v_xor_b32_e32 v1, v1, v0
	v_sub_u32_e32 v0, v1, v0
.LBB127_2270:
	global_store_byte v[4:5], v0, off
	s_endpgm
.LBB127_2271:
	s_mov_b64 s[2:3], 0
.LBB127_2272:
	s_mov_b32 s11, 0x7f800001
	s_and_b64 vcc, exec, s[8:9]
	s_cbranch_vccz .LBB127_2274
; %bb.2273:
	s_and_b32 s2, 0xffff, s10
	s_cmp_lg_u32 s2, 0
	s_mov_b32 s11, 0
	s_cselect_b64 s[2:3], -1, 0
.LBB127_2274:
	s_andn2_b64 vcc, exec, s[2:3]
	s_cbranch_vccnz .LBB127_2276
; %bb.2275:
	s_and_b32 s3, s16, 3
	s_flbit_i32_b32 s9, s3
	s_min_u32 s9, s9, 32
	s_sub_i32 s10, s9, 29
	s_lshl_b32 s10, s16, s10
	s_lshl_b32 s2, s16, 24
	s_bfe_u32 s8, s16, 0x50002
	s_sub_i32 s9, 30, s9
	s_and_b32 s10, s10, 3
	s_cmp_eq_u32 s8, 0
	s_cselect_b32 s8, s9, s8
	s_cselect_b32 s3, s10, s3
	s_lshl_b32 s8, s8, 23
	s_and_b32 s2, s2, 0x80000000
	s_add_i32 s8, s8, 0x37800000
	s_lshl_b32 s3, s3, 21
	s_or_b32 s2, s2, s8
	s_or_b32 s11, s2, s3
.LBB127_2276:
	s_bfe_u32 s2, s11, 0x10010
	s_add_i32 s2, s11, s2
	s_addk_i32 s2, 0x7fff
	s_lshr_b32 s8, s2, 16
	v_cmp_o_f32_e64 s[2:3], s11, s11
	s_and_b64 s[2:3], s[2:3], exec
	s_cselect_b32 s2, s8, 0x7fc0
	v_mov_b32_e32 v0, s2
	global_store_dword v[4:5], v0, off
	s_mov_b64 s[2:3], 0
.LBB127_2277:
	s_mov_b64 s[8:9], 0
.LBB127_2278:
	s_and_b64 vcc, exec, s[8:9]
	s_cbranch_vccz .LBB127_2290
; %bb.2279:
	s_cmp_eq_u32 s13, 44
	s_mov_b64 s[2:3], -1
	s_cbranch_scc0 .LBB127_2290
; %bb.2280:
	s_and_b32 s10, s16, 0xff
	s_cmpk_lt_i32 s10, 0x80
	s_cbranch_scc1 .LBB127_2284
; %bb.2281:
	s_and_b32 s2, 0xffff, s10
	s_cmpk_eq_i32 s2, 0x80
	s_mov_b64 s[2:3], -1
	s_cbranch_scc0 .LBB127_2283
; %bb.2282:
	s_mov_b64 s[2:3], 0
.LBB127_2283:
	s_mov_b64 s[8:9], 0
	s_branch .LBB127_2285
.LBB127_2284:
	s_mov_b64 s[8:9], -1
	s_mov_b64 s[2:3], 0
.LBB127_2285:
	s_mov_b32 s11, 0x7f800001
	s_and_b64 vcc, exec, s[8:9]
	s_cbranch_vccz .LBB127_2295
; %bb.2286:
	s_and_b32 s11, 0xffff, s10
	s_cmp_lg_u32 s11, 0
	s_cselect_b64 s[2:3], -1, 0
	s_andn2_b64 vcc, exec, s[2:3]
	s_cbranch_vccz .LBB127_2296
.LBB127_2287:
	s_lshr_b32 s2, s11, 23
	s_cmpk_eq_i32 s2, 0xff
	v_mov_b32_e32 v0, 0xff
	s_cbranch_scc1 .LBB127_2289
.LBB127_2288:
	s_bitcmp1_b32 s11, 22
	s_cselect_b64 s[8:9], -1, 0
	s_and_b32 s3, s11, 0x3fffff
	s_or_b32 s3, s2, s3
	s_cmp_lg_u32 s3, 0
	s_cselect_b64 s[10:11], -1, 0
	s_and_b64 s[8:9], s[8:9], s[10:11]
	v_cndmask_b32_e64 v0, 0, 1, s[8:9]
	v_add_u32_e32 v0, s2, v0
.LBB127_2289:
	global_store_byte v[4:5], v0, off
	s_mov_b64 s[2:3], 0
.LBB127_2290:
	s_mov_b64 s[8:9], 0
.LBB127_2291:
	s_and_b64 vcc, exec, s[8:9]
	s_cbranch_vccz .LBB127_2303
; %bb.2292:
	s_cmp_eq_u32 s13, 29
	s_mov_b64 s[2:3], -1
	s_cbranch_scc0 .LBB127_2303
; %bb.2293:
	s_and_b32 s10, s16, 0xff
	s_cmpk_lt_i32 s10, 0x80
	s_cbranch_scc1 .LBB127_2297
; %bb.2294:
	s_and_b32 s2, 0xffff, s10
	s_cmpk_lg_i32 s2, 0x80
	s_mov_b64 s[8:9], 0
	s_cselect_b64 s[2:3], -1, 0
	s_branch .LBB127_2298
.LBB127_2295:
	s_andn2_b64 vcc, exec, s[2:3]
	s_cbranch_vccnz .LBB127_2287
.LBB127_2296:
	s_and_b32 s2, s16, 3
	s_flbit_i32_b32 s8, s2
	s_min_u32 s8, s8, 32
	s_sub_i32 s9, s8, 29
	s_lshl_b32 s9, s16, s9
	s_bfe_u32 s3, s16, 0x50002
	s_sub_i32 s8, 30, s8
	s_and_b32 s9, s9, 3
	s_cmp_eq_u32 s3, 0
	s_cselect_b32 s3, s8, s3
	s_cselect_b32 s2, s9, s2
	s_lshl_b32 s2, s2, 21
	s_lshl_b32 s3, s3, 23
	s_or_b32 s2, s3, s2
	s_add_i32 s11, s2, 0x37800000
	s_lshr_b32 s2, s11, 23
	s_cmpk_eq_i32 s2, 0xff
	v_mov_b32_e32 v0, 0xff
	s_cbranch_scc0 .LBB127_2288
	s_branch .LBB127_2289
.LBB127_2297:
	s_mov_b64 s[8:9], -1
	s_mov_b64 s[2:3], 0
.LBB127_2298:
	s_andn2_b64 vcc, exec, s[8:9]
	s_cbranch_vccnz .LBB127_2300
; %bb.2299:
	s_and_b32 s2, 0xffff, s10
	s_cmp_lg_u32 s2, 0
	s_cselect_b64 s[2:3], -1, 0
.LBB127_2300:
	v_mov_b32_e32 v0, 0
	s_andn2_b64 vcc, exec, s[2:3]
	v_mov_b32_e32 v1, 0
	s_cbranch_vccnz .LBB127_2302
; %bb.2301:
	s_and_b32 s3, s16, 3
	s_flbit_i32_b32 s9, s3
	s_min_u32 s9, s9, 32
	s_sub_i32 s10, s9, 29
	s_lshl_b32 s10, s16, s10
	s_lshl_b32 s2, s16, 24
	s_bfe_u32 s8, s16, 0x50002
	s_sub_i32 s9, 30, s9
	s_and_b32 s10, s10, 3
	s_cmp_eq_u32 s8, 0
	s_cselect_b32 s8, s9, s8
	s_cselect_b32 s3, s10, s3
	s_lshl_b32 s8, s8, 23
	s_and_b32 s2, s2, 0x80000000
	s_add_i32 s8, s8, 0x37800000
	s_lshl_b32 s3, s3, 21
	s_or_b32 s2, s2, s8
	s_or_b32 s2, s2, s3
	v_trunc_f32_e32 v0, s2
	v_mul_f32_e32 v1, 0x2f800000, v0
	v_floor_f32_e32 v1, v1
	v_fmac_f32_e32 v0, 0xcf800000, v1
	v_cvt_u32_f32_e32 v0, v0
	v_cvt_u32_f32_e32 v1, v1
.LBB127_2302:
	global_store_dwordx2 v[4:5], v[0:1], off
	s_mov_b64 s[2:3], 0
.LBB127_2303:
	s_mov_b64 s[8:9], 0
.LBB127_2304:
	s_and_b64 vcc, exec, s[8:9]
	s_cbranch_vccz .LBB127_2344
; %bb.2305:
	s_cmp_lt_i32 s13, 27
	s_mov_b64 s[8:9], -1
	s_cbranch_scc1 .LBB127_2325
; %bb.2306:
	s_cmp_gt_i32 s13, 27
	s_cbranch_scc0 .LBB127_2315
; %bb.2307:
	s_and_b32 s14, s16, 0xff
	s_cmpk_lt_i32 s14, 0x80
	s_cbranch_scc1 .LBB127_2309
; %bb.2308:
	s_and_b32 s8, 0xffff, s14
	s_cmpk_lg_i32 s8, 0x80
	s_mov_b64 s[10:11], 0
	s_cselect_b64 s[8:9], -1, 0
	s_branch .LBB127_2310
.LBB127_2309:
	s_mov_b64 s[10:11], -1
	s_mov_b64 s[8:9], 0
.LBB127_2310:
	s_andn2_b64 vcc, exec, s[10:11]
	s_cbranch_vccnz .LBB127_2312
; %bb.2311:
	s_and_b32 s8, 0xffff, s14
	s_cmp_lg_u32 s8, 0
	s_cselect_b64 s[8:9], -1, 0
.LBB127_2312:
	s_andn2_b64 vcc, exec, s[8:9]
	v_mov_b32_e32 v0, 0
	s_cbranch_vccnz .LBB127_2314
; %bb.2313:
	s_and_b32 s9, s16, 3
	s_flbit_i32_b32 s11, s9
	s_min_u32 s11, s11, 32
	s_sub_i32 s14, s11, 29
	s_lshl_b32 s14, s16, s14
	s_lshl_b32 s8, s16, 24
	s_bfe_u32 s10, s16, 0x50002
	s_sub_i32 s11, 30, s11
	s_and_b32 s14, s14, 3
	s_cmp_eq_u32 s10, 0
	s_cselect_b32 s10, s11, s10
	s_cselect_b32 s9, s14, s9
	s_lshl_b32 s10, s10, 23
	s_and_b32 s8, s8, 0x80000000
	s_add_i32 s10, s10, 0x37800000
	s_lshl_b32 s9, s9, 21
	s_or_b32 s8, s8, s10
	s_or_b32 s8, s8, s9
	v_cvt_u32_f32_e32 v0, s8
.LBB127_2314:
	global_store_dword v[4:5], v0, off
	s_mov_b64 s[8:9], 0
.LBB127_2315:
	s_and_b64 vcc, exec, s[8:9]
	s_cbranch_vccz .LBB127_2324
; %bb.2316:
	s_and_b32 s14, s16, 0xff
	s_cmpk_lt_i32 s14, 0x80
	s_cbranch_scc1 .LBB127_2318
; %bb.2317:
	s_and_b32 s8, 0xffff, s14
	s_cmpk_lg_i32 s8, 0x80
	s_mov_b64 s[10:11], 0
	s_cselect_b64 s[8:9], -1, 0
	s_branch .LBB127_2319
.LBB127_2318:
	s_mov_b64 s[10:11], -1
	s_mov_b64 s[8:9], 0
.LBB127_2319:
	s_andn2_b64 vcc, exec, s[10:11]
	s_cbranch_vccnz .LBB127_2321
; %bb.2320:
	s_and_b32 s8, 0xffff, s14
	s_cmp_lg_u32 s8, 0
	s_cselect_b64 s[8:9], -1, 0
.LBB127_2321:
	s_andn2_b64 vcc, exec, s[8:9]
	v_mov_b32_e32 v0, 0
	s_cbranch_vccnz .LBB127_2323
; %bb.2322:
	s_and_b32 s9, s16, 3
	s_flbit_i32_b32 s11, s9
	s_min_u32 s11, s11, 32
	s_sub_i32 s14, s11, 29
	s_lshl_b32 s14, s16, s14
	s_lshl_b32 s8, s16, 24
	s_bfe_u32 s10, s16, 0x50002
	s_sub_i32 s11, 30, s11
	s_and_b32 s14, s14, 3
	s_cmp_eq_u32 s10, 0
	s_cselect_b32 s10, s11, s10
	s_cselect_b32 s9, s14, s9
	s_lshl_b32 s10, s10, 23
	s_and_b32 s8, s8, 0x80000000
	s_add_i32 s10, s10, 0x37800000
	s_lshl_b32 s9, s9, 21
	s_or_b32 s8, s8, s10
	s_or_b32 s8, s8, s9
	v_cvt_u32_f32_e32 v0, s8
.LBB127_2323:
	global_store_short v[4:5], v0, off
.LBB127_2324:
	s_mov_b64 s[8:9], 0
.LBB127_2325:
	s_andn2_b64 vcc, exec, s[8:9]
	s_cbranch_vccnz .LBB127_2344
; %bb.2326:
	s_and_b32 s15, s16, 0xff
	s_cmpk_lt_i32 s15, 0x80
	s_cbranch_scc1 .LBB127_2330
; %bb.2327:
	s_and_b32 s8, 0xffff, s15
	s_cmpk_eq_i32 s8, 0x80
	s_mov_b64 s[8:9], -1
	s_cbranch_scc0 .LBB127_2329
; %bb.2328:
	s_mov_b64 s[8:9], 0
.LBB127_2329:
	s_mov_b64 s[10:11], 0
	s_branch .LBB127_2331
.LBB127_2330:
	s_mov_b64 s[10:11], -1
	s_mov_b64 s[8:9], 0
.LBB127_2331:
	s_mov_b32 s14, 0x7f800001
	s_and_b64 vcc, exec, s[10:11]
	s_cbranch_vccz .LBB127_2334
; %bb.2332:
	s_and_b32 s8, 0xffff, s15
	s_cmp_lg_u32 s8, 0
	s_mov_b32 s14, 0
	s_cselect_b64 s[8:9], -1, 0
	s_andn2_b64 vcc, exec, s[8:9]
	s_cbranch_vccz .LBB127_2335
.LBB127_2333:
	s_and_b32 s8, s14, 0x7fffffff
	s_cmp_gt_u32 s8, 0x437fffff
	v_mov_b32_e32 v1, 0x80
	s_cbranch_scc0 .LBB127_2336
	s_branch .LBB127_2343
.LBB127_2334:
	s_andn2_b64 vcc, exec, s[8:9]
	s_cbranch_vccnz .LBB127_2333
.LBB127_2335:
	s_and_b32 s9, s16, 3
	s_flbit_i32_b32 s11, s9
	s_min_u32 s11, s11, 32
	s_sub_i32 s14, s11, 29
	s_lshl_b32 s14, s16, s14
	s_lshl_b32 s8, s16, 24
	s_bfe_u32 s10, s16, 0x50002
	s_sub_i32 s11, 30, s11
	s_and_b32 s14, s14, 3
	s_cmp_eq_u32 s10, 0
	s_cselect_b32 s10, s11, s10
	s_cselect_b32 s9, s14, s9
	s_lshl_b32 s10, s10, 23
	s_and_b32 s8, s8, 0x80000000
	s_add_i32 s10, s10, 0x37800000
	s_lshl_b32 s9, s9, 21
	s_or_b32 s8, s8, s10
	s_or_b32 s14, s8, s9
	s_and_b32 s8, s14, 0x7fffffff
	s_cmp_gt_u32 s8, 0x437fffff
	v_mov_b32_e32 v1, 0x80
	s_cbranch_scc1 .LBB127_2343
.LBB127_2336:
	s_cmp_gt_u32 s8, 0x3bffffff
	s_cbranch_scc0 .LBB127_2338
; %bb.2337:
	s_bfe_u32 s8, s14, 0x10014
	s_add_i32 s8, s14, s8
	s_add_i32 s8, s8, 0x487ffff
	s_lshr_b32 s15, s8, 20
	s_mov_b64 s[10:11], 0
	s_mov_b64 s[8:9], -1
	s_branch .LBB127_2339
.LBB127_2338:
	s_mov_b64 s[10:11], -1
	s_mov_b64 s[8:9], 0
                                        ; implicit-def: $sgpr15
.LBB127_2339:
	s_andn2_b64 vcc, exec, s[10:11]
	v_mov_b32_e32 v0, s15
	s_cbranch_vccnz .LBB127_2341
; %bb.2340:
	v_mov_b32_e32 v0, 0x46000000
	v_add_f32_e64 v0, |s14|, v0
	v_and_b32_e32 v0, 0xff, v0
	v_cmp_ne_u32_e64 s[8:9], 0, v0
.LBB127_2341:
	s_andn2_b64 vcc, exec, s[8:9]
	v_mov_b32_e32 v1, 0
	s_cbranch_vccnz .LBB127_2343
; %bb.2342:
	s_lshr_b32 s8, s14, 24
	s_and_b32 s8, s8, 0x80
	v_or_b32_e32 v1, s8, v0
.LBB127_2343:
	global_store_byte v[4:5], v1, off
.LBB127_2344:
	s_mov_b64 s[8:9], 0
.LBB127_2345:
	s_and_b64 vcc, exec, s[8:9]
	s_cbranch_vccz .LBB127_2409
; %bb.2346:
	s_cmp_gt_i32 s13, 22
	s_mov_b64 s[4:5], -1
	s_cbranch_scc0 .LBB127_2394
; %bb.2347:
	s_cmp_lt_i32 s13, 24
	s_cbranch_scc1 .LBB127_2372
; %bb.2348:
	s_cmp_gt_i32 s13, 24
	s_cbranch_scc0 .LBB127_2350
; %bb.2349:
	v_mov_b32_e32 v0, s16
	global_store_byte v[4:5], v0, off
	s_mov_b64 s[4:5], 0
.LBB127_2350:
	s_andn2_b64 vcc, exec, s[4:5]
	s_cbranch_vccnz .LBB127_2371
; %bb.2351:
	s_and_b32 s11, s16, 0xff
	s_cmpk_lt_i32 s11, 0x80
	s_cbranch_scc1 .LBB127_2355
; %bb.2352:
	s_and_b32 s4, 0xffff, s11
	s_cmpk_eq_i32 s4, 0x80
	s_mov_b64 s[4:5], -1
	s_cbranch_scc0 .LBB127_2354
; %bb.2353:
	s_mov_b64 s[4:5], 0
.LBB127_2354:
	s_mov_b64 s[8:9], 0
	s_branch .LBB127_2356
.LBB127_2355:
	s_mov_b64 s[8:9], -1
	s_mov_b64 s[4:5], 0
.LBB127_2356:
	s_mov_b32 s10, 0x7f800001
	s_and_b64 vcc, exec, s[8:9]
	s_cbranch_vccz .LBB127_2361
; %bb.2357:
	s_and_b32 s4, 0xffff, s11
	s_cmp_lg_u32 s4, 0
	s_mov_b32 s10, 0
	s_cselect_b64 s[4:5], -1, 0
	s_andn2_b64 vcc, exec, s[4:5]
	s_cbranch_vccz .LBB127_2362
.LBB127_2358:
	s_and_b32 s8, s10, 0x7fffffff
	s_cmp_lt_u32 s8, 0x43f00000
	s_cbranch_scc0 .LBB127_2363
.LBB127_2359:
	s_cmp_gt_u32 s8, 0x3c7fffff
	s_cbranch_scc0 .LBB127_2364
; %bb.2360:
	s_bfe_u32 s4, s10, 0x10014
	s_add_i32 s4, s10, s4
	s_add_i32 s4, s4, 0x407ffff
	s_lshr_b32 s5, s4, 20
	s_and_b32 s4, s4, 0xff00000
	s_cmp_lg_u32 s4, 0x7f00000
	s_cselect_b32 s9, s5, 0x7e
	s_mov_b64 s[4:5], 0
	s_branch .LBB127_2365
.LBB127_2361:
	s_andn2_b64 vcc, exec, s[4:5]
	s_cbranch_vccnz .LBB127_2358
.LBB127_2362:
	s_and_b32 s5, s16, 3
	s_flbit_i32_b32 s9, s5
	s_min_u32 s9, s9, 32
	s_sub_i32 s10, s9, 29
	s_lshl_b32 s10, s16, s10
	s_lshl_b32 s4, s16, 24
	s_bfe_u32 s8, s16, 0x50002
	s_sub_i32 s9, 30, s9
	s_and_b32 s10, s10, 3
	s_cmp_eq_u32 s8, 0
	s_cselect_b32 s8, s9, s8
	s_cselect_b32 s5, s10, s5
	s_lshl_b32 s8, s8, 23
	s_and_b32 s4, s4, 0x80000000
	s_add_i32 s8, s8, 0x37800000
	s_lshl_b32 s5, s5, 21
	s_or_b32 s4, s4, s8
	s_or_b32 s10, s4, s5
	s_and_b32 s8, s10, 0x7fffffff
	s_cmp_lt_u32 s8, 0x43f00000
	s_cbranch_scc1 .LBB127_2359
.LBB127_2363:
	s_mov_b64 s[4:5], -1
                                        ; implicit-def: $vgpr0
	s_branch .LBB127_2368
.LBB127_2364:
	s_mov_b64 s[4:5], -1
                                        ; implicit-def: $sgpr9
.LBB127_2365:
	s_andn2_b64 vcc, exec, s[4:5]
	v_mov_b32_e32 v0, s9
	s_cbranch_vccnz .LBB127_2367
; %bb.2366:
	v_mov_b32_e32 v0, 0x46800000
	v_add_f32_e64 v0, |s10|, v0
.LBB127_2367:
	s_mov_b64 s[4:5], 0
.LBB127_2368:
	s_andn2_b64 vcc, exec, s[4:5]
	s_cbranch_vccnz .LBB127_2370
; %bb.2369:
	s_cmp_gt_u32 s8, 0x7f800000
	s_movk_i32 s4, 0x7f
	s_cselect_b32 s4, s4, 0x7e
	v_mov_b32_e32 v0, s4
.LBB127_2370:
	s_lshr_b32 s4, s10, 24
	s_and_b32 s4, s4, 0x80
	v_or_b32_e32 v0, s4, v0
	global_store_byte v[4:5], v0, off
.LBB127_2371:
	s_mov_b64 s[4:5], 0
.LBB127_2372:
	s_andn2_b64 vcc, exec, s[4:5]
	s_cbranch_vccnz .LBB127_2393
; %bb.2373:
	s_and_b32 s11, s16, 0xff
	s_cmpk_lt_i32 s11, 0x80
	s_cbranch_scc1 .LBB127_2377
; %bb.2374:
	s_and_b32 s4, 0xffff, s11
	s_cmpk_eq_i32 s4, 0x80
	s_mov_b64 s[4:5], -1
	s_cbranch_scc0 .LBB127_2376
; %bb.2375:
	s_mov_b64 s[4:5], 0
.LBB127_2376:
	s_mov_b64 s[8:9], 0
	s_branch .LBB127_2378
.LBB127_2377:
	s_mov_b64 s[8:9], -1
	s_mov_b64 s[4:5], 0
.LBB127_2378:
	s_mov_b32 s10, 0x7f800001
	s_and_b64 vcc, exec, s[8:9]
	s_cbranch_vccz .LBB127_2383
; %bb.2379:
	s_and_b32 s4, 0xffff, s11
	s_cmp_lg_u32 s4, 0
	s_mov_b32 s10, 0
	s_cselect_b64 s[4:5], -1, 0
	s_andn2_b64 vcc, exec, s[4:5]
	s_cbranch_vccz .LBB127_2384
.LBB127_2380:
	s_and_b32 s8, s10, 0x7fffffff
	s_cmp_lt_u32 s8, 0x47800000
	s_cbranch_scc0 .LBB127_2385
.LBB127_2381:
	s_cmp_gt_u32 s8, 0x387fffff
	s_cbranch_scc0 .LBB127_2386
; %bb.2382:
	s_bfe_u32 s4, s10, 0x10015
	s_add_i32 s4, s10, s4
	s_add_i32 s4, s4, 0x80fffff
	s_lshr_b32 s9, s4, 21
	s_mov_b64 s[4:5], 0
	s_branch .LBB127_2387
.LBB127_2383:
	s_andn2_b64 vcc, exec, s[4:5]
	s_cbranch_vccnz .LBB127_2380
.LBB127_2384:
	s_and_b32 s5, s16, 3
	s_flbit_i32_b32 s9, s5
	s_min_u32 s9, s9, 32
	s_sub_i32 s10, s9, 29
	s_lshl_b32 s10, s16, s10
	s_lshl_b32 s4, s16, 24
	s_bfe_u32 s8, s16, 0x50002
	s_sub_i32 s9, 30, s9
	s_and_b32 s10, s10, 3
	s_cmp_eq_u32 s8, 0
	s_cselect_b32 s8, s9, s8
	s_cselect_b32 s5, s10, s5
	s_lshl_b32 s8, s8, 23
	s_and_b32 s4, s4, 0x80000000
	s_add_i32 s8, s8, 0x37800000
	s_lshl_b32 s5, s5, 21
	s_or_b32 s4, s4, s8
	s_or_b32 s10, s4, s5
	s_and_b32 s8, s10, 0x7fffffff
	s_cmp_lt_u32 s8, 0x47800000
	s_cbranch_scc1 .LBB127_2381
.LBB127_2385:
	s_mov_b64 s[4:5], -1
                                        ; implicit-def: $vgpr0
	s_branch .LBB127_2390
.LBB127_2386:
	s_mov_b64 s[4:5], -1
                                        ; implicit-def: $sgpr9
.LBB127_2387:
	s_andn2_b64 vcc, exec, s[4:5]
	v_mov_b32_e32 v0, s9
	s_cbranch_vccnz .LBB127_2389
; %bb.2388:
	v_mov_b32_e32 v0, 0x43000000
	v_add_f32_e64 v0, |s10|, v0
.LBB127_2389:
	s_mov_b64 s[4:5], 0
.LBB127_2390:
	s_andn2_b64 vcc, exec, s[4:5]
	s_cbranch_vccnz .LBB127_2392
; %bb.2391:
	s_cmp_gt_u32 s8, 0x7f800000
	s_movk_i32 s4, 0x7f
	s_cselect_b32 s4, s4, 0x7c
	v_mov_b32_e32 v0, s4
.LBB127_2392:
	s_lshr_b32 s4, s10, 24
	s_and_b32 s4, s4, 0x80
	v_or_b32_e32 v0, s4, v0
	global_store_byte v[4:5], v0, off
.LBB127_2393:
	s_mov_b64 s[4:5], 0
.LBB127_2394:
	s_andn2_b64 vcc, exec, s[4:5]
	s_mov_b64 s[4:5], 0
	s_cbranch_vccnz .LBB127_2409
; %bb.2395:
	s_cmp_gt_i32 s13, 14
	s_mov_b64 s[8:9], -1
	s_cbranch_scc0 .LBB127_2407
; %bb.2396:
	s_cmp_eq_u32 s13, 15
	s_mov_b64 s[2:3], -1
	s_cbranch_scc0 .LBB127_2406
; %bb.2397:
	s_and_b32 s8, s16, 0xff
	s_cmpk_lt_i32 s8, 0x80
	s_cbranch_scc1 .LBB127_2401
; %bb.2398:
	s_and_b32 s2, 0xffff, s8
	s_cmpk_eq_i32 s2, 0x80
	s_mov_b64 s[2:3], -1
	s_cbranch_scc1 .LBB127_2402
; %bb.2399:
	s_mov_b32 s9, 0x7f800001
	s_and_b64 vcc, exec, s[4:5]
	s_cbranch_vccz .LBB127_2403
.LBB127_2400:
	s_and_b32 s2, 0xffff, s8
	s_cmp_lg_u32 s2, 0
	s_mov_b32 s9, 0
	s_cselect_b64 s[2:3], -1, 0
	s_andn2_b64 vcc, exec, s[2:3]
	s_cbranch_vccz .LBB127_2404
	s_branch .LBB127_2405
.LBB127_2401:
	s_mov_b64 s[4:5], -1
.LBB127_2402:
	s_mov_b64 s[2:3], 0
	s_mov_b32 s9, 0x7f800001
	s_and_b64 vcc, exec, s[4:5]
	s_cbranch_vccnz .LBB127_2400
.LBB127_2403:
	s_andn2_b64 vcc, exec, s[2:3]
	s_cbranch_vccnz .LBB127_2405
.LBB127_2404:
	s_and_b32 s3, s16, 3
	s_flbit_i32_b32 s5, s3
	s_min_u32 s5, s5, 32
	s_sub_i32 s8, s5, 29
	s_lshl_b32 s8, s16, s8
	s_lshl_b32 s2, s16, 24
	s_bfe_u32 s4, s16, 0x50002
	s_sub_i32 s5, 30, s5
	s_and_b32 s8, s8, 3
	s_cmp_eq_u32 s4, 0
	s_cselect_b32 s4, s5, s4
	s_cselect_b32 s3, s8, s3
	s_lshl_b32 s4, s4, 23
	s_and_b32 s2, s2, 0x80000000
	s_add_i32 s4, s4, 0x37800000
	s_lshl_b32 s3, s3, 21
	s_or_b32 s2, s2, s4
	s_or_b32 s9, s2, s3
.LBB127_2405:
	s_bfe_u32 s2, s9, 0x10010
	s_add_i32 s2, s9, s2
	s_addk_i32 s2, 0x7fff
	s_lshr_b32 s4, s2, 16
	v_cmp_o_f32_e64 s[2:3], s9, s9
	s_and_b64 s[2:3], s[2:3], exec
	s_cselect_b32 s2, s4, 0x7fc0
	v_mov_b32_e32 v0, s2
	global_store_short v[4:5], v0, off
	s_mov_b64 s[2:3], 0
.LBB127_2406:
	s_mov_b64 s[8:9], 0
.LBB127_2407:
	s_mov_b64 s[4:5], 0
	s_and_b64 vcc, exec, s[8:9]
	s_cbranch_vccz .LBB127_2409
; %bb.2408:
	s_cmp_lg_u32 s13, 11
	s_mov_b64 s[4:5], -1
	s_cselect_b64 s[2:3], -1, 0
.LBB127_2409:
	s_and_b64 vcc, exec, s[2:3]
	s_cbranch_vccnz .LBB127_2411
.LBB127_2410:
	s_mov_b64 s[2:3], 0
	s_branch .LBB127_2136
.LBB127_2411:
	s_mov_b64 s[4:5], 0
	s_or_b64 s[0:1], s[0:1], exec
	s_trap 2
	s_branch .LBB127_2410
	.section	.rodata,"a",@progbits
	.p2align	6, 0x0
	.amdhsa_kernel _ZN2at6native32elementwise_kernel_manual_unrollILi128ELi4EZNS0_15gpu_kernel_implINS0_11FillFunctorIN3c1015Float8_e5m2fnuzEEEEEvRNS_18TensorIteratorBaseERKT_EUlibE0_EEviT1_
		.amdhsa_group_segment_fixed_size 0
		.amdhsa_private_segment_fixed_size 0
		.amdhsa_kernarg_size 288
		.amdhsa_user_sgpr_count 6
		.amdhsa_user_sgpr_private_segment_buffer 1
		.amdhsa_user_sgpr_dispatch_ptr 0
		.amdhsa_user_sgpr_queue_ptr 0
		.amdhsa_user_sgpr_kernarg_segment_ptr 1
		.amdhsa_user_sgpr_dispatch_id 0
		.amdhsa_user_sgpr_flat_scratch_init 0
		.amdhsa_user_sgpr_private_segment_size 0
		.amdhsa_uses_dynamic_stack 0
		.amdhsa_system_sgpr_private_segment_wavefront_offset 0
		.amdhsa_system_sgpr_workgroup_id_x 1
		.amdhsa_system_sgpr_workgroup_id_y 0
		.amdhsa_system_sgpr_workgroup_id_z 0
		.amdhsa_system_sgpr_workgroup_info 0
		.amdhsa_system_vgpr_workitem_id 0
		.amdhsa_next_free_vgpr 19
		.amdhsa_next_free_sgpr 69
		.amdhsa_reserve_vcc 1
		.amdhsa_reserve_flat_scratch 0
		.amdhsa_float_round_mode_32 0
		.amdhsa_float_round_mode_16_64 0
		.amdhsa_float_denorm_mode_32 3
		.amdhsa_float_denorm_mode_16_64 3
		.amdhsa_dx10_clamp 1
		.amdhsa_ieee_mode 1
		.amdhsa_fp16_overflow 0
		.amdhsa_exception_fp_ieee_invalid_op 0
		.amdhsa_exception_fp_denorm_src 0
		.amdhsa_exception_fp_ieee_div_zero 0
		.amdhsa_exception_fp_ieee_overflow 0
		.amdhsa_exception_fp_ieee_underflow 0
		.amdhsa_exception_fp_ieee_inexact 0
		.amdhsa_exception_int_div_zero 0
	.end_amdhsa_kernel
	.section	.text._ZN2at6native32elementwise_kernel_manual_unrollILi128ELi4EZNS0_15gpu_kernel_implINS0_11FillFunctorIN3c1015Float8_e5m2fnuzEEEEEvRNS_18TensorIteratorBaseERKT_EUlibE0_EEviT1_,"axG",@progbits,_ZN2at6native32elementwise_kernel_manual_unrollILi128ELi4EZNS0_15gpu_kernel_implINS0_11FillFunctorIN3c1015Float8_e5m2fnuzEEEEEvRNS_18TensorIteratorBaseERKT_EUlibE0_EEviT1_,comdat
.Lfunc_end127:
	.size	_ZN2at6native32elementwise_kernel_manual_unrollILi128ELi4EZNS0_15gpu_kernel_implINS0_11FillFunctorIN3c1015Float8_e5m2fnuzEEEEEvRNS_18TensorIteratorBaseERKT_EUlibE0_EEviT1_, .Lfunc_end127-_ZN2at6native32elementwise_kernel_manual_unrollILi128ELi4EZNS0_15gpu_kernel_implINS0_11FillFunctorIN3c1015Float8_e5m2fnuzEEEEEvRNS_18TensorIteratorBaseERKT_EUlibE0_EEviT1_
                                        ; -- End function
	.set _ZN2at6native32elementwise_kernel_manual_unrollILi128ELi4EZNS0_15gpu_kernel_implINS0_11FillFunctorIN3c1015Float8_e5m2fnuzEEEEEvRNS_18TensorIteratorBaseERKT_EUlibE0_EEviT1_.num_vgpr, 19
	.set _ZN2at6native32elementwise_kernel_manual_unrollILi128ELi4EZNS0_15gpu_kernel_implINS0_11FillFunctorIN3c1015Float8_e5m2fnuzEEEEEvRNS_18TensorIteratorBaseERKT_EUlibE0_EEviT1_.num_agpr, 0
	.set _ZN2at6native32elementwise_kernel_manual_unrollILi128ELi4EZNS0_15gpu_kernel_implINS0_11FillFunctorIN3c1015Float8_e5m2fnuzEEEEEvRNS_18TensorIteratorBaseERKT_EUlibE0_EEviT1_.numbered_sgpr, 69
	.set _ZN2at6native32elementwise_kernel_manual_unrollILi128ELi4EZNS0_15gpu_kernel_implINS0_11FillFunctorIN3c1015Float8_e5m2fnuzEEEEEvRNS_18TensorIteratorBaseERKT_EUlibE0_EEviT1_.num_named_barrier, 0
	.set _ZN2at6native32elementwise_kernel_manual_unrollILi128ELi4EZNS0_15gpu_kernel_implINS0_11FillFunctorIN3c1015Float8_e5m2fnuzEEEEEvRNS_18TensorIteratorBaseERKT_EUlibE0_EEviT1_.private_seg_size, 0
	.set _ZN2at6native32elementwise_kernel_manual_unrollILi128ELi4EZNS0_15gpu_kernel_implINS0_11FillFunctorIN3c1015Float8_e5m2fnuzEEEEEvRNS_18TensorIteratorBaseERKT_EUlibE0_EEviT1_.uses_vcc, 1
	.set _ZN2at6native32elementwise_kernel_manual_unrollILi128ELi4EZNS0_15gpu_kernel_implINS0_11FillFunctorIN3c1015Float8_e5m2fnuzEEEEEvRNS_18TensorIteratorBaseERKT_EUlibE0_EEviT1_.uses_flat_scratch, 0
	.set _ZN2at6native32elementwise_kernel_manual_unrollILi128ELi4EZNS0_15gpu_kernel_implINS0_11FillFunctorIN3c1015Float8_e5m2fnuzEEEEEvRNS_18TensorIteratorBaseERKT_EUlibE0_EEviT1_.has_dyn_sized_stack, 0
	.set _ZN2at6native32elementwise_kernel_manual_unrollILi128ELi4EZNS0_15gpu_kernel_implINS0_11FillFunctorIN3c1015Float8_e5m2fnuzEEEEEvRNS_18TensorIteratorBaseERKT_EUlibE0_EEviT1_.has_recursion, 0
	.set _ZN2at6native32elementwise_kernel_manual_unrollILi128ELi4EZNS0_15gpu_kernel_implINS0_11FillFunctorIN3c1015Float8_e5m2fnuzEEEEEvRNS_18TensorIteratorBaseERKT_EUlibE0_EEviT1_.has_indirect_call, 0
	.section	.AMDGPU.csdata,"",@progbits
; Kernel info:
; codeLenInByte = 41280
; TotalNumSgprs: 73
; NumVgprs: 19
; ScratchSize: 0
; MemoryBound: 0
; FloatMode: 240
; IeeeMode: 1
; LDSByteSize: 0 bytes/workgroup (compile time only)
; SGPRBlocks: 9
; VGPRBlocks: 4
; NumSGPRsForWavesPerEU: 73
; NumVGPRsForWavesPerEU: 19
; Occupancy: 10
; WaveLimiterHint : 1
; COMPUTE_PGM_RSRC2:SCRATCH_EN: 0
; COMPUTE_PGM_RSRC2:USER_SGPR: 6
; COMPUTE_PGM_RSRC2:TRAP_HANDLER: 0
; COMPUTE_PGM_RSRC2:TGID_X_EN: 1
; COMPUTE_PGM_RSRC2:TGID_Y_EN: 0
; COMPUTE_PGM_RSRC2:TGID_Z_EN: 0
; COMPUTE_PGM_RSRC2:TIDIG_COMP_CNT: 0
	.section	.text._ZN2at6native29vectorized_elementwise_kernelILi16ENS0_11FillFunctorIN3c1013Float8_e4m3fnEEESt5arrayIPcLm1EEEEviT0_T1_,"axG",@progbits,_ZN2at6native29vectorized_elementwise_kernelILi16ENS0_11FillFunctorIN3c1013Float8_e4m3fnEEESt5arrayIPcLm1EEEEviT0_T1_,comdat
	.protected	_ZN2at6native29vectorized_elementwise_kernelILi16ENS0_11FillFunctorIN3c1013Float8_e4m3fnEEESt5arrayIPcLm1EEEEviT0_T1_ ; -- Begin function _ZN2at6native29vectorized_elementwise_kernelILi16ENS0_11FillFunctorIN3c1013Float8_e4m3fnEEESt5arrayIPcLm1EEEEviT0_T1_
	.globl	_ZN2at6native29vectorized_elementwise_kernelILi16ENS0_11FillFunctorIN3c1013Float8_e4m3fnEEESt5arrayIPcLm1EEEEviT0_T1_
	.p2align	8
	.type	_ZN2at6native29vectorized_elementwise_kernelILi16ENS0_11FillFunctorIN3c1013Float8_e4m3fnEEESt5arrayIPcLm1EEEEviT0_T1_,@function
_ZN2at6native29vectorized_elementwise_kernelILi16ENS0_11FillFunctorIN3c1013Float8_e4m3fnEEESt5arrayIPcLm1EEEEviT0_T1_: ; @_ZN2at6native29vectorized_elementwise_kernelILi16ENS0_11FillFunctorIN3c1013Float8_e4m3fnEEESt5arrayIPcLm1EEEEviT0_T1_
; %bb.0:
	s_load_dwordx4 s[0:3], s[4:5], 0x0
	s_lshl_b32 s6, s6, 12
	s_mov_b64 s[4:5], -1
	s_waitcnt lgkmcnt(0)
	s_sub_i32 s0, s0, s6
	s_cmpk_gt_i32 s0, 0xfff
	s_cbranch_scc0 .LBB128_2
; %bb.1:
	s_ashr_i32 s5, s6, 31
	s_add_u32 s4, s2, s6
	s_addc_u32 s5, s3, s5
	s_lshl_b32 s7, s1, 8
	s_and_b32 s8, s1, 0xff
	s_or_b32 s7, s8, s7
	s_and_b32 s8, s7, 0xffff
	s_lshl_b32 s7, s7, 16
	s_or_b32 s7, s8, s7
	v_lshlrev_b32_e32 v5, 4, v0
	v_mov_b32_e32 v1, s7
	v_mov_b32_e32 v2, s7
	;; [unrolled: 1-line block ×4, first 2 shown]
	global_store_dwordx4 v5, v[1:4], s[4:5]
	s_mov_b64 s[4:5], 0
.LBB128_2:
	s_andn2_b64 vcc, exec, s[4:5]
	s_cbranch_vccnz .LBB128_20
; %bb.3:
	v_cmp_gt_i32_e32 vcc, s0, v0
	s_and_saveexec_b64 s[4:5], vcc
	s_cbranch_execnz .LBB128_21
; %bb.4:
	s_or_b64 exec, exec, s[4:5]
	v_cmp_gt_i32_e32 vcc, s0, v0
	s_and_saveexec_b64 s[4:5], vcc
	s_cbranch_execnz .LBB128_22
.LBB128_5:
	s_or_b64 exec, exec, s[4:5]
	v_cmp_gt_i32_e32 vcc, s0, v0
	s_and_saveexec_b64 s[4:5], vcc
	s_cbranch_execnz .LBB128_23
.LBB128_6:
	s_or_b64 exec, exec, s[4:5]
	v_cmp_gt_i32_e32 vcc, s0, v0
	s_and_saveexec_b64 s[4:5], vcc
	s_cbranch_execnz .LBB128_24
.LBB128_7:
	s_or_b64 exec, exec, s[4:5]
	v_cmp_gt_i32_e32 vcc, s0, v0
	s_and_saveexec_b64 s[4:5], vcc
	s_cbranch_execnz .LBB128_25
.LBB128_8:
	s_or_b64 exec, exec, s[4:5]
	v_cmp_gt_i32_e32 vcc, s0, v0
	s_and_saveexec_b64 s[4:5], vcc
	s_cbranch_execnz .LBB128_26
.LBB128_9:
	s_or_b64 exec, exec, s[4:5]
	v_cmp_gt_i32_e32 vcc, s0, v0
	s_and_saveexec_b64 s[4:5], vcc
	s_cbranch_execnz .LBB128_27
.LBB128_10:
	s_or_b64 exec, exec, s[4:5]
	v_cmp_gt_i32_e32 vcc, s0, v0
	s_and_saveexec_b64 s[4:5], vcc
	s_cbranch_execnz .LBB128_28
.LBB128_11:
	s_or_b64 exec, exec, s[4:5]
	v_cmp_gt_i32_e32 vcc, s0, v0
	s_and_saveexec_b64 s[4:5], vcc
	s_cbranch_execnz .LBB128_29
.LBB128_12:
	s_or_b64 exec, exec, s[4:5]
	v_cmp_gt_i32_e32 vcc, s0, v0
	s_and_saveexec_b64 s[4:5], vcc
	s_cbranch_execnz .LBB128_30
.LBB128_13:
	s_or_b64 exec, exec, s[4:5]
	v_cmp_gt_i32_e32 vcc, s0, v0
	s_and_saveexec_b64 s[4:5], vcc
	s_cbranch_execnz .LBB128_31
.LBB128_14:
	s_or_b64 exec, exec, s[4:5]
	v_cmp_gt_i32_e32 vcc, s0, v0
	s_and_saveexec_b64 s[4:5], vcc
	s_cbranch_execnz .LBB128_32
.LBB128_15:
	s_or_b64 exec, exec, s[4:5]
	v_cmp_gt_i32_e32 vcc, s0, v0
	s_and_saveexec_b64 s[4:5], vcc
	s_cbranch_execnz .LBB128_33
.LBB128_16:
	s_or_b64 exec, exec, s[4:5]
	v_cmp_gt_i32_e32 vcc, s0, v0
	s_and_saveexec_b64 s[4:5], vcc
	s_cbranch_execnz .LBB128_34
.LBB128_17:
	s_or_b64 exec, exec, s[4:5]
	v_cmp_gt_i32_e32 vcc, s0, v0
	s_and_saveexec_b64 s[4:5], vcc
	s_cbranch_execnz .LBB128_35
.LBB128_18:
	s_or_b64 exec, exec, s[4:5]
	v_cmp_gt_i32_e32 vcc, s0, v0
	s_and_saveexec_b64 s[4:5], vcc
	s_cbranch_execz .LBB128_20
.LBB128_19:
	v_add_u32_e32 v0, s6, v0
	v_mov_b32_e32 v1, s1
	global_store_byte v0, v1, s[2:3]
.LBB128_20:
	s_endpgm
.LBB128_21:
	v_or_b32_e32 v1, 0x100, v0
	v_or_b32_e32 v0, s6, v0
	v_mov_b32_e32 v2, s1
	global_store_byte v0, v2, s[2:3]
	v_mov_b32_e32 v0, v1
	s_or_b64 exec, exec, s[4:5]
	v_cmp_gt_i32_e32 vcc, s0, v0
	s_and_saveexec_b64 s[4:5], vcc
	s_cbranch_execz .LBB128_5
.LBB128_22:
	v_add_u32_e32 v1, s6, v0
	v_add_u32_e32 v0, 0x100, v0
	v_mov_b32_e32 v2, s1
	global_store_byte v1, v2, s[2:3]
	s_or_b64 exec, exec, s[4:5]
	v_cmp_gt_i32_e32 vcc, s0, v0
	s_and_saveexec_b64 s[4:5], vcc
	s_cbranch_execz .LBB128_6
.LBB128_23:
	v_add_u32_e32 v1, s6, v0
	v_add_u32_e32 v0, 0x100, v0
	v_mov_b32_e32 v2, s1
	global_store_byte v1, v2, s[2:3]
	s_or_b64 exec, exec, s[4:5]
	v_cmp_gt_i32_e32 vcc, s0, v0
	s_and_saveexec_b64 s[4:5], vcc
	s_cbranch_execz .LBB128_7
.LBB128_24:
	v_add_u32_e32 v1, s6, v0
	v_add_u32_e32 v0, 0x100, v0
	v_mov_b32_e32 v2, s1
	global_store_byte v1, v2, s[2:3]
	s_or_b64 exec, exec, s[4:5]
	v_cmp_gt_i32_e32 vcc, s0, v0
	s_and_saveexec_b64 s[4:5], vcc
	s_cbranch_execz .LBB128_8
.LBB128_25:
	v_add_u32_e32 v1, s6, v0
	v_add_u32_e32 v0, 0x100, v0
	v_mov_b32_e32 v2, s1
	global_store_byte v1, v2, s[2:3]
	s_or_b64 exec, exec, s[4:5]
	v_cmp_gt_i32_e32 vcc, s0, v0
	s_and_saveexec_b64 s[4:5], vcc
	s_cbranch_execz .LBB128_9
.LBB128_26:
	v_add_u32_e32 v1, s6, v0
	v_add_u32_e32 v0, 0x100, v0
	v_mov_b32_e32 v2, s1
	global_store_byte v1, v2, s[2:3]
	s_or_b64 exec, exec, s[4:5]
	v_cmp_gt_i32_e32 vcc, s0, v0
	s_and_saveexec_b64 s[4:5], vcc
	s_cbranch_execz .LBB128_10
.LBB128_27:
	v_add_u32_e32 v1, s6, v0
	v_add_u32_e32 v0, 0x100, v0
	v_mov_b32_e32 v2, s1
	global_store_byte v1, v2, s[2:3]
	s_or_b64 exec, exec, s[4:5]
	v_cmp_gt_i32_e32 vcc, s0, v0
	s_and_saveexec_b64 s[4:5], vcc
	s_cbranch_execz .LBB128_11
.LBB128_28:
	v_add_u32_e32 v1, s6, v0
	v_add_u32_e32 v0, 0x100, v0
	v_mov_b32_e32 v2, s1
	global_store_byte v1, v2, s[2:3]
	s_or_b64 exec, exec, s[4:5]
	v_cmp_gt_i32_e32 vcc, s0, v0
	s_and_saveexec_b64 s[4:5], vcc
	s_cbranch_execz .LBB128_12
.LBB128_29:
	v_add_u32_e32 v1, s6, v0
	v_add_u32_e32 v0, 0x100, v0
	v_mov_b32_e32 v2, s1
	global_store_byte v1, v2, s[2:3]
	s_or_b64 exec, exec, s[4:5]
	v_cmp_gt_i32_e32 vcc, s0, v0
	s_and_saveexec_b64 s[4:5], vcc
	s_cbranch_execz .LBB128_13
.LBB128_30:
	v_add_u32_e32 v1, s6, v0
	v_add_u32_e32 v0, 0x100, v0
	v_mov_b32_e32 v2, s1
	global_store_byte v1, v2, s[2:3]
	s_or_b64 exec, exec, s[4:5]
	v_cmp_gt_i32_e32 vcc, s0, v0
	s_and_saveexec_b64 s[4:5], vcc
	s_cbranch_execz .LBB128_14
.LBB128_31:
	v_add_u32_e32 v1, s6, v0
	v_add_u32_e32 v0, 0x100, v0
	v_mov_b32_e32 v2, s1
	global_store_byte v1, v2, s[2:3]
	s_or_b64 exec, exec, s[4:5]
	v_cmp_gt_i32_e32 vcc, s0, v0
	s_and_saveexec_b64 s[4:5], vcc
	s_cbranch_execz .LBB128_15
.LBB128_32:
	v_add_u32_e32 v1, s6, v0
	v_add_u32_e32 v0, 0x100, v0
	v_mov_b32_e32 v2, s1
	global_store_byte v1, v2, s[2:3]
	s_or_b64 exec, exec, s[4:5]
	v_cmp_gt_i32_e32 vcc, s0, v0
	s_and_saveexec_b64 s[4:5], vcc
	s_cbranch_execz .LBB128_16
.LBB128_33:
	v_add_u32_e32 v1, s6, v0
	v_add_u32_e32 v0, 0x100, v0
	v_mov_b32_e32 v2, s1
	global_store_byte v1, v2, s[2:3]
	s_or_b64 exec, exec, s[4:5]
	v_cmp_gt_i32_e32 vcc, s0, v0
	s_and_saveexec_b64 s[4:5], vcc
	s_cbranch_execz .LBB128_17
.LBB128_34:
	v_add_u32_e32 v1, s6, v0
	v_add_u32_e32 v0, 0x100, v0
	v_mov_b32_e32 v2, s1
	global_store_byte v1, v2, s[2:3]
	s_or_b64 exec, exec, s[4:5]
	v_cmp_gt_i32_e32 vcc, s0, v0
	s_and_saveexec_b64 s[4:5], vcc
	s_cbranch_execz .LBB128_18
.LBB128_35:
	v_add_u32_e32 v1, s6, v0
	v_add_u32_e32 v0, 0x100, v0
	v_mov_b32_e32 v2, s1
	global_store_byte v1, v2, s[2:3]
	s_or_b64 exec, exec, s[4:5]
	v_cmp_gt_i32_e32 vcc, s0, v0
	s_and_saveexec_b64 s[4:5], vcc
	s_cbranch_execnz .LBB128_19
	s_branch .LBB128_20
	.section	.rodata,"a",@progbits
	.p2align	6, 0x0
	.amdhsa_kernel _ZN2at6native29vectorized_elementwise_kernelILi16ENS0_11FillFunctorIN3c1013Float8_e4m3fnEEESt5arrayIPcLm1EEEEviT0_T1_
		.amdhsa_group_segment_fixed_size 0
		.amdhsa_private_segment_fixed_size 0
		.amdhsa_kernarg_size 16
		.amdhsa_user_sgpr_count 6
		.amdhsa_user_sgpr_private_segment_buffer 1
		.amdhsa_user_sgpr_dispatch_ptr 0
		.amdhsa_user_sgpr_queue_ptr 0
		.amdhsa_user_sgpr_kernarg_segment_ptr 1
		.amdhsa_user_sgpr_dispatch_id 0
		.amdhsa_user_sgpr_flat_scratch_init 0
		.amdhsa_user_sgpr_private_segment_size 0
		.amdhsa_uses_dynamic_stack 0
		.amdhsa_system_sgpr_private_segment_wavefront_offset 0
		.amdhsa_system_sgpr_workgroup_id_x 1
		.amdhsa_system_sgpr_workgroup_id_y 0
		.amdhsa_system_sgpr_workgroup_id_z 0
		.amdhsa_system_sgpr_workgroup_info 0
		.amdhsa_system_vgpr_workitem_id 0
		.amdhsa_next_free_vgpr 6
		.amdhsa_next_free_sgpr 9
		.amdhsa_reserve_vcc 1
		.amdhsa_reserve_flat_scratch 0
		.amdhsa_float_round_mode_32 0
		.amdhsa_float_round_mode_16_64 0
		.amdhsa_float_denorm_mode_32 3
		.amdhsa_float_denorm_mode_16_64 3
		.amdhsa_dx10_clamp 1
		.amdhsa_ieee_mode 1
		.amdhsa_fp16_overflow 0
		.amdhsa_exception_fp_ieee_invalid_op 0
		.amdhsa_exception_fp_denorm_src 0
		.amdhsa_exception_fp_ieee_div_zero 0
		.amdhsa_exception_fp_ieee_overflow 0
		.amdhsa_exception_fp_ieee_underflow 0
		.amdhsa_exception_fp_ieee_inexact 0
		.amdhsa_exception_int_div_zero 0
	.end_amdhsa_kernel
	.section	.text._ZN2at6native29vectorized_elementwise_kernelILi16ENS0_11FillFunctorIN3c1013Float8_e4m3fnEEESt5arrayIPcLm1EEEEviT0_T1_,"axG",@progbits,_ZN2at6native29vectorized_elementwise_kernelILi16ENS0_11FillFunctorIN3c1013Float8_e4m3fnEEESt5arrayIPcLm1EEEEviT0_T1_,comdat
.Lfunc_end128:
	.size	_ZN2at6native29vectorized_elementwise_kernelILi16ENS0_11FillFunctorIN3c1013Float8_e4m3fnEEESt5arrayIPcLm1EEEEviT0_T1_, .Lfunc_end128-_ZN2at6native29vectorized_elementwise_kernelILi16ENS0_11FillFunctorIN3c1013Float8_e4m3fnEEESt5arrayIPcLm1EEEEviT0_T1_
                                        ; -- End function
	.set _ZN2at6native29vectorized_elementwise_kernelILi16ENS0_11FillFunctorIN3c1013Float8_e4m3fnEEESt5arrayIPcLm1EEEEviT0_T1_.num_vgpr, 6
	.set _ZN2at6native29vectorized_elementwise_kernelILi16ENS0_11FillFunctorIN3c1013Float8_e4m3fnEEESt5arrayIPcLm1EEEEviT0_T1_.num_agpr, 0
	.set _ZN2at6native29vectorized_elementwise_kernelILi16ENS0_11FillFunctorIN3c1013Float8_e4m3fnEEESt5arrayIPcLm1EEEEviT0_T1_.numbered_sgpr, 9
	.set _ZN2at6native29vectorized_elementwise_kernelILi16ENS0_11FillFunctorIN3c1013Float8_e4m3fnEEESt5arrayIPcLm1EEEEviT0_T1_.num_named_barrier, 0
	.set _ZN2at6native29vectorized_elementwise_kernelILi16ENS0_11FillFunctorIN3c1013Float8_e4m3fnEEESt5arrayIPcLm1EEEEviT0_T1_.private_seg_size, 0
	.set _ZN2at6native29vectorized_elementwise_kernelILi16ENS0_11FillFunctorIN3c1013Float8_e4m3fnEEESt5arrayIPcLm1EEEEviT0_T1_.uses_vcc, 1
	.set _ZN2at6native29vectorized_elementwise_kernelILi16ENS0_11FillFunctorIN3c1013Float8_e4m3fnEEESt5arrayIPcLm1EEEEviT0_T1_.uses_flat_scratch, 0
	.set _ZN2at6native29vectorized_elementwise_kernelILi16ENS0_11FillFunctorIN3c1013Float8_e4m3fnEEESt5arrayIPcLm1EEEEviT0_T1_.has_dyn_sized_stack, 0
	.set _ZN2at6native29vectorized_elementwise_kernelILi16ENS0_11FillFunctorIN3c1013Float8_e4m3fnEEESt5arrayIPcLm1EEEEviT0_T1_.has_recursion, 0
	.set _ZN2at6native29vectorized_elementwise_kernelILi16ENS0_11FillFunctorIN3c1013Float8_e4m3fnEEESt5arrayIPcLm1EEEEviT0_T1_.has_indirect_call, 0
	.section	.AMDGPU.csdata,"",@progbits
; Kernel info:
; codeLenInByte = 996
; TotalNumSgprs: 13
; NumVgprs: 6
; ScratchSize: 0
; MemoryBound: 0
; FloatMode: 240
; IeeeMode: 1
; LDSByteSize: 0 bytes/workgroup (compile time only)
; SGPRBlocks: 1
; VGPRBlocks: 1
; NumSGPRsForWavesPerEU: 13
; NumVGPRsForWavesPerEU: 6
; Occupancy: 10
; WaveLimiterHint : 0
; COMPUTE_PGM_RSRC2:SCRATCH_EN: 0
; COMPUTE_PGM_RSRC2:USER_SGPR: 6
; COMPUTE_PGM_RSRC2:TRAP_HANDLER: 0
; COMPUTE_PGM_RSRC2:TGID_X_EN: 1
; COMPUTE_PGM_RSRC2:TGID_Y_EN: 0
; COMPUTE_PGM_RSRC2:TGID_Z_EN: 0
; COMPUTE_PGM_RSRC2:TIDIG_COMP_CNT: 0
	.section	.text._ZN2at6native29vectorized_elementwise_kernelILi8ENS0_11FillFunctorIN3c1013Float8_e4m3fnEEESt5arrayIPcLm1EEEEviT0_T1_,"axG",@progbits,_ZN2at6native29vectorized_elementwise_kernelILi8ENS0_11FillFunctorIN3c1013Float8_e4m3fnEEESt5arrayIPcLm1EEEEviT0_T1_,comdat
	.protected	_ZN2at6native29vectorized_elementwise_kernelILi8ENS0_11FillFunctorIN3c1013Float8_e4m3fnEEESt5arrayIPcLm1EEEEviT0_T1_ ; -- Begin function _ZN2at6native29vectorized_elementwise_kernelILi8ENS0_11FillFunctorIN3c1013Float8_e4m3fnEEESt5arrayIPcLm1EEEEviT0_T1_
	.globl	_ZN2at6native29vectorized_elementwise_kernelILi8ENS0_11FillFunctorIN3c1013Float8_e4m3fnEEESt5arrayIPcLm1EEEEviT0_T1_
	.p2align	8
	.type	_ZN2at6native29vectorized_elementwise_kernelILi8ENS0_11FillFunctorIN3c1013Float8_e4m3fnEEESt5arrayIPcLm1EEEEviT0_T1_,@function
_ZN2at6native29vectorized_elementwise_kernelILi8ENS0_11FillFunctorIN3c1013Float8_e4m3fnEEESt5arrayIPcLm1EEEEviT0_T1_: ; @_ZN2at6native29vectorized_elementwise_kernelILi8ENS0_11FillFunctorIN3c1013Float8_e4m3fnEEESt5arrayIPcLm1EEEEviT0_T1_
; %bb.0:
	s_load_dwordx4 s[0:3], s[4:5], 0x0
	s_lshl_b32 s6, s6, 12
	s_mov_b64 s[4:5], -1
	s_waitcnt lgkmcnt(0)
	s_sub_i32 s0, s0, s6
	s_cmpk_gt_i32 s0, 0xfff
	s_cbranch_scc0 .LBB129_2
; %bb.1:
	s_and_b32 s4, s1, 0xff
	s_mul_i32 s4, s4, 0x1010101
	s_ashr_i32 s7, s6, 31
	s_mov_b32 s5, s4
	s_add_u32 s8, s2, s6
	v_mov_b32_e32 v1, s4
	s_addc_u32 s9, s3, s7
	v_lshlrev_b32_e32 v3, 3, v0
	v_mov_b32_e32 v2, s5
	global_store_dwordx2 v3, v[1:2], s[8:9]
	global_store_dwordx2 v3, v[1:2], s[8:9] offset:2048
	s_mov_b64 s[4:5], 0
.LBB129_2:
	s_andn2_b64 vcc, exec, s[4:5]
	s_cbranch_vccnz .LBB129_20
; %bb.3:
	v_cmp_gt_i32_e32 vcc, s0, v0
	s_and_saveexec_b64 s[4:5], vcc
	s_cbranch_execnz .LBB129_21
; %bb.4:
	s_or_b64 exec, exec, s[4:5]
	v_cmp_gt_i32_e32 vcc, s0, v0
	s_and_saveexec_b64 s[4:5], vcc
	s_cbranch_execnz .LBB129_22
.LBB129_5:
	s_or_b64 exec, exec, s[4:5]
	v_cmp_gt_i32_e32 vcc, s0, v0
	s_and_saveexec_b64 s[4:5], vcc
	s_cbranch_execnz .LBB129_23
.LBB129_6:
	s_or_b64 exec, exec, s[4:5]
	v_cmp_gt_i32_e32 vcc, s0, v0
	s_and_saveexec_b64 s[4:5], vcc
	s_cbranch_execnz .LBB129_24
.LBB129_7:
	s_or_b64 exec, exec, s[4:5]
	v_cmp_gt_i32_e32 vcc, s0, v0
	s_and_saveexec_b64 s[4:5], vcc
	s_cbranch_execnz .LBB129_25
.LBB129_8:
	s_or_b64 exec, exec, s[4:5]
	v_cmp_gt_i32_e32 vcc, s0, v0
	s_and_saveexec_b64 s[4:5], vcc
	s_cbranch_execnz .LBB129_26
.LBB129_9:
	s_or_b64 exec, exec, s[4:5]
	v_cmp_gt_i32_e32 vcc, s0, v0
	s_and_saveexec_b64 s[4:5], vcc
	s_cbranch_execnz .LBB129_27
.LBB129_10:
	s_or_b64 exec, exec, s[4:5]
	v_cmp_gt_i32_e32 vcc, s0, v0
	s_and_saveexec_b64 s[4:5], vcc
	s_cbranch_execnz .LBB129_28
.LBB129_11:
	s_or_b64 exec, exec, s[4:5]
	v_cmp_gt_i32_e32 vcc, s0, v0
	s_and_saveexec_b64 s[4:5], vcc
	s_cbranch_execnz .LBB129_29
.LBB129_12:
	s_or_b64 exec, exec, s[4:5]
	v_cmp_gt_i32_e32 vcc, s0, v0
	s_and_saveexec_b64 s[4:5], vcc
	s_cbranch_execnz .LBB129_30
.LBB129_13:
	s_or_b64 exec, exec, s[4:5]
	v_cmp_gt_i32_e32 vcc, s0, v0
	s_and_saveexec_b64 s[4:5], vcc
	s_cbranch_execnz .LBB129_31
.LBB129_14:
	s_or_b64 exec, exec, s[4:5]
	v_cmp_gt_i32_e32 vcc, s0, v0
	s_and_saveexec_b64 s[4:5], vcc
	s_cbranch_execnz .LBB129_32
.LBB129_15:
	s_or_b64 exec, exec, s[4:5]
	v_cmp_gt_i32_e32 vcc, s0, v0
	s_and_saveexec_b64 s[4:5], vcc
	s_cbranch_execnz .LBB129_33
.LBB129_16:
	s_or_b64 exec, exec, s[4:5]
	v_cmp_gt_i32_e32 vcc, s0, v0
	s_and_saveexec_b64 s[4:5], vcc
	s_cbranch_execnz .LBB129_34
.LBB129_17:
	s_or_b64 exec, exec, s[4:5]
	v_cmp_gt_i32_e32 vcc, s0, v0
	s_and_saveexec_b64 s[4:5], vcc
	s_cbranch_execnz .LBB129_35
.LBB129_18:
	s_or_b64 exec, exec, s[4:5]
	v_cmp_gt_i32_e32 vcc, s0, v0
	s_and_saveexec_b64 s[4:5], vcc
	s_cbranch_execz .LBB129_20
.LBB129_19:
	v_add_u32_e32 v0, s6, v0
	v_mov_b32_e32 v1, s1
	global_store_byte v0, v1, s[2:3]
.LBB129_20:
	s_endpgm
.LBB129_21:
	v_or_b32_e32 v1, 0x100, v0
	v_or_b32_e32 v0, s6, v0
	v_mov_b32_e32 v2, s1
	global_store_byte v0, v2, s[2:3]
	v_mov_b32_e32 v0, v1
	s_or_b64 exec, exec, s[4:5]
	v_cmp_gt_i32_e32 vcc, s0, v0
	s_and_saveexec_b64 s[4:5], vcc
	s_cbranch_execz .LBB129_5
.LBB129_22:
	v_add_u32_e32 v1, s6, v0
	v_add_u32_e32 v0, 0x100, v0
	v_mov_b32_e32 v2, s1
	global_store_byte v1, v2, s[2:3]
	s_or_b64 exec, exec, s[4:5]
	v_cmp_gt_i32_e32 vcc, s0, v0
	s_and_saveexec_b64 s[4:5], vcc
	s_cbranch_execz .LBB129_6
.LBB129_23:
	v_add_u32_e32 v1, s6, v0
	v_add_u32_e32 v0, 0x100, v0
	v_mov_b32_e32 v2, s1
	global_store_byte v1, v2, s[2:3]
	s_or_b64 exec, exec, s[4:5]
	v_cmp_gt_i32_e32 vcc, s0, v0
	s_and_saveexec_b64 s[4:5], vcc
	s_cbranch_execz .LBB129_7
.LBB129_24:
	v_add_u32_e32 v1, s6, v0
	v_add_u32_e32 v0, 0x100, v0
	v_mov_b32_e32 v2, s1
	global_store_byte v1, v2, s[2:3]
	s_or_b64 exec, exec, s[4:5]
	v_cmp_gt_i32_e32 vcc, s0, v0
	s_and_saveexec_b64 s[4:5], vcc
	s_cbranch_execz .LBB129_8
.LBB129_25:
	v_add_u32_e32 v1, s6, v0
	v_add_u32_e32 v0, 0x100, v0
	v_mov_b32_e32 v2, s1
	global_store_byte v1, v2, s[2:3]
	s_or_b64 exec, exec, s[4:5]
	v_cmp_gt_i32_e32 vcc, s0, v0
	s_and_saveexec_b64 s[4:5], vcc
	s_cbranch_execz .LBB129_9
.LBB129_26:
	v_add_u32_e32 v1, s6, v0
	v_add_u32_e32 v0, 0x100, v0
	v_mov_b32_e32 v2, s1
	global_store_byte v1, v2, s[2:3]
	s_or_b64 exec, exec, s[4:5]
	v_cmp_gt_i32_e32 vcc, s0, v0
	s_and_saveexec_b64 s[4:5], vcc
	s_cbranch_execz .LBB129_10
.LBB129_27:
	v_add_u32_e32 v1, s6, v0
	v_add_u32_e32 v0, 0x100, v0
	v_mov_b32_e32 v2, s1
	global_store_byte v1, v2, s[2:3]
	s_or_b64 exec, exec, s[4:5]
	v_cmp_gt_i32_e32 vcc, s0, v0
	s_and_saveexec_b64 s[4:5], vcc
	s_cbranch_execz .LBB129_11
.LBB129_28:
	v_add_u32_e32 v1, s6, v0
	v_add_u32_e32 v0, 0x100, v0
	v_mov_b32_e32 v2, s1
	global_store_byte v1, v2, s[2:3]
	s_or_b64 exec, exec, s[4:5]
	v_cmp_gt_i32_e32 vcc, s0, v0
	s_and_saveexec_b64 s[4:5], vcc
	s_cbranch_execz .LBB129_12
.LBB129_29:
	v_add_u32_e32 v1, s6, v0
	v_add_u32_e32 v0, 0x100, v0
	v_mov_b32_e32 v2, s1
	global_store_byte v1, v2, s[2:3]
	s_or_b64 exec, exec, s[4:5]
	v_cmp_gt_i32_e32 vcc, s0, v0
	s_and_saveexec_b64 s[4:5], vcc
	s_cbranch_execz .LBB129_13
.LBB129_30:
	v_add_u32_e32 v1, s6, v0
	v_add_u32_e32 v0, 0x100, v0
	v_mov_b32_e32 v2, s1
	global_store_byte v1, v2, s[2:3]
	s_or_b64 exec, exec, s[4:5]
	v_cmp_gt_i32_e32 vcc, s0, v0
	s_and_saveexec_b64 s[4:5], vcc
	s_cbranch_execz .LBB129_14
.LBB129_31:
	v_add_u32_e32 v1, s6, v0
	v_add_u32_e32 v0, 0x100, v0
	v_mov_b32_e32 v2, s1
	global_store_byte v1, v2, s[2:3]
	s_or_b64 exec, exec, s[4:5]
	v_cmp_gt_i32_e32 vcc, s0, v0
	s_and_saveexec_b64 s[4:5], vcc
	s_cbranch_execz .LBB129_15
.LBB129_32:
	v_add_u32_e32 v1, s6, v0
	v_add_u32_e32 v0, 0x100, v0
	v_mov_b32_e32 v2, s1
	global_store_byte v1, v2, s[2:3]
	s_or_b64 exec, exec, s[4:5]
	v_cmp_gt_i32_e32 vcc, s0, v0
	s_and_saveexec_b64 s[4:5], vcc
	s_cbranch_execz .LBB129_16
.LBB129_33:
	v_add_u32_e32 v1, s6, v0
	v_add_u32_e32 v0, 0x100, v0
	v_mov_b32_e32 v2, s1
	global_store_byte v1, v2, s[2:3]
	s_or_b64 exec, exec, s[4:5]
	v_cmp_gt_i32_e32 vcc, s0, v0
	s_and_saveexec_b64 s[4:5], vcc
	s_cbranch_execz .LBB129_17
.LBB129_34:
	v_add_u32_e32 v1, s6, v0
	v_add_u32_e32 v0, 0x100, v0
	v_mov_b32_e32 v2, s1
	global_store_byte v1, v2, s[2:3]
	s_or_b64 exec, exec, s[4:5]
	v_cmp_gt_i32_e32 vcc, s0, v0
	s_and_saveexec_b64 s[4:5], vcc
	s_cbranch_execz .LBB129_18
.LBB129_35:
	v_add_u32_e32 v1, s6, v0
	v_add_u32_e32 v0, 0x100, v0
	v_mov_b32_e32 v2, s1
	global_store_byte v1, v2, s[2:3]
	s_or_b64 exec, exec, s[4:5]
	v_cmp_gt_i32_e32 vcc, s0, v0
	s_and_saveexec_b64 s[4:5], vcc
	s_cbranch_execnz .LBB129_19
	s_branch .LBB129_20
	.section	.rodata,"a",@progbits
	.p2align	6, 0x0
	.amdhsa_kernel _ZN2at6native29vectorized_elementwise_kernelILi8ENS0_11FillFunctorIN3c1013Float8_e4m3fnEEESt5arrayIPcLm1EEEEviT0_T1_
		.amdhsa_group_segment_fixed_size 0
		.amdhsa_private_segment_fixed_size 0
		.amdhsa_kernarg_size 16
		.amdhsa_user_sgpr_count 6
		.amdhsa_user_sgpr_private_segment_buffer 1
		.amdhsa_user_sgpr_dispatch_ptr 0
		.amdhsa_user_sgpr_queue_ptr 0
		.amdhsa_user_sgpr_kernarg_segment_ptr 1
		.amdhsa_user_sgpr_dispatch_id 0
		.amdhsa_user_sgpr_flat_scratch_init 0
		.amdhsa_user_sgpr_private_segment_size 0
		.amdhsa_uses_dynamic_stack 0
		.amdhsa_system_sgpr_private_segment_wavefront_offset 0
		.amdhsa_system_sgpr_workgroup_id_x 1
		.amdhsa_system_sgpr_workgroup_id_y 0
		.amdhsa_system_sgpr_workgroup_id_z 0
		.amdhsa_system_sgpr_workgroup_info 0
		.amdhsa_system_vgpr_workitem_id 0
		.amdhsa_next_free_vgpr 4
		.amdhsa_next_free_sgpr 10
		.amdhsa_reserve_vcc 1
		.amdhsa_reserve_flat_scratch 0
		.amdhsa_float_round_mode_32 0
		.amdhsa_float_round_mode_16_64 0
		.amdhsa_float_denorm_mode_32 3
		.amdhsa_float_denorm_mode_16_64 3
		.amdhsa_dx10_clamp 1
		.amdhsa_ieee_mode 1
		.amdhsa_fp16_overflow 0
		.amdhsa_exception_fp_ieee_invalid_op 0
		.amdhsa_exception_fp_denorm_src 0
		.amdhsa_exception_fp_ieee_div_zero 0
		.amdhsa_exception_fp_ieee_overflow 0
		.amdhsa_exception_fp_ieee_underflow 0
		.amdhsa_exception_fp_ieee_inexact 0
		.amdhsa_exception_int_div_zero 0
	.end_amdhsa_kernel
	.section	.text._ZN2at6native29vectorized_elementwise_kernelILi8ENS0_11FillFunctorIN3c1013Float8_e4m3fnEEESt5arrayIPcLm1EEEEviT0_T1_,"axG",@progbits,_ZN2at6native29vectorized_elementwise_kernelILi8ENS0_11FillFunctorIN3c1013Float8_e4m3fnEEESt5arrayIPcLm1EEEEviT0_T1_,comdat
.Lfunc_end129:
	.size	_ZN2at6native29vectorized_elementwise_kernelILi8ENS0_11FillFunctorIN3c1013Float8_e4m3fnEEESt5arrayIPcLm1EEEEviT0_T1_, .Lfunc_end129-_ZN2at6native29vectorized_elementwise_kernelILi8ENS0_11FillFunctorIN3c1013Float8_e4m3fnEEESt5arrayIPcLm1EEEEviT0_T1_
                                        ; -- End function
	.set _ZN2at6native29vectorized_elementwise_kernelILi8ENS0_11FillFunctorIN3c1013Float8_e4m3fnEEESt5arrayIPcLm1EEEEviT0_T1_.num_vgpr, 4
	.set _ZN2at6native29vectorized_elementwise_kernelILi8ENS0_11FillFunctorIN3c1013Float8_e4m3fnEEESt5arrayIPcLm1EEEEviT0_T1_.num_agpr, 0
	.set _ZN2at6native29vectorized_elementwise_kernelILi8ENS0_11FillFunctorIN3c1013Float8_e4m3fnEEESt5arrayIPcLm1EEEEviT0_T1_.numbered_sgpr, 10
	.set _ZN2at6native29vectorized_elementwise_kernelILi8ENS0_11FillFunctorIN3c1013Float8_e4m3fnEEESt5arrayIPcLm1EEEEviT0_T1_.num_named_barrier, 0
	.set _ZN2at6native29vectorized_elementwise_kernelILi8ENS0_11FillFunctorIN3c1013Float8_e4m3fnEEESt5arrayIPcLm1EEEEviT0_T1_.private_seg_size, 0
	.set _ZN2at6native29vectorized_elementwise_kernelILi8ENS0_11FillFunctorIN3c1013Float8_e4m3fnEEESt5arrayIPcLm1EEEEviT0_T1_.uses_vcc, 1
	.set _ZN2at6native29vectorized_elementwise_kernelILi8ENS0_11FillFunctorIN3c1013Float8_e4m3fnEEESt5arrayIPcLm1EEEEviT0_T1_.uses_flat_scratch, 0
	.set _ZN2at6native29vectorized_elementwise_kernelILi8ENS0_11FillFunctorIN3c1013Float8_e4m3fnEEESt5arrayIPcLm1EEEEviT0_T1_.has_dyn_sized_stack, 0
	.set _ZN2at6native29vectorized_elementwise_kernelILi8ENS0_11FillFunctorIN3c1013Float8_e4m3fnEEESt5arrayIPcLm1EEEEviT0_T1_.has_recursion, 0
	.set _ZN2at6native29vectorized_elementwise_kernelILi8ENS0_11FillFunctorIN3c1013Float8_e4m3fnEEESt5arrayIPcLm1EEEEviT0_T1_.has_indirect_call, 0
	.section	.AMDGPU.csdata,"",@progbits
; Kernel info:
; codeLenInByte = 984
; TotalNumSgprs: 14
; NumVgprs: 4
; ScratchSize: 0
; MemoryBound: 0
; FloatMode: 240
; IeeeMode: 1
; LDSByteSize: 0 bytes/workgroup (compile time only)
; SGPRBlocks: 1
; VGPRBlocks: 0
; NumSGPRsForWavesPerEU: 14
; NumVGPRsForWavesPerEU: 4
; Occupancy: 10
; WaveLimiterHint : 1
; COMPUTE_PGM_RSRC2:SCRATCH_EN: 0
; COMPUTE_PGM_RSRC2:USER_SGPR: 6
; COMPUTE_PGM_RSRC2:TRAP_HANDLER: 0
; COMPUTE_PGM_RSRC2:TGID_X_EN: 1
; COMPUTE_PGM_RSRC2:TGID_Y_EN: 0
; COMPUTE_PGM_RSRC2:TGID_Z_EN: 0
; COMPUTE_PGM_RSRC2:TIDIG_COMP_CNT: 0
	.section	.text._ZN2at6native29vectorized_elementwise_kernelILi4ENS0_11FillFunctorIN3c1013Float8_e4m3fnEEESt5arrayIPcLm1EEEEviT0_T1_,"axG",@progbits,_ZN2at6native29vectorized_elementwise_kernelILi4ENS0_11FillFunctorIN3c1013Float8_e4m3fnEEESt5arrayIPcLm1EEEEviT0_T1_,comdat
	.protected	_ZN2at6native29vectorized_elementwise_kernelILi4ENS0_11FillFunctorIN3c1013Float8_e4m3fnEEESt5arrayIPcLm1EEEEviT0_T1_ ; -- Begin function _ZN2at6native29vectorized_elementwise_kernelILi4ENS0_11FillFunctorIN3c1013Float8_e4m3fnEEESt5arrayIPcLm1EEEEviT0_T1_
	.globl	_ZN2at6native29vectorized_elementwise_kernelILi4ENS0_11FillFunctorIN3c1013Float8_e4m3fnEEESt5arrayIPcLm1EEEEviT0_T1_
	.p2align	8
	.type	_ZN2at6native29vectorized_elementwise_kernelILi4ENS0_11FillFunctorIN3c1013Float8_e4m3fnEEESt5arrayIPcLm1EEEEviT0_T1_,@function
_ZN2at6native29vectorized_elementwise_kernelILi4ENS0_11FillFunctorIN3c1013Float8_e4m3fnEEESt5arrayIPcLm1EEEEviT0_T1_: ; @_ZN2at6native29vectorized_elementwise_kernelILi4ENS0_11FillFunctorIN3c1013Float8_e4m3fnEEESt5arrayIPcLm1EEEEviT0_T1_
; %bb.0:
	s_load_dwordx4 s[0:3], s[4:5], 0x0
	s_lshl_b32 s6, s6, 12
	s_mov_b64 s[4:5], -1
	s_waitcnt lgkmcnt(0)
	s_sub_i32 s0, s0, s6
	s_cmpk_gt_i32 s0, 0xfff
	s_cbranch_scc0 .LBB130_2
; %bb.1:
	s_and_b32 s4, s1, 0xff
	s_ashr_i32 s5, s6, 31
	s_mul_i32 s7, s4, 0x1010101
	s_add_u32 s4, s2, s6
	s_addc_u32 s5, s3, s5
	v_lshlrev_b32_e32 v1, 2, v0
	v_mov_b32_e32 v2, s7
	global_store_dword v1, v2, s[4:5]
	global_store_dword v1, v2, s[4:5] offset:1024
	global_store_dword v1, v2, s[4:5] offset:2048
	global_store_dword v1, v2, s[4:5] offset:3072
	s_mov_b64 s[4:5], 0
.LBB130_2:
	s_andn2_b64 vcc, exec, s[4:5]
	s_cbranch_vccnz .LBB130_20
; %bb.3:
	v_cmp_gt_i32_e32 vcc, s0, v0
	s_and_saveexec_b64 s[4:5], vcc
	s_cbranch_execnz .LBB130_21
; %bb.4:
	s_or_b64 exec, exec, s[4:5]
	v_cmp_gt_i32_e32 vcc, s0, v0
	s_and_saveexec_b64 s[4:5], vcc
	s_cbranch_execnz .LBB130_22
.LBB130_5:
	s_or_b64 exec, exec, s[4:5]
	v_cmp_gt_i32_e32 vcc, s0, v0
	s_and_saveexec_b64 s[4:5], vcc
	s_cbranch_execnz .LBB130_23
.LBB130_6:
	s_or_b64 exec, exec, s[4:5]
	v_cmp_gt_i32_e32 vcc, s0, v0
	s_and_saveexec_b64 s[4:5], vcc
	s_cbranch_execnz .LBB130_24
.LBB130_7:
	s_or_b64 exec, exec, s[4:5]
	v_cmp_gt_i32_e32 vcc, s0, v0
	s_and_saveexec_b64 s[4:5], vcc
	s_cbranch_execnz .LBB130_25
.LBB130_8:
	s_or_b64 exec, exec, s[4:5]
	v_cmp_gt_i32_e32 vcc, s0, v0
	s_and_saveexec_b64 s[4:5], vcc
	s_cbranch_execnz .LBB130_26
.LBB130_9:
	s_or_b64 exec, exec, s[4:5]
	v_cmp_gt_i32_e32 vcc, s0, v0
	s_and_saveexec_b64 s[4:5], vcc
	s_cbranch_execnz .LBB130_27
.LBB130_10:
	s_or_b64 exec, exec, s[4:5]
	v_cmp_gt_i32_e32 vcc, s0, v0
	s_and_saveexec_b64 s[4:5], vcc
	s_cbranch_execnz .LBB130_28
.LBB130_11:
	s_or_b64 exec, exec, s[4:5]
	v_cmp_gt_i32_e32 vcc, s0, v0
	s_and_saveexec_b64 s[4:5], vcc
	s_cbranch_execnz .LBB130_29
.LBB130_12:
	s_or_b64 exec, exec, s[4:5]
	v_cmp_gt_i32_e32 vcc, s0, v0
	s_and_saveexec_b64 s[4:5], vcc
	s_cbranch_execnz .LBB130_30
.LBB130_13:
	s_or_b64 exec, exec, s[4:5]
	v_cmp_gt_i32_e32 vcc, s0, v0
	s_and_saveexec_b64 s[4:5], vcc
	s_cbranch_execnz .LBB130_31
.LBB130_14:
	s_or_b64 exec, exec, s[4:5]
	v_cmp_gt_i32_e32 vcc, s0, v0
	s_and_saveexec_b64 s[4:5], vcc
	s_cbranch_execnz .LBB130_32
.LBB130_15:
	s_or_b64 exec, exec, s[4:5]
	v_cmp_gt_i32_e32 vcc, s0, v0
	s_and_saveexec_b64 s[4:5], vcc
	s_cbranch_execnz .LBB130_33
.LBB130_16:
	s_or_b64 exec, exec, s[4:5]
	v_cmp_gt_i32_e32 vcc, s0, v0
	s_and_saveexec_b64 s[4:5], vcc
	s_cbranch_execnz .LBB130_34
.LBB130_17:
	s_or_b64 exec, exec, s[4:5]
	v_cmp_gt_i32_e32 vcc, s0, v0
	s_and_saveexec_b64 s[4:5], vcc
	s_cbranch_execnz .LBB130_35
.LBB130_18:
	s_or_b64 exec, exec, s[4:5]
	v_cmp_gt_i32_e32 vcc, s0, v0
	s_and_saveexec_b64 s[4:5], vcc
	s_cbranch_execz .LBB130_20
.LBB130_19:
	v_add_u32_e32 v0, s6, v0
	v_mov_b32_e32 v1, s1
	global_store_byte v0, v1, s[2:3]
.LBB130_20:
	s_endpgm
.LBB130_21:
	v_or_b32_e32 v1, 0x100, v0
	v_or_b32_e32 v0, s6, v0
	v_mov_b32_e32 v2, s1
	global_store_byte v0, v2, s[2:3]
	v_mov_b32_e32 v0, v1
	s_or_b64 exec, exec, s[4:5]
	v_cmp_gt_i32_e32 vcc, s0, v0
	s_and_saveexec_b64 s[4:5], vcc
	s_cbranch_execz .LBB130_5
.LBB130_22:
	v_add_u32_e32 v1, s6, v0
	v_add_u32_e32 v0, 0x100, v0
	v_mov_b32_e32 v2, s1
	global_store_byte v1, v2, s[2:3]
	s_or_b64 exec, exec, s[4:5]
	v_cmp_gt_i32_e32 vcc, s0, v0
	s_and_saveexec_b64 s[4:5], vcc
	s_cbranch_execz .LBB130_6
.LBB130_23:
	v_add_u32_e32 v1, s6, v0
	v_add_u32_e32 v0, 0x100, v0
	v_mov_b32_e32 v2, s1
	global_store_byte v1, v2, s[2:3]
	s_or_b64 exec, exec, s[4:5]
	v_cmp_gt_i32_e32 vcc, s0, v0
	s_and_saveexec_b64 s[4:5], vcc
	s_cbranch_execz .LBB130_7
.LBB130_24:
	v_add_u32_e32 v1, s6, v0
	v_add_u32_e32 v0, 0x100, v0
	v_mov_b32_e32 v2, s1
	global_store_byte v1, v2, s[2:3]
	s_or_b64 exec, exec, s[4:5]
	v_cmp_gt_i32_e32 vcc, s0, v0
	s_and_saveexec_b64 s[4:5], vcc
	s_cbranch_execz .LBB130_8
.LBB130_25:
	v_add_u32_e32 v1, s6, v0
	v_add_u32_e32 v0, 0x100, v0
	v_mov_b32_e32 v2, s1
	global_store_byte v1, v2, s[2:3]
	s_or_b64 exec, exec, s[4:5]
	v_cmp_gt_i32_e32 vcc, s0, v0
	s_and_saveexec_b64 s[4:5], vcc
	s_cbranch_execz .LBB130_9
.LBB130_26:
	v_add_u32_e32 v1, s6, v0
	v_add_u32_e32 v0, 0x100, v0
	v_mov_b32_e32 v2, s1
	global_store_byte v1, v2, s[2:3]
	s_or_b64 exec, exec, s[4:5]
	v_cmp_gt_i32_e32 vcc, s0, v0
	s_and_saveexec_b64 s[4:5], vcc
	s_cbranch_execz .LBB130_10
.LBB130_27:
	v_add_u32_e32 v1, s6, v0
	v_add_u32_e32 v0, 0x100, v0
	v_mov_b32_e32 v2, s1
	global_store_byte v1, v2, s[2:3]
	s_or_b64 exec, exec, s[4:5]
	v_cmp_gt_i32_e32 vcc, s0, v0
	s_and_saveexec_b64 s[4:5], vcc
	s_cbranch_execz .LBB130_11
.LBB130_28:
	v_add_u32_e32 v1, s6, v0
	v_add_u32_e32 v0, 0x100, v0
	v_mov_b32_e32 v2, s1
	global_store_byte v1, v2, s[2:3]
	s_or_b64 exec, exec, s[4:5]
	v_cmp_gt_i32_e32 vcc, s0, v0
	s_and_saveexec_b64 s[4:5], vcc
	s_cbranch_execz .LBB130_12
.LBB130_29:
	v_add_u32_e32 v1, s6, v0
	v_add_u32_e32 v0, 0x100, v0
	v_mov_b32_e32 v2, s1
	global_store_byte v1, v2, s[2:3]
	s_or_b64 exec, exec, s[4:5]
	v_cmp_gt_i32_e32 vcc, s0, v0
	s_and_saveexec_b64 s[4:5], vcc
	s_cbranch_execz .LBB130_13
.LBB130_30:
	v_add_u32_e32 v1, s6, v0
	v_add_u32_e32 v0, 0x100, v0
	v_mov_b32_e32 v2, s1
	global_store_byte v1, v2, s[2:3]
	s_or_b64 exec, exec, s[4:5]
	v_cmp_gt_i32_e32 vcc, s0, v0
	s_and_saveexec_b64 s[4:5], vcc
	s_cbranch_execz .LBB130_14
.LBB130_31:
	v_add_u32_e32 v1, s6, v0
	v_add_u32_e32 v0, 0x100, v0
	v_mov_b32_e32 v2, s1
	global_store_byte v1, v2, s[2:3]
	s_or_b64 exec, exec, s[4:5]
	v_cmp_gt_i32_e32 vcc, s0, v0
	s_and_saveexec_b64 s[4:5], vcc
	s_cbranch_execz .LBB130_15
.LBB130_32:
	v_add_u32_e32 v1, s6, v0
	v_add_u32_e32 v0, 0x100, v0
	v_mov_b32_e32 v2, s1
	global_store_byte v1, v2, s[2:3]
	s_or_b64 exec, exec, s[4:5]
	v_cmp_gt_i32_e32 vcc, s0, v0
	s_and_saveexec_b64 s[4:5], vcc
	s_cbranch_execz .LBB130_16
.LBB130_33:
	v_add_u32_e32 v1, s6, v0
	v_add_u32_e32 v0, 0x100, v0
	v_mov_b32_e32 v2, s1
	global_store_byte v1, v2, s[2:3]
	s_or_b64 exec, exec, s[4:5]
	v_cmp_gt_i32_e32 vcc, s0, v0
	s_and_saveexec_b64 s[4:5], vcc
	s_cbranch_execz .LBB130_17
.LBB130_34:
	v_add_u32_e32 v1, s6, v0
	v_add_u32_e32 v0, 0x100, v0
	v_mov_b32_e32 v2, s1
	global_store_byte v1, v2, s[2:3]
	s_or_b64 exec, exec, s[4:5]
	v_cmp_gt_i32_e32 vcc, s0, v0
	s_and_saveexec_b64 s[4:5], vcc
	s_cbranch_execz .LBB130_18
.LBB130_35:
	v_add_u32_e32 v1, s6, v0
	v_add_u32_e32 v0, 0x100, v0
	v_mov_b32_e32 v2, s1
	global_store_byte v1, v2, s[2:3]
	s_or_b64 exec, exec, s[4:5]
	v_cmp_gt_i32_e32 vcc, s0, v0
	s_and_saveexec_b64 s[4:5], vcc
	s_cbranch_execnz .LBB130_19
	s_branch .LBB130_20
	.section	.rodata,"a",@progbits
	.p2align	6, 0x0
	.amdhsa_kernel _ZN2at6native29vectorized_elementwise_kernelILi4ENS0_11FillFunctorIN3c1013Float8_e4m3fnEEESt5arrayIPcLm1EEEEviT0_T1_
		.amdhsa_group_segment_fixed_size 0
		.amdhsa_private_segment_fixed_size 0
		.amdhsa_kernarg_size 16
		.amdhsa_user_sgpr_count 6
		.amdhsa_user_sgpr_private_segment_buffer 1
		.amdhsa_user_sgpr_dispatch_ptr 0
		.amdhsa_user_sgpr_queue_ptr 0
		.amdhsa_user_sgpr_kernarg_segment_ptr 1
		.amdhsa_user_sgpr_dispatch_id 0
		.amdhsa_user_sgpr_flat_scratch_init 0
		.amdhsa_user_sgpr_private_segment_size 0
		.amdhsa_uses_dynamic_stack 0
		.amdhsa_system_sgpr_private_segment_wavefront_offset 0
		.amdhsa_system_sgpr_workgroup_id_x 1
		.amdhsa_system_sgpr_workgroup_id_y 0
		.amdhsa_system_sgpr_workgroup_id_z 0
		.amdhsa_system_sgpr_workgroup_info 0
		.amdhsa_system_vgpr_workitem_id 0
		.amdhsa_next_free_vgpr 3
		.amdhsa_next_free_sgpr 8
		.amdhsa_reserve_vcc 1
		.amdhsa_reserve_flat_scratch 0
		.amdhsa_float_round_mode_32 0
		.amdhsa_float_round_mode_16_64 0
		.amdhsa_float_denorm_mode_32 3
		.amdhsa_float_denorm_mode_16_64 3
		.amdhsa_dx10_clamp 1
		.amdhsa_ieee_mode 1
		.amdhsa_fp16_overflow 0
		.amdhsa_exception_fp_ieee_invalid_op 0
		.amdhsa_exception_fp_denorm_src 0
		.amdhsa_exception_fp_ieee_div_zero 0
		.amdhsa_exception_fp_ieee_overflow 0
		.amdhsa_exception_fp_ieee_underflow 0
		.amdhsa_exception_fp_ieee_inexact 0
		.amdhsa_exception_int_div_zero 0
	.end_amdhsa_kernel
	.section	.text._ZN2at6native29vectorized_elementwise_kernelILi4ENS0_11FillFunctorIN3c1013Float8_e4m3fnEEESt5arrayIPcLm1EEEEviT0_T1_,"axG",@progbits,_ZN2at6native29vectorized_elementwise_kernelILi4ENS0_11FillFunctorIN3c1013Float8_e4m3fnEEESt5arrayIPcLm1EEEEviT0_T1_,comdat
.Lfunc_end130:
	.size	_ZN2at6native29vectorized_elementwise_kernelILi4ENS0_11FillFunctorIN3c1013Float8_e4m3fnEEESt5arrayIPcLm1EEEEviT0_T1_, .Lfunc_end130-_ZN2at6native29vectorized_elementwise_kernelILi4ENS0_11FillFunctorIN3c1013Float8_e4m3fnEEESt5arrayIPcLm1EEEEviT0_T1_
                                        ; -- End function
	.set _ZN2at6native29vectorized_elementwise_kernelILi4ENS0_11FillFunctorIN3c1013Float8_e4m3fnEEESt5arrayIPcLm1EEEEviT0_T1_.num_vgpr, 3
	.set _ZN2at6native29vectorized_elementwise_kernelILi4ENS0_11FillFunctorIN3c1013Float8_e4m3fnEEESt5arrayIPcLm1EEEEviT0_T1_.num_agpr, 0
	.set _ZN2at6native29vectorized_elementwise_kernelILi4ENS0_11FillFunctorIN3c1013Float8_e4m3fnEEESt5arrayIPcLm1EEEEviT0_T1_.numbered_sgpr, 8
	.set _ZN2at6native29vectorized_elementwise_kernelILi4ENS0_11FillFunctorIN3c1013Float8_e4m3fnEEESt5arrayIPcLm1EEEEviT0_T1_.num_named_barrier, 0
	.set _ZN2at6native29vectorized_elementwise_kernelILi4ENS0_11FillFunctorIN3c1013Float8_e4m3fnEEESt5arrayIPcLm1EEEEviT0_T1_.private_seg_size, 0
	.set _ZN2at6native29vectorized_elementwise_kernelILi4ENS0_11FillFunctorIN3c1013Float8_e4m3fnEEESt5arrayIPcLm1EEEEviT0_T1_.uses_vcc, 1
	.set _ZN2at6native29vectorized_elementwise_kernelILi4ENS0_11FillFunctorIN3c1013Float8_e4m3fnEEESt5arrayIPcLm1EEEEviT0_T1_.uses_flat_scratch, 0
	.set _ZN2at6native29vectorized_elementwise_kernelILi4ENS0_11FillFunctorIN3c1013Float8_e4m3fnEEESt5arrayIPcLm1EEEEviT0_T1_.has_dyn_sized_stack, 0
	.set _ZN2at6native29vectorized_elementwise_kernelILi4ENS0_11FillFunctorIN3c1013Float8_e4m3fnEEESt5arrayIPcLm1EEEEviT0_T1_.has_recursion, 0
	.set _ZN2at6native29vectorized_elementwise_kernelILi4ENS0_11FillFunctorIN3c1013Float8_e4m3fnEEESt5arrayIPcLm1EEEEviT0_T1_.has_indirect_call, 0
	.section	.AMDGPU.csdata,"",@progbits
; Kernel info:
; codeLenInByte = 992
; TotalNumSgprs: 12
; NumVgprs: 3
; ScratchSize: 0
; MemoryBound: 0
; FloatMode: 240
; IeeeMode: 1
; LDSByteSize: 0 bytes/workgroup (compile time only)
; SGPRBlocks: 1
; VGPRBlocks: 0
; NumSGPRsForWavesPerEU: 12
; NumVGPRsForWavesPerEU: 3
; Occupancy: 10
; WaveLimiterHint : 1
; COMPUTE_PGM_RSRC2:SCRATCH_EN: 0
; COMPUTE_PGM_RSRC2:USER_SGPR: 6
; COMPUTE_PGM_RSRC2:TRAP_HANDLER: 0
; COMPUTE_PGM_RSRC2:TGID_X_EN: 1
; COMPUTE_PGM_RSRC2:TGID_Y_EN: 0
; COMPUTE_PGM_RSRC2:TGID_Z_EN: 0
; COMPUTE_PGM_RSRC2:TIDIG_COMP_CNT: 0
	.section	.text._ZN2at6native29vectorized_elementwise_kernelILi2ENS0_11FillFunctorIN3c1013Float8_e4m3fnEEESt5arrayIPcLm1EEEEviT0_T1_,"axG",@progbits,_ZN2at6native29vectorized_elementwise_kernelILi2ENS0_11FillFunctorIN3c1013Float8_e4m3fnEEESt5arrayIPcLm1EEEEviT0_T1_,comdat
	.protected	_ZN2at6native29vectorized_elementwise_kernelILi2ENS0_11FillFunctorIN3c1013Float8_e4m3fnEEESt5arrayIPcLm1EEEEviT0_T1_ ; -- Begin function _ZN2at6native29vectorized_elementwise_kernelILi2ENS0_11FillFunctorIN3c1013Float8_e4m3fnEEESt5arrayIPcLm1EEEEviT0_T1_
	.globl	_ZN2at6native29vectorized_elementwise_kernelILi2ENS0_11FillFunctorIN3c1013Float8_e4m3fnEEESt5arrayIPcLm1EEEEviT0_T1_
	.p2align	8
	.type	_ZN2at6native29vectorized_elementwise_kernelILi2ENS0_11FillFunctorIN3c1013Float8_e4m3fnEEESt5arrayIPcLm1EEEEviT0_T1_,@function
_ZN2at6native29vectorized_elementwise_kernelILi2ENS0_11FillFunctorIN3c1013Float8_e4m3fnEEESt5arrayIPcLm1EEEEviT0_T1_: ; @_ZN2at6native29vectorized_elementwise_kernelILi2ENS0_11FillFunctorIN3c1013Float8_e4m3fnEEESt5arrayIPcLm1EEEEviT0_T1_
; %bb.0:
	s_load_dwordx4 s[0:3], s[4:5], 0x0
	s_lshl_b32 s6, s6, 12
	s_mov_b64 s[4:5], -1
	s_waitcnt lgkmcnt(0)
	s_sub_i32 s0, s0, s6
	s_cmpk_gt_i32 s0, 0xfff
	s_cbranch_scc0 .LBB131_2
; %bb.1:
	s_and_b32 s4, s1, 0xff
	s_ashr_i32 s5, s6, 31
	s_mul_i32 s7, s4, 0x101
	s_add_u32 s4, s2, s6
	s_addc_u32 s5, s3, s5
	v_lshlrev_b32_e32 v1, 1, v0
	v_mov_b32_e32 v2, s7
	global_store_short v1, v2, s[4:5]
	global_store_short v1, v2, s[4:5] offset:512
	global_store_short v1, v2, s[4:5] offset:1024
	;; [unrolled: 1-line block ×7, first 2 shown]
	s_mov_b64 s[4:5], 0
.LBB131_2:
	s_andn2_b64 vcc, exec, s[4:5]
	s_cbranch_vccnz .LBB131_20
; %bb.3:
	v_cmp_gt_i32_e32 vcc, s0, v0
	s_and_saveexec_b64 s[4:5], vcc
	s_cbranch_execnz .LBB131_21
; %bb.4:
	s_or_b64 exec, exec, s[4:5]
	v_cmp_gt_i32_e32 vcc, s0, v0
	s_and_saveexec_b64 s[4:5], vcc
	s_cbranch_execnz .LBB131_22
.LBB131_5:
	s_or_b64 exec, exec, s[4:5]
	v_cmp_gt_i32_e32 vcc, s0, v0
	s_and_saveexec_b64 s[4:5], vcc
	s_cbranch_execnz .LBB131_23
.LBB131_6:
	s_or_b64 exec, exec, s[4:5]
	v_cmp_gt_i32_e32 vcc, s0, v0
	s_and_saveexec_b64 s[4:5], vcc
	s_cbranch_execnz .LBB131_24
.LBB131_7:
	s_or_b64 exec, exec, s[4:5]
	v_cmp_gt_i32_e32 vcc, s0, v0
	s_and_saveexec_b64 s[4:5], vcc
	s_cbranch_execnz .LBB131_25
.LBB131_8:
	s_or_b64 exec, exec, s[4:5]
	v_cmp_gt_i32_e32 vcc, s0, v0
	s_and_saveexec_b64 s[4:5], vcc
	s_cbranch_execnz .LBB131_26
.LBB131_9:
	s_or_b64 exec, exec, s[4:5]
	v_cmp_gt_i32_e32 vcc, s0, v0
	s_and_saveexec_b64 s[4:5], vcc
	s_cbranch_execnz .LBB131_27
.LBB131_10:
	s_or_b64 exec, exec, s[4:5]
	v_cmp_gt_i32_e32 vcc, s0, v0
	s_and_saveexec_b64 s[4:5], vcc
	s_cbranch_execnz .LBB131_28
.LBB131_11:
	s_or_b64 exec, exec, s[4:5]
	v_cmp_gt_i32_e32 vcc, s0, v0
	s_and_saveexec_b64 s[4:5], vcc
	s_cbranch_execnz .LBB131_29
.LBB131_12:
	s_or_b64 exec, exec, s[4:5]
	v_cmp_gt_i32_e32 vcc, s0, v0
	s_and_saveexec_b64 s[4:5], vcc
	s_cbranch_execnz .LBB131_30
.LBB131_13:
	s_or_b64 exec, exec, s[4:5]
	v_cmp_gt_i32_e32 vcc, s0, v0
	s_and_saveexec_b64 s[4:5], vcc
	s_cbranch_execnz .LBB131_31
.LBB131_14:
	s_or_b64 exec, exec, s[4:5]
	v_cmp_gt_i32_e32 vcc, s0, v0
	s_and_saveexec_b64 s[4:5], vcc
	s_cbranch_execnz .LBB131_32
.LBB131_15:
	s_or_b64 exec, exec, s[4:5]
	v_cmp_gt_i32_e32 vcc, s0, v0
	s_and_saveexec_b64 s[4:5], vcc
	s_cbranch_execnz .LBB131_33
.LBB131_16:
	s_or_b64 exec, exec, s[4:5]
	v_cmp_gt_i32_e32 vcc, s0, v0
	s_and_saveexec_b64 s[4:5], vcc
	s_cbranch_execnz .LBB131_34
.LBB131_17:
	s_or_b64 exec, exec, s[4:5]
	v_cmp_gt_i32_e32 vcc, s0, v0
	s_and_saveexec_b64 s[4:5], vcc
	s_cbranch_execnz .LBB131_35
.LBB131_18:
	s_or_b64 exec, exec, s[4:5]
	v_cmp_gt_i32_e32 vcc, s0, v0
	s_and_saveexec_b64 s[4:5], vcc
	s_cbranch_execz .LBB131_20
.LBB131_19:
	v_add_u32_e32 v0, s6, v0
	v_mov_b32_e32 v1, s1
	global_store_byte v0, v1, s[2:3]
.LBB131_20:
	s_endpgm
.LBB131_21:
	v_or_b32_e32 v1, 0x100, v0
	v_or_b32_e32 v0, s6, v0
	v_mov_b32_e32 v2, s1
	global_store_byte v0, v2, s[2:3]
	v_mov_b32_e32 v0, v1
	s_or_b64 exec, exec, s[4:5]
	v_cmp_gt_i32_e32 vcc, s0, v0
	s_and_saveexec_b64 s[4:5], vcc
	s_cbranch_execz .LBB131_5
.LBB131_22:
	v_add_u32_e32 v1, s6, v0
	v_add_u32_e32 v0, 0x100, v0
	v_mov_b32_e32 v2, s1
	global_store_byte v1, v2, s[2:3]
	s_or_b64 exec, exec, s[4:5]
	v_cmp_gt_i32_e32 vcc, s0, v0
	s_and_saveexec_b64 s[4:5], vcc
	s_cbranch_execz .LBB131_6
.LBB131_23:
	v_add_u32_e32 v1, s6, v0
	v_add_u32_e32 v0, 0x100, v0
	v_mov_b32_e32 v2, s1
	global_store_byte v1, v2, s[2:3]
	s_or_b64 exec, exec, s[4:5]
	v_cmp_gt_i32_e32 vcc, s0, v0
	s_and_saveexec_b64 s[4:5], vcc
	s_cbranch_execz .LBB131_7
.LBB131_24:
	v_add_u32_e32 v1, s6, v0
	v_add_u32_e32 v0, 0x100, v0
	v_mov_b32_e32 v2, s1
	global_store_byte v1, v2, s[2:3]
	s_or_b64 exec, exec, s[4:5]
	v_cmp_gt_i32_e32 vcc, s0, v0
	s_and_saveexec_b64 s[4:5], vcc
	s_cbranch_execz .LBB131_8
.LBB131_25:
	v_add_u32_e32 v1, s6, v0
	v_add_u32_e32 v0, 0x100, v0
	v_mov_b32_e32 v2, s1
	global_store_byte v1, v2, s[2:3]
	s_or_b64 exec, exec, s[4:5]
	v_cmp_gt_i32_e32 vcc, s0, v0
	s_and_saveexec_b64 s[4:5], vcc
	s_cbranch_execz .LBB131_9
.LBB131_26:
	v_add_u32_e32 v1, s6, v0
	v_add_u32_e32 v0, 0x100, v0
	v_mov_b32_e32 v2, s1
	global_store_byte v1, v2, s[2:3]
	s_or_b64 exec, exec, s[4:5]
	v_cmp_gt_i32_e32 vcc, s0, v0
	s_and_saveexec_b64 s[4:5], vcc
	s_cbranch_execz .LBB131_10
.LBB131_27:
	v_add_u32_e32 v1, s6, v0
	v_add_u32_e32 v0, 0x100, v0
	v_mov_b32_e32 v2, s1
	global_store_byte v1, v2, s[2:3]
	s_or_b64 exec, exec, s[4:5]
	v_cmp_gt_i32_e32 vcc, s0, v0
	s_and_saveexec_b64 s[4:5], vcc
	s_cbranch_execz .LBB131_11
.LBB131_28:
	v_add_u32_e32 v1, s6, v0
	v_add_u32_e32 v0, 0x100, v0
	v_mov_b32_e32 v2, s1
	global_store_byte v1, v2, s[2:3]
	s_or_b64 exec, exec, s[4:5]
	v_cmp_gt_i32_e32 vcc, s0, v0
	s_and_saveexec_b64 s[4:5], vcc
	s_cbranch_execz .LBB131_12
.LBB131_29:
	v_add_u32_e32 v1, s6, v0
	v_add_u32_e32 v0, 0x100, v0
	v_mov_b32_e32 v2, s1
	global_store_byte v1, v2, s[2:3]
	s_or_b64 exec, exec, s[4:5]
	v_cmp_gt_i32_e32 vcc, s0, v0
	s_and_saveexec_b64 s[4:5], vcc
	s_cbranch_execz .LBB131_13
.LBB131_30:
	v_add_u32_e32 v1, s6, v0
	v_add_u32_e32 v0, 0x100, v0
	v_mov_b32_e32 v2, s1
	global_store_byte v1, v2, s[2:3]
	s_or_b64 exec, exec, s[4:5]
	v_cmp_gt_i32_e32 vcc, s0, v0
	s_and_saveexec_b64 s[4:5], vcc
	s_cbranch_execz .LBB131_14
.LBB131_31:
	v_add_u32_e32 v1, s6, v0
	v_add_u32_e32 v0, 0x100, v0
	v_mov_b32_e32 v2, s1
	global_store_byte v1, v2, s[2:3]
	s_or_b64 exec, exec, s[4:5]
	v_cmp_gt_i32_e32 vcc, s0, v0
	s_and_saveexec_b64 s[4:5], vcc
	s_cbranch_execz .LBB131_15
.LBB131_32:
	v_add_u32_e32 v1, s6, v0
	v_add_u32_e32 v0, 0x100, v0
	v_mov_b32_e32 v2, s1
	global_store_byte v1, v2, s[2:3]
	s_or_b64 exec, exec, s[4:5]
	v_cmp_gt_i32_e32 vcc, s0, v0
	s_and_saveexec_b64 s[4:5], vcc
	s_cbranch_execz .LBB131_16
.LBB131_33:
	v_add_u32_e32 v1, s6, v0
	v_add_u32_e32 v0, 0x100, v0
	v_mov_b32_e32 v2, s1
	global_store_byte v1, v2, s[2:3]
	s_or_b64 exec, exec, s[4:5]
	v_cmp_gt_i32_e32 vcc, s0, v0
	s_and_saveexec_b64 s[4:5], vcc
	s_cbranch_execz .LBB131_17
.LBB131_34:
	v_add_u32_e32 v1, s6, v0
	v_add_u32_e32 v0, 0x100, v0
	v_mov_b32_e32 v2, s1
	global_store_byte v1, v2, s[2:3]
	s_or_b64 exec, exec, s[4:5]
	v_cmp_gt_i32_e32 vcc, s0, v0
	s_and_saveexec_b64 s[4:5], vcc
	s_cbranch_execz .LBB131_18
.LBB131_35:
	v_add_u32_e32 v1, s6, v0
	v_add_u32_e32 v0, 0x100, v0
	v_mov_b32_e32 v2, s1
	global_store_byte v1, v2, s[2:3]
	s_or_b64 exec, exec, s[4:5]
	v_cmp_gt_i32_e32 vcc, s0, v0
	s_and_saveexec_b64 s[4:5], vcc
	s_cbranch_execnz .LBB131_19
	s_branch .LBB131_20
	.section	.rodata,"a",@progbits
	.p2align	6, 0x0
	.amdhsa_kernel _ZN2at6native29vectorized_elementwise_kernelILi2ENS0_11FillFunctorIN3c1013Float8_e4m3fnEEESt5arrayIPcLm1EEEEviT0_T1_
		.amdhsa_group_segment_fixed_size 0
		.amdhsa_private_segment_fixed_size 0
		.amdhsa_kernarg_size 16
		.amdhsa_user_sgpr_count 6
		.amdhsa_user_sgpr_private_segment_buffer 1
		.amdhsa_user_sgpr_dispatch_ptr 0
		.amdhsa_user_sgpr_queue_ptr 0
		.amdhsa_user_sgpr_kernarg_segment_ptr 1
		.amdhsa_user_sgpr_dispatch_id 0
		.amdhsa_user_sgpr_flat_scratch_init 0
		.amdhsa_user_sgpr_private_segment_size 0
		.amdhsa_uses_dynamic_stack 0
		.amdhsa_system_sgpr_private_segment_wavefront_offset 0
		.amdhsa_system_sgpr_workgroup_id_x 1
		.amdhsa_system_sgpr_workgroup_id_y 0
		.amdhsa_system_sgpr_workgroup_id_z 0
		.amdhsa_system_sgpr_workgroup_info 0
		.amdhsa_system_vgpr_workitem_id 0
		.amdhsa_next_free_vgpr 3
		.amdhsa_next_free_sgpr 8
		.amdhsa_reserve_vcc 1
		.amdhsa_reserve_flat_scratch 0
		.amdhsa_float_round_mode_32 0
		.amdhsa_float_round_mode_16_64 0
		.amdhsa_float_denorm_mode_32 3
		.amdhsa_float_denorm_mode_16_64 3
		.amdhsa_dx10_clamp 1
		.amdhsa_ieee_mode 1
		.amdhsa_fp16_overflow 0
		.amdhsa_exception_fp_ieee_invalid_op 0
		.amdhsa_exception_fp_denorm_src 0
		.amdhsa_exception_fp_ieee_div_zero 0
		.amdhsa_exception_fp_ieee_overflow 0
		.amdhsa_exception_fp_ieee_underflow 0
		.amdhsa_exception_fp_ieee_inexact 0
		.amdhsa_exception_int_div_zero 0
	.end_amdhsa_kernel
	.section	.text._ZN2at6native29vectorized_elementwise_kernelILi2ENS0_11FillFunctorIN3c1013Float8_e4m3fnEEESt5arrayIPcLm1EEEEviT0_T1_,"axG",@progbits,_ZN2at6native29vectorized_elementwise_kernelILi2ENS0_11FillFunctorIN3c1013Float8_e4m3fnEEESt5arrayIPcLm1EEEEviT0_T1_,comdat
.Lfunc_end131:
	.size	_ZN2at6native29vectorized_elementwise_kernelILi2ENS0_11FillFunctorIN3c1013Float8_e4m3fnEEESt5arrayIPcLm1EEEEviT0_T1_, .Lfunc_end131-_ZN2at6native29vectorized_elementwise_kernelILi2ENS0_11FillFunctorIN3c1013Float8_e4m3fnEEESt5arrayIPcLm1EEEEviT0_T1_
                                        ; -- End function
	.set _ZN2at6native29vectorized_elementwise_kernelILi2ENS0_11FillFunctorIN3c1013Float8_e4m3fnEEESt5arrayIPcLm1EEEEviT0_T1_.num_vgpr, 3
	.set _ZN2at6native29vectorized_elementwise_kernelILi2ENS0_11FillFunctorIN3c1013Float8_e4m3fnEEESt5arrayIPcLm1EEEEviT0_T1_.num_agpr, 0
	.set _ZN2at6native29vectorized_elementwise_kernelILi2ENS0_11FillFunctorIN3c1013Float8_e4m3fnEEESt5arrayIPcLm1EEEEviT0_T1_.numbered_sgpr, 8
	.set _ZN2at6native29vectorized_elementwise_kernelILi2ENS0_11FillFunctorIN3c1013Float8_e4m3fnEEESt5arrayIPcLm1EEEEviT0_T1_.num_named_barrier, 0
	.set _ZN2at6native29vectorized_elementwise_kernelILi2ENS0_11FillFunctorIN3c1013Float8_e4m3fnEEESt5arrayIPcLm1EEEEviT0_T1_.private_seg_size, 0
	.set _ZN2at6native29vectorized_elementwise_kernelILi2ENS0_11FillFunctorIN3c1013Float8_e4m3fnEEESt5arrayIPcLm1EEEEviT0_T1_.uses_vcc, 1
	.set _ZN2at6native29vectorized_elementwise_kernelILi2ENS0_11FillFunctorIN3c1013Float8_e4m3fnEEESt5arrayIPcLm1EEEEviT0_T1_.uses_flat_scratch, 0
	.set _ZN2at6native29vectorized_elementwise_kernelILi2ENS0_11FillFunctorIN3c1013Float8_e4m3fnEEESt5arrayIPcLm1EEEEviT0_T1_.has_dyn_sized_stack, 0
	.set _ZN2at6native29vectorized_elementwise_kernelILi2ENS0_11FillFunctorIN3c1013Float8_e4m3fnEEESt5arrayIPcLm1EEEEviT0_T1_.has_recursion, 0
	.set _ZN2at6native29vectorized_elementwise_kernelILi2ENS0_11FillFunctorIN3c1013Float8_e4m3fnEEESt5arrayIPcLm1EEEEviT0_T1_.has_indirect_call, 0
	.section	.AMDGPU.csdata,"",@progbits
; Kernel info:
; codeLenInByte = 1024
; TotalNumSgprs: 12
; NumVgprs: 3
; ScratchSize: 0
; MemoryBound: 0
; FloatMode: 240
; IeeeMode: 1
; LDSByteSize: 0 bytes/workgroup (compile time only)
; SGPRBlocks: 1
; VGPRBlocks: 0
; NumSGPRsForWavesPerEU: 12
; NumVGPRsForWavesPerEU: 3
; Occupancy: 10
; WaveLimiterHint : 1
; COMPUTE_PGM_RSRC2:SCRATCH_EN: 0
; COMPUTE_PGM_RSRC2:USER_SGPR: 6
; COMPUTE_PGM_RSRC2:TRAP_HANDLER: 0
; COMPUTE_PGM_RSRC2:TGID_X_EN: 1
; COMPUTE_PGM_RSRC2:TGID_Y_EN: 0
; COMPUTE_PGM_RSRC2:TGID_Z_EN: 0
; COMPUTE_PGM_RSRC2:TIDIG_COMP_CNT: 0
	.section	.text._ZN2at6native27unrolled_elementwise_kernelINS0_11FillFunctorIN3c1013Float8_e4m3fnEEESt5arrayIPcLm1EELi4E23TrivialOffsetCalculatorILi0EjES9_ILi1EjENS0_6memory15LoadWithoutCastENSC_16StoreWithoutCastEEEviT_T0_T2_T3_T4_T5_,"axG",@progbits,_ZN2at6native27unrolled_elementwise_kernelINS0_11FillFunctorIN3c1013Float8_e4m3fnEEESt5arrayIPcLm1EELi4E23TrivialOffsetCalculatorILi0EjES9_ILi1EjENS0_6memory15LoadWithoutCastENSC_16StoreWithoutCastEEEviT_T0_T2_T3_T4_T5_,comdat
	.protected	_ZN2at6native27unrolled_elementwise_kernelINS0_11FillFunctorIN3c1013Float8_e4m3fnEEESt5arrayIPcLm1EELi4E23TrivialOffsetCalculatorILi0EjES9_ILi1EjENS0_6memory15LoadWithoutCastENSC_16StoreWithoutCastEEEviT_T0_T2_T3_T4_T5_ ; -- Begin function _ZN2at6native27unrolled_elementwise_kernelINS0_11FillFunctorIN3c1013Float8_e4m3fnEEESt5arrayIPcLm1EELi4E23TrivialOffsetCalculatorILi0EjES9_ILi1EjENS0_6memory15LoadWithoutCastENSC_16StoreWithoutCastEEEviT_T0_T2_T3_T4_T5_
	.globl	_ZN2at6native27unrolled_elementwise_kernelINS0_11FillFunctorIN3c1013Float8_e4m3fnEEESt5arrayIPcLm1EELi4E23TrivialOffsetCalculatorILi0EjES9_ILi1EjENS0_6memory15LoadWithoutCastENSC_16StoreWithoutCastEEEviT_T0_T2_T3_T4_T5_
	.p2align	8
	.type	_ZN2at6native27unrolled_elementwise_kernelINS0_11FillFunctorIN3c1013Float8_e4m3fnEEESt5arrayIPcLm1EELi4E23TrivialOffsetCalculatorILi0EjES9_ILi1EjENS0_6memory15LoadWithoutCastENSC_16StoreWithoutCastEEEviT_T0_T2_T3_T4_T5_,@function
_ZN2at6native27unrolled_elementwise_kernelINS0_11FillFunctorIN3c1013Float8_e4m3fnEEESt5arrayIPcLm1EELi4E23TrivialOffsetCalculatorILi0EjES9_ILi1EjENS0_6memory15LoadWithoutCastENSC_16StoreWithoutCastEEEviT_T0_T2_T3_T4_T5_: ; @_ZN2at6native27unrolled_elementwise_kernelINS0_11FillFunctorIN3c1013Float8_e4m3fnEEESt5arrayIPcLm1EELi4E23TrivialOffsetCalculatorILi0EjES9_ILi1EjENS0_6memory15LoadWithoutCastENSC_16StoreWithoutCastEEEviT_T0_T2_T3_T4_T5_
; %bb.0:
	s_load_dwordx4 s[0:3], s[4:5], 0x0
	s_lshl_b32 s6, s6, 10
	s_waitcnt lgkmcnt(0)
	s_sub_i32 s0, s0, s6
	v_cmp_gt_i32_e32 vcc, s0, v0
	s_and_saveexec_b64 s[4:5], vcc
	s_cbranch_execnz .LBB132_5
; %bb.1:
	s_or_b64 exec, exec, s[4:5]
	v_cmp_gt_i32_e32 vcc, s0, v0
	s_and_saveexec_b64 s[4:5], vcc
	s_cbranch_execnz .LBB132_6
.LBB132_2:
	s_or_b64 exec, exec, s[4:5]
	v_cmp_gt_i32_e32 vcc, s0, v0
	s_and_saveexec_b64 s[4:5], vcc
	s_cbranch_execnz .LBB132_7
.LBB132_3:
	s_or_b64 exec, exec, s[4:5]
	v_cmp_gt_i32_e32 vcc, s0, v0
	s_and_saveexec_b64 s[4:5], vcc
	s_cbranch_execnz .LBB132_8
.LBB132_4:
	s_endpgm
.LBB132_5:
	v_or_b32_e32 v1, s6, v0
	v_or_b32_e32 v0, 0x100, v0
	v_mov_b32_e32 v2, s1
	global_store_byte v1, v2, s[2:3]
	s_or_b64 exec, exec, s[4:5]
	v_cmp_gt_i32_e32 vcc, s0, v0
	s_and_saveexec_b64 s[4:5], vcc
	s_cbranch_execz .LBB132_2
.LBB132_6:
	v_add_u32_e32 v1, 0x100, v0
	v_add_u32_e32 v0, s6, v0
	v_mov_b32_e32 v2, s1
	global_store_byte v0, v2, s[2:3]
	v_mov_b32_e32 v0, v1
	s_or_b64 exec, exec, s[4:5]
	v_cmp_gt_i32_e32 vcc, s0, v0
	s_and_saveexec_b64 s[4:5], vcc
	s_cbranch_execz .LBB132_3
.LBB132_7:
	v_add_u32_e32 v1, 0x100, v0
	v_add_u32_e32 v0, s6, v0
	v_mov_b32_e32 v2, s1
	global_store_byte v0, v2, s[2:3]
	v_mov_b32_e32 v0, v1
	s_or_b64 exec, exec, s[4:5]
	v_cmp_gt_i32_e32 vcc, s0, v0
	s_and_saveexec_b64 s[4:5], vcc
	s_cbranch_execz .LBB132_4
.LBB132_8:
	v_add_u32_e32 v0, s6, v0
	v_mov_b32_e32 v1, s1
	global_store_byte v0, v1, s[2:3]
	s_endpgm
	.section	.rodata,"a",@progbits
	.p2align	6, 0x0
	.amdhsa_kernel _ZN2at6native27unrolled_elementwise_kernelINS0_11FillFunctorIN3c1013Float8_e4m3fnEEESt5arrayIPcLm1EELi4E23TrivialOffsetCalculatorILi0EjES9_ILi1EjENS0_6memory15LoadWithoutCastENSC_16StoreWithoutCastEEEviT_T0_T2_T3_T4_T5_
		.amdhsa_group_segment_fixed_size 0
		.amdhsa_private_segment_fixed_size 0
		.amdhsa_kernarg_size 20
		.amdhsa_user_sgpr_count 6
		.amdhsa_user_sgpr_private_segment_buffer 1
		.amdhsa_user_sgpr_dispatch_ptr 0
		.amdhsa_user_sgpr_queue_ptr 0
		.amdhsa_user_sgpr_kernarg_segment_ptr 1
		.amdhsa_user_sgpr_dispatch_id 0
		.amdhsa_user_sgpr_flat_scratch_init 0
		.amdhsa_user_sgpr_private_segment_size 0
		.amdhsa_uses_dynamic_stack 0
		.amdhsa_system_sgpr_private_segment_wavefront_offset 0
		.amdhsa_system_sgpr_workgroup_id_x 1
		.amdhsa_system_sgpr_workgroup_id_y 0
		.amdhsa_system_sgpr_workgroup_id_z 0
		.amdhsa_system_sgpr_workgroup_info 0
		.amdhsa_system_vgpr_workitem_id 0
		.amdhsa_next_free_vgpr 3
		.amdhsa_next_free_sgpr 7
		.amdhsa_reserve_vcc 1
		.amdhsa_reserve_flat_scratch 0
		.amdhsa_float_round_mode_32 0
		.amdhsa_float_round_mode_16_64 0
		.amdhsa_float_denorm_mode_32 3
		.amdhsa_float_denorm_mode_16_64 3
		.amdhsa_dx10_clamp 1
		.amdhsa_ieee_mode 1
		.amdhsa_fp16_overflow 0
		.amdhsa_exception_fp_ieee_invalid_op 0
		.amdhsa_exception_fp_denorm_src 0
		.amdhsa_exception_fp_ieee_div_zero 0
		.amdhsa_exception_fp_ieee_overflow 0
		.amdhsa_exception_fp_ieee_underflow 0
		.amdhsa_exception_fp_ieee_inexact 0
		.amdhsa_exception_int_div_zero 0
	.end_amdhsa_kernel
	.section	.text._ZN2at6native27unrolled_elementwise_kernelINS0_11FillFunctorIN3c1013Float8_e4m3fnEEESt5arrayIPcLm1EELi4E23TrivialOffsetCalculatorILi0EjES9_ILi1EjENS0_6memory15LoadWithoutCastENSC_16StoreWithoutCastEEEviT_T0_T2_T3_T4_T5_,"axG",@progbits,_ZN2at6native27unrolled_elementwise_kernelINS0_11FillFunctorIN3c1013Float8_e4m3fnEEESt5arrayIPcLm1EELi4E23TrivialOffsetCalculatorILi0EjES9_ILi1EjENS0_6memory15LoadWithoutCastENSC_16StoreWithoutCastEEEviT_T0_T2_T3_T4_T5_,comdat
.Lfunc_end132:
	.size	_ZN2at6native27unrolled_elementwise_kernelINS0_11FillFunctorIN3c1013Float8_e4m3fnEEESt5arrayIPcLm1EELi4E23TrivialOffsetCalculatorILi0EjES9_ILi1EjENS0_6memory15LoadWithoutCastENSC_16StoreWithoutCastEEEviT_T0_T2_T3_T4_T5_, .Lfunc_end132-_ZN2at6native27unrolled_elementwise_kernelINS0_11FillFunctorIN3c1013Float8_e4m3fnEEESt5arrayIPcLm1EELi4E23TrivialOffsetCalculatorILi0EjES9_ILi1EjENS0_6memory15LoadWithoutCastENSC_16StoreWithoutCastEEEviT_T0_T2_T3_T4_T5_
                                        ; -- End function
	.set _ZN2at6native27unrolled_elementwise_kernelINS0_11FillFunctorIN3c1013Float8_e4m3fnEEESt5arrayIPcLm1EELi4E23TrivialOffsetCalculatorILi0EjES9_ILi1EjENS0_6memory15LoadWithoutCastENSC_16StoreWithoutCastEEEviT_T0_T2_T3_T4_T5_.num_vgpr, 3
	.set _ZN2at6native27unrolled_elementwise_kernelINS0_11FillFunctorIN3c1013Float8_e4m3fnEEESt5arrayIPcLm1EELi4E23TrivialOffsetCalculatorILi0EjES9_ILi1EjENS0_6memory15LoadWithoutCastENSC_16StoreWithoutCastEEEviT_T0_T2_T3_T4_T5_.num_agpr, 0
	.set _ZN2at6native27unrolled_elementwise_kernelINS0_11FillFunctorIN3c1013Float8_e4m3fnEEESt5arrayIPcLm1EELi4E23TrivialOffsetCalculatorILi0EjES9_ILi1EjENS0_6memory15LoadWithoutCastENSC_16StoreWithoutCastEEEviT_T0_T2_T3_T4_T5_.numbered_sgpr, 7
	.set _ZN2at6native27unrolled_elementwise_kernelINS0_11FillFunctorIN3c1013Float8_e4m3fnEEESt5arrayIPcLm1EELi4E23TrivialOffsetCalculatorILi0EjES9_ILi1EjENS0_6memory15LoadWithoutCastENSC_16StoreWithoutCastEEEviT_T0_T2_T3_T4_T5_.num_named_barrier, 0
	.set _ZN2at6native27unrolled_elementwise_kernelINS0_11FillFunctorIN3c1013Float8_e4m3fnEEESt5arrayIPcLm1EELi4E23TrivialOffsetCalculatorILi0EjES9_ILi1EjENS0_6memory15LoadWithoutCastENSC_16StoreWithoutCastEEEviT_T0_T2_T3_T4_T5_.private_seg_size, 0
	.set _ZN2at6native27unrolled_elementwise_kernelINS0_11FillFunctorIN3c1013Float8_e4m3fnEEESt5arrayIPcLm1EELi4E23TrivialOffsetCalculatorILi0EjES9_ILi1EjENS0_6memory15LoadWithoutCastENSC_16StoreWithoutCastEEEviT_T0_T2_T3_T4_T5_.uses_vcc, 1
	.set _ZN2at6native27unrolled_elementwise_kernelINS0_11FillFunctorIN3c1013Float8_e4m3fnEEESt5arrayIPcLm1EELi4E23TrivialOffsetCalculatorILi0EjES9_ILi1EjENS0_6memory15LoadWithoutCastENSC_16StoreWithoutCastEEEviT_T0_T2_T3_T4_T5_.uses_flat_scratch, 0
	.set _ZN2at6native27unrolled_elementwise_kernelINS0_11FillFunctorIN3c1013Float8_e4m3fnEEESt5arrayIPcLm1EELi4E23TrivialOffsetCalculatorILi0EjES9_ILi1EjENS0_6memory15LoadWithoutCastENSC_16StoreWithoutCastEEEviT_T0_T2_T3_T4_T5_.has_dyn_sized_stack, 0
	.set _ZN2at6native27unrolled_elementwise_kernelINS0_11FillFunctorIN3c1013Float8_e4m3fnEEESt5arrayIPcLm1EELi4E23TrivialOffsetCalculatorILi0EjES9_ILi1EjENS0_6memory15LoadWithoutCastENSC_16StoreWithoutCastEEEviT_T0_T2_T3_T4_T5_.has_recursion, 0
	.set _ZN2at6native27unrolled_elementwise_kernelINS0_11FillFunctorIN3c1013Float8_e4m3fnEEESt5arrayIPcLm1EELi4E23TrivialOffsetCalculatorILi0EjES9_ILi1EjENS0_6memory15LoadWithoutCastENSC_16StoreWithoutCastEEEviT_T0_T2_T3_T4_T5_.has_indirect_call, 0
	.section	.AMDGPU.csdata,"",@progbits
; Kernel info:
; codeLenInByte = 232
; TotalNumSgprs: 11
; NumVgprs: 3
; ScratchSize: 0
; MemoryBound: 0
; FloatMode: 240
; IeeeMode: 1
; LDSByteSize: 0 bytes/workgroup (compile time only)
; SGPRBlocks: 1
; VGPRBlocks: 0
; NumSGPRsForWavesPerEU: 11
; NumVGPRsForWavesPerEU: 3
; Occupancy: 10
; WaveLimiterHint : 0
; COMPUTE_PGM_RSRC2:SCRATCH_EN: 0
; COMPUTE_PGM_RSRC2:USER_SGPR: 6
; COMPUTE_PGM_RSRC2:TRAP_HANDLER: 0
; COMPUTE_PGM_RSRC2:TGID_X_EN: 1
; COMPUTE_PGM_RSRC2:TGID_Y_EN: 0
; COMPUTE_PGM_RSRC2:TGID_Z_EN: 0
; COMPUTE_PGM_RSRC2:TIDIG_COMP_CNT: 0
	.section	.text._ZN2at6native32elementwise_kernel_manual_unrollILi128ELi8EZNS0_22gpu_kernel_impl_nocastINS0_11FillFunctorIN3c1013Float8_e4m3fnEEEEEvRNS_18TensorIteratorBaseERKT_EUlibE_EEviT1_,"axG",@progbits,_ZN2at6native32elementwise_kernel_manual_unrollILi128ELi8EZNS0_22gpu_kernel_impl_nocastINS0_11FillFunctorIN3c1013Float8_e4m3fnEEEEEvRNS_18TensorIteratorBaseERKT_EUlibE_EEviT1_,comdat
	.protected	_ZN2at6native32elementwise_kernel_manual_unrollILi128ELi8EZNS0_22gpu_kernel_impl_nocastINS0_11FillFunctorIN3c1013Float8_e4m3fnEEEEEvRNS_18TensorIteratorBaseERKT_EUlibE_EEviT1_ ; -- Begin function _ZN2at6native32elementwise_kernel_manual_unrollILi128ELi8EZNS0_22gpu_kernel_impl_nocastINS0_11FillFunctorIN3c1013Float8_e4m3fnEEEEEvRNS_18TensorIteratorBaseERKT_EUlibE_EEviT1_
	.globl	_ZN2at6native32elementwise_kernel_manual_unrollILi128ELi8EZNS0_22gpu_kernel_impl_nocastINS0_11FillFunctorIN3c1013Float8_e4m3fnEEEEEvRNS_18TensorIteratorBaseERKT_EUlibE_EEviT1_
	.p2align	8
	.type	_ZN2at6native32elementwise_kernel_manual_unrollILi128ELi8EZNS0_22gpu_kernel_impl_nocastINS0_11FillFunctorIN3c1013Float8_e4m3fnEEEEEvRNS_18TensorIteratorBaseERKT_EUlibE_EEviT1_,@function
_ZN2at6native32elementwise_kernel_manual_unrollILi128ELi8EZNS0_22gpu_kernel_impl_nocastINS0_11FillFunctorIN3c1013Float8_e4m3fnEEEEEvRNS_18TensorIteratorBaseERKT_EUlibE_EEviT1_: ; @_ZN2at6native32elementwise_kernel_manual_unrollILi128ELi8EZNS0_22gpu_kernel_impl_nocastINS0_11FillFunctorIN3c1013Float8_e4m3fnEEEEEvRNS_18TensorIteratorBaseERKT_EUlibE_EEviT1_
; %bb.0:
	s_load_dword s48, s[4:5], 0x0
	s_load_dword s33, s[4:5], 0x8
	s_add_u32 s20, s4, 8
	s_addc_u32 s21, s5, 0
	v_lshl_or_b32 v7, s6, 10, v0
	v_or_b32_e32 v9, 0x380, v7
	s_waitcnt lgkmcnt(0)
	s_add_i32 s46, s33, -1
	s_cmp_gt_u32 s46, 1
	v_cmp_le_i32_e32 vcc, s48, v9
	s_cselect_b64 s[22:23], -1, 0
	s_and_saveexec_b64 s[0:1], vcc
	s_xor_b64 s[24:25], exec, s[0:1]
	s_cbranch_execz .LBB133_7
; %bb.1:
	s_load_dwordx4 s[8:11], s[20:21], 0x4
	s_load_dwordx2 s[30:31], s[20:21], 0x14
	s_load_dwordx2 s[28:29], s[20:21], 0xc4
	;; [unrolled: 1-line block ×3, first 2 shown]
	s_load_dword s47, s[20:21], 0x110
	s_cmp_lg_u32 s33, 0
	s_cselect_b64 s[38:39], -1, 0
	s_add_u32 s36, s20, 0xc4
	s_addc_u32 s37, s21, 0
	s_min_u32 s49, s46, 15
	s_cmp_gt_u32 s33, 1
	s_cselect_b64 s[34:35], -1, 0
	v_cmp_gt_i32_e32 vcc, s48, v7
	s_and_saveexec_b64 s[40:41], vcc
	s_cbranch_execz .LBB133_14
; %bb.2:
	s_andn2_b64 vcc, exec, s[22:23]
	s_cbranch_vccnz .LBB133_21
; %bb.3:
	s_andn2_b64 vcc, exec, s[38:39]
	s_cbranch_vccnz .LBB133_129
; %bb.4:
	s_add_i32 s51, s49, 1
	s_cmp_eq_u32 s46, 2
	s_cbranch_scc1 .LBB133_131
; %bb.5:
	s_and_b32 s50, s51, 28
	s_mov_b32 s52, 0
	v_mov_b32_e32 v0, 0
	s_mov_b64 s[42:43], s[20:21]
	s_mov_b64 s[44:45], s[36:37]
	v_mov_b32_e32 v1, v7
.LBB133_6:                              ; =>This Inner Loop Header: Depth=1
	s_load_dwordx8 s[0:7], s[42:43], 0x4
	s_load_dwordx4 s[12:15], s[42:43], 0x24
	s_load_dwordx4 s[16:19], s[44:45], 0x0
	s_add_u32 s42, s42, 48
	s_addc_u32 s43, s43, 0
	s_waitcnt lgkmcnt(0)
	v_mul_hi_u32 v2, s1, v1
	s_add_i32 s52, s52, 4
	s_add_u32 s44, s44, 16
	s_addc_u32 s45, s45, 0
	v_add_u32_e32 v2, v1, v2
	v_lshrrev_b32_e32 v2, s2, v2
	v_mul_lo_u32 v3, v2, s0
	v_mul_hi_u32 v4, s4, v2
	s_cmp_lg_u32 s50, s52
	v_sub_u32_e32 v1, v1, v3
	v_add_u32_e32 v3, v2, v4
	v_lshrrev_b32_e32 v3, s5, v3
	v_mul_lo_u32 v4, v1, s16
	v_mul_hi_u32 v1, s7, v3
	v_mul_lo_u32 v6, v3, s3
	v_add_u32_e32 v1, v3, v1
	v_lshrrev_b32_e32 v5, s12, v1
	v_mul_hi_u32 v1, s14, v5
	v_sub_u32_e32 v2, v2, v6
	v_mul_lo_u32 v6, v5, s6
	v_mul_lo_u32 v2, v2, s17
	v_add_u32_e32 v1, v5, v1
	v_lshrrev_b32_e32 v1, s15, v1
	v_mul_lo_u32 v8, v1, s13
	v_sub_u32_e32 v3, v3, v6
	v_mul_lo_u32 v3, v3, s18
	v_add3_u32 v0, v4, v0, v2
	v_sub_u32_e32 v5, v5, v8
	v_mul_lo_u32 v5, v5, s19
	v_add3_u32 v0, v3, v0, v5
	s_cbranch_scc1 .LBB133_6
	s_branch .LBB133_132
.LBB133_7:
	s_andn2_saveexec_b64 s[0:1], s[24:25]
	s_cbranch_execz .LBB133_221
.LBB133_8:
	v_cndmask_b32_e64 v0, 0, 1, s[22:23]
	v_cmp_ne_u32_e64 s[0:1], 1, v0
	s_andn2_b64 vcc, exec, s[22:23]
	s_cbranch_vccnz .LBB133_20
; %bb.9:
	s_cmp_lg_u32 s33, 0
	s_mov_b32 s24, 0
	s_cbranch_scc0 .LBB133_23
; %bb.10:
	s_min_u32 s25, s46, 15
	s_add_i32 s25, s25, 1
	s_cmp_eq_u32 s46, 2
	s_cbranch_scc1 .LBB133_24
; %bb.11:
	s_and_b32 s24, s25, 28
	s_add_u32 s2, s20, 0xc4
	s_addc_u32 s3, s21, 0
	s_waitcnt lgkmcnt(0)
	s_mov_b32 s26, 0
	v_mov_b32_e32 v0, 0
	s_mov_b64 s[22:23], s[20:21]
	v_mov_b32_e32 v1, v7
.LBB133_12:                             ; =>This Inner Loop Header: Depth=1
	s_load_dwordx8 s[4:11], s[22:23], 0x4
	s_load_dwordx4 s[12:15], s[22:23], 0x24
	s_load_dwordx4 s[16:19], s[2:3], 0x0
	s_add_u32 s22, s22, 48
	s_addc_u32 s23, s23, 0
	s_waitcnt lgkmcnt(0)
	v_mul_hi_u32 v2, s5, v1
	s_add_i32 s26, s26, 4
	s_add_u32 s2, s2, 16
	s_addc_u32 s3, s3, 0
	v_add_u32_e32 v2, v1, v2
	v_lshrrev_b32_e32 v2, s6, v2
	v_mul_lo_u32 v3, v2, s4
	v_mul_hi_u32 v4, s8, v2
	s_cmp_lg_u32 s24, s26
	v_sub_u32_e32 v1, v1, v3
	v_add_u32_e32 v3, v2, v4
	v_lshrrev_b32_e32 v3, s9, v3
	v_mul_lo_u32 v4, v1, s16
	v_mul_hi_u32 v1, s11, v3
	v_mul_lo_u32 v6, v3, s7
	v_add_u32_e32 v1, v3, v1
	v_lshrrev_b32_e32 v5, s12, v1
	v_mul_hi_u32 v1, s14, v5
	v_sub_u32_e32 v2, v2, v6
	v_mul_lo_u32 v6, v5, s10
	v_mul_lo_u32 v2, v2, s17
	v_add_u32_e32 v1, v5, v1
	v_lshrrev_b32_e32 v1, s15, v1
	v_mul_lo_u32 v8, v1, s13
	v_sub_u32_e32 v3, v3, v6
	v_mul_lo_u32 v3, v3, s18
	v_add3_u32 v0, v4, v0, v2
	v_sub_u32_e32 v5, v5, v8
	v_mul_lo_u32 v5, v5, s19
	v_add3_u32 v0, v3, v0, v5
	s_cbranch_scc1 .LBB133_12
; %bb.13:
	s_and_b32 s6, s25, 3
	s_cmp_eq_u32 s6, 0
	s_cbranch_scc0 .LBB133_25
	s_branch .LBB133_27
.LBB133_14:
	s_or_b64 exec, exec, s[40:41]
	v_cmp_gt_i32_e32 vcc, s48, v7
	s_and_saveexec_b64 s[40:41], vcc
	s_cbranch_execz .LBB133_139
.LBB133_15:
	s_andn2_b64 vcc, exec, s[22:23]
	s_cbranch_vccnz .LBB133_22
; %bb.16:
	s_andn2_b64 vcc, exec, s[38:39]
	s_cbranch_vccnz .LBB133_130
; %bb.17:
	s_add_i32 s51, s49, 1
	s_cmp_eq_u32 s46, 2
	s_cbranch_scc1 .LBB133_147
; %bb.18:
	s_and_b32 s50, s51, 28
	s_mov_b32 s52, 0
	v_mov_b32_e32 v0, 0
	s_mov_b64 s[42:43], s[20:21]
	s_mov_b64 s[44:45], s[36:37]
	v_mov_b32_e32 v1, v7
.LBB133_19:                             ; =>This Inner Loop Header: Depth=1
	s_load_dwordx8 s[0:7], s[42:43], 0x4
	s_load_dwordx4 s[12:15], s[42:43], 0x24
	s_load_dwordx4 s[16:19], s[44:45], 0x0
	s_add_u32 s42, s42, 48
	s_addc_u32 s43, s43, 0
	s_waitcnt lgkmcnt(0)
	v_mul_hi_u32 v2, s1, v1
	s_add_i32 s52, s52, 4
	s_add_u32 s44, s44, 16
	s_addc_u32 s45, s45, 0
	v_add_u32_e32 v2, v1, v2
	v_lshrrev_b32_e32 v2, s2, v2
	v_mul_lo_u32 v3, v2, s0
	v_mul_hi_u32 v4, s4, v2
	s_cmp_eq_u32 s50, s52
	v_sub_u32_e32 v1, v1, v3
	v_add_u32_e32 v3, v2, v4
	v_lshrrev_b32_e32 v3, s5, v3
	v_mul_lo_u32 v4, v1, s16
	v_mul_hi_u32 v1, s7, v3
	v_mul_lo_u32 v6, v3, s3
	v_add_u32_e32 v1, v3, v1
	v_lshrrev_b32_e32 v5, s12, v1
	v_mul_hi_u32 v1, s14, v5
	v_sub_u32_e32 v2, v2, v6
	v_mul_lo_u32 v6, v5, s6
	v_mul_lo_u32 v2, v2, s17
	v_add_u32_e32 v1, v5, v1
	v_lshrrev_b32_e32 v1, s15, v1
	v_mul_lo_u32 v8, v1, s13
	v_sub_u32_e32 v3, v3, v6
	v_mul_lo_u32 v3, v3, s18
	v_add3_u32 v0, v4, v0, v2
	v_sub_u32_e32 v5, v5, v8
	v_mul_lo_u32 v5, v5, s19
	v_add3_u32 v0, v3, v0, v5
	s_cbranch_scc0 .LBB133_19
	s_branch .LBB133_148
.LBB133_20:
                                        ; implicit-def: $vgpr0
	s_branch .LBB133_28
.LBB133_21:
                                        ; implicit-def: $vgpr0
	s_branch .LBB133_136
.LBB133_22:
                                        ; implicit-def: $vgpr0
	s_branch .LBB133_152
.LBB133_23:
	v_mov_b32_e32 v0, 0
	s_branch .LBB133_27
.LBB133_24:
	v_mov_b32_e32 v0, 0
	v_mov_b32_e32 v1, v7
	s_and_b32 s6, s25, 3
	s_cmp_eq_u32 s6, 0
	s_cbranch_scc1 .LBB133_27
.LBB133_25:
	s_lshl_b32 s2, s24, 2
	s_add_u32 s2, s20, s2
	s_addc_u32 s3, s21, 0
	s_add_u32 s2, s2, 0xc4
	s_addc_u32 s3, s3, 0
	s_mul_i32 s4, s24, 12
	s_add_u32 s4, s20, s4
	s_addc_u32 s5, s21, 0
.LBB133_26:                             ; =>This Inner Loop Header: Depth=1
	s_waitcnt lgkmcnt(0)
	s_load_dwordx2 s[8:9], s[4:5], 0x4
	s_load_dword s7, s[4:5], 0xc
	s_add_u32 s4, s4, 12
	s_addc_u32 s5, s5, 0
	s_waitcnt lgkmcnt(0)
	v_mul_hi_u32 v2, s9, v1
	s_load_dword s9, s[2:3], 0x0
	s_add_u32 s2, s2, 4
	s_addc_u32 s3, s3, 0
	v_add_u32_e32 v2, v1, v2
	v_lshrrev_b32_e32 v2, s7, v2
	v_mul_lo_u32 v3, v2, s8
	s_add_i32 s6, s6, -1
	s_cmp_lg_u32 s6, 0
	v_sub_u32_e32 v1, v1, v3
	s_waitcnt lgkmcnt(0)
	v_mad_u64_u32 v[0:1], s[8:9], v1, s9, v[0:1]
	v_mov_b32_e32 v1, v2
	s_cbranch_scc1 .LBB133_26
.LBB133_27:
	s_cbranch_execnz .LBB133_30
.LBB133_28:
	s_load_dwordx4 s[4:7], s[20:21], 0x4
	s_load_dword s2, s[20:21], 0xc4
	s_cmp_lt_u32 s33, 2
	s_waitcnt lgkmcnt(0)
	v_mul_hi_u32 v0, s5, v7
	v_add_u32_e32 v0, v7, v0
	v_lshrrev_b32_e32 v1, s6, v0
	v_mul_lo_u32 v0, v1, s4
	v_sub_u32_e32 v0, v7, v0
	v_mul_lo_u32 v0, v0, s2
	s_cbranch_scc1 .LBB133_30
; %bb.29:
	s_load_dwordx4 s[4:7], s[20:21], 0x10
	s_load_dword s2, s[20:21], 0xc8
	s_waitcnt lgkmcnt(0)
	v_mul_hi_u32 v2, s5, v1
	v_add_u32_e32 v2, v1, v2
	v_lshrrev_b32_e32 v2, s6, v2
	v_mul_lo_u32 v2, v2, s4
	v_sub_u32_e32 v1, v1, v2
	v_mad_u64_u32 v[0:1], s[2:3], v1, s2, v[0:1]
.LBB133_30:
	s_and_b64 vcc, exec, s[0:1]
	v_add_u32_e32 v3, 0x80, v7
	s_cbranch_vccnz .LBB133_36
; %bb.31:
	s_cmp_lg_u32 s33, 0
	s_mov_b32 s24, 0
	s_cbranch_scc0 .LBB133_37
; %bb.32:
	s_min_u32 s25, s46, 15
	s_add_i32 s25, s25, 1
	s_cmp_eq_u32 s46, 2
	s_cbranch_scc1 .LBB133_38
; %bb.33:
	s_and_b32 s24, s25, 28
	s_add_u32 s2, s20, 0xc4
	s_addc_u32 s3, s21, 0
	s_waitcnt lgkmcnt(0)
	s_mov_b32 s26, 0
	v_mov_b32_e32 v1, 0
	s_mov_b64 s[22:23], s[20:21]
	v_mov_b32_e32 v2, v3
.LBB133_34:                             ; =>This Inner Loop Header: Depth=1
	s_load_dwordx8 s[4:11], s[22:23], 0x4
	s_load_dwordx4 s[12:15], s[22:23], 0x24
	s_load_dwordx4 s[16:19], s[2:3], 0x0
	s_add_u32 s22, s22, 48
	s_addc_u32 s23, s23, 0
	s_waitcnt lgkmcnt(0)
	v_mul_hi_u32 v4, s5, v2
	s_add_i32 s26, s26, 4
	s_add_u32 s2, s2, 16
	s_addc_u32 s3, s3, 0
	v_add_u32_e32 v4, v2, v4
	v_lshrrev_b32_e32 v4, s6, v4
	v_mul_lo_u32 v5, v4, s4
	v_mul_hi_u32 v6, s8, v4
	s_cmp_lg_u32 s24, s26
	v_sub_u32_e32 v2, v2, v5
	v_add_u32_e32 v5, v4, v6
	v_lshrrev_b32_e32 v5, s9, v5
	v_mul_lo_u32 v6, v2, s16
	v_mul_hi_u32 v2, s11, v5
	v_mul_lo_u32 v10, v5, s7
	v_add_u32_e32 v2, v5, v2
	v_lshrrev_b32_e32 v8, s12, v2
	v_mul_hi_u32 v2, s14, v8
	v_sub_u32_e32 v4, v4, v10
	v_mul_lo_u32 v10, v8, s10
	v_mul_lo_u32 v4, v4, s17
	v_add_u32_e32 v2, v8, v2
	v_lshrrev_b32_e32 v2, s15, v2
	v_mul_lo_u32 v11, v2, s13
	v_sub_u32_e32 v5, v5, v10
	v_mul_lo_u32 v5, v5, s18
	v_add3_u32 v1, v6, v1, v4
	v_sub_u32_e32 v8, v8, v11
	v_mul_lo_u32 v8, v8, s19
	v_add3_u32 v1, v5, v1, v8
	s_cbranch_scc1 .LBB133_34
; %bb.35:
	s_and_b32 s6, s25, 3
	s_cmp_eq_u32 s6, 0
	s_cbranch_scc0 .LBB133_39
	s_branch .LBB133_41
.LBB133_36:
                                        ; implicit-def: $vgpr1
	s_branch .LBB133_42
.LBB133_37:
	v_mov_b32_e32 v1, 0
	s_branch .LBB133_41
.LBB133_38:
	v_mov_b32_e32 v1, 0
	v_mov_b32_e32 v2, v3
	s_and_b32 s6, s25, 3
	s_cmp_eq_u32 s6, 0
	s_cbranch_scc1 .LBB133_41
.LBB133_39:
	s_lshl_b32 s2, s24, 2
	s_add_u32 s2, s20, s2
	s_addc_u32 s3, s21, 0
	s_add_u32 s2, s2, 0xc4
	s_addc_u32 s3, s3, 0
	s_mul_i32 s4, s24, 12
	s_add_u32 s4, s20, s4
	s_addc_u32 s5, s21, 0
.LBB133_40:                             ; =>This Inner Loop Header: Depth=1
	s_waitcnt lgkmcnt(0)
	s_load_dwordx2 s[8:9], s[4:5], 0x4
	s_load_dword s7, s[4:5], 0xc
	s_add_u32 s4, s4, 12
	s_addc_u32 s5, s5, 0
	s_waitcnt lgkmcnt(0)
	v_mul_hi_u32 v4, s9, v2
	s_load_dword s9, s[2:3], 0x0
	s_add_u32 s2, s2, 4
	s_addc_u32 s3, s3, 0
	v_add_u32_e32 v4, v2, v4
	v_lshrrev_b32_e32 v4, s7, v4
	v_mul_lo_u32 v5, v4, s8
	s_add_i32 s6, s6, -1
	s_cmp_lg_u32 s6, 0
	v_sub_u32_e32 v2, v2, v5
	s_waitcnt lgkmcnt(0)
	v_mad_u64_u32 v[1:2], s[8:9], v2, s9, v[1:2]
	v_mov_b32_e32 v2, v4
	s_cbranch_scc1 .LBB133_40
.LBB133_41:
	s_cbranch_execnz .LBB133_44
.LBB133_42:
	s_load_dwordx4 s[4:7], s[20:21], 0x4
	s_load_dword s2, s[20:21], 0xc4
	s_cmp_lt_u32 s33, 2
	s_waitcnt lgkmcnt(0)
	v_mul_hi_u32 v1, s5, v3
	v_add_u32_e32 v1, v3, v1
	v_lshrrev_b32_e32 v2, s6, v1
	v_mul_lo_u32 v1, v2, s4
	v_sub_u32_e32 v1, v3, v1
	v_mul_lo_u32 v1, v1, s2
	s_cbranch_scc1 .LBB133_44
; %bb.43:
	s_load_dwordx4 s[4:7], s[20:21], 0x10
	s_load_dword s2, s[20:21], 0xc8
	s_waitcnt lgkmcnt(0)
	v_mul_hi_u32 v3, s5, v2
	v_add_u32_e32 v3, v2, v3
	v_lshrrev_b32_e32 v3, s6, v3
	v_mul_lo_u32 v3, v3, s4
	v_sub_u32_e32 v2, v2, v3
	v_mad_u64_u32 v[1:2], s[2:3], v2, s2, v[1:2]
.LBB133_44:
	s_and_b64 vcc, exec, s[0:1]
	v_add_u32_e32 v4, 0x100, v7
	s_cbranch_vccnz .LBB133_50
; %bb.45:
	s_cmp_lg_u32 s33, 0
	s_mov_b32 s24, 0
	s_cbranch_scc0 .LBB133_51
; %bb.46:
	s_min_u32 s25, s46, 15
	s_add_i32 s25, s25, 1
	s_cmp_eq_u32 s46, 2
	s_cbranch_scc1 .LBB133_52
; %bb.47:
	s_and_b32 s24, s25, 28
	s_add_u32 s2, s20, 0xc4
	s_addc_u32 s3, s21, 0
	s_waitcnt lgkmcnt(0)
	s_mov_b32 s26, 0
	v_mov_b32_e32 v2, 0
	s_mov_b64 s[22:23], s[20:21]
	v_mov_b32_e32 v3, v4
.LBB133_48:                             ; =>This Inner Loop Header: Depth=1
	s_load_dwordx8 s[4:11], s[22:23], 0x4
	s_load_dwordx4 s[12:15], s[22:23], 0x24
	s_load_dwordx4 s[16:19], s[2:3], 0x0
	s_add_u32 s22, s22, 48
	s_addc_u32 s23, s23, 0
	s_waitcnt lgkmcnt(0)
	v_mul_hi_u32 v5, s5, v3
	s_add_i32 s26, s26, 4
	s_add_u32 s2, s2, 16
	s_addc_u32 s3, s3, 0
	v_add_u32_e32 v5, v3, v5
	v_lshrrev_b32_e32 v5, s6, v5
	v_mul_lo_u32 v6, v5, s4
	v_mul_hi_u32 v8, s8, v5
	s_cmp_lg_u32 s24, s26
	v_sub_u32_e32 v3, v3, v6
	v_add_u32_e32 v6, v5, v8
	v_lshrrev_b32_e32 v6, s9, v6
	v_mul_lo_u32 v8, v3, s16
	v_mul_hi_u32 v3, s11, v6
	v_mul_lo_u32 v11, v6, s7
	v_add_u32_e32 v3, v6, v3
	v_lshrrev_b32_e32 v10, s12, v3
	v_mul_hi_u32 v3, s14, v10
	v_sub_u32_e32 v5, v5, v11
	v_mul_lo_u32 v11, v10, s10
	v_mul_lo_u32 v5, v5, s17
	v_add_u32_e32 v3, v10, v3
	v_lshrrev_b32_e32 v3, s15, v3
	v_mul_lo_u32 v12, v3, s13
	v_sub_u32_e32 v6, v6, v11
	v_mul_lo_u32 v6, v6, s18
	v_add3_u32 v2, v8, v2, v5
	v_sub_u32_e32 v10, v10, v12
	v_mul_lo_u32 v10, v10, s19
	v_add3_u32 v2, v6, v2, v10
	s_cbranch_scc1 .LBB133_48
; %bb.49:
	s_and_b32 s6, s25, 3
	s_cmp_eq_u32 s6, 0
	s_cbranch_scc0 .LBB133_53
	s_branch .LBB133_55
.LBB133_50:
                                        ; implicit-def: $vgpr2
	s_branch .LBB133_56
.LBB133_51:
	v_mov_b32_e32 v2, 0
	s_branch .LBB133_55
.LBB133_52:
	v_mov_b32_e32 v2, 0
	v_mov_b32_e32 v3, v4
	s_and_b32 s6, s25, 3
	s_cmp_eq_u32 s6, 0
	s_cbranch_scc1 .LBB133_55
.LBB133_53:
	s_lshl_b32 s2, s24, 2
	s_add_u32 s2, s20, s2
	s_addc_u32 s3, s21, 0
	s_add_u32 s2, s2, 0xc4
	s_addc_u32 s3, s3, 0
	s_mul_i32 s4, s24, 12
	s_add_u32 s4, s20, s4
	s_addc_u32 s5, s21, 0
.LBB133_54:                             ; =>This Inner Loop Header: Depth=1
	s_waitcnt lgkmcnt(0)
	s_load_dwordx2 s[8:9], s[4:5], 0x4
	s_load_dword s7, s[4:5], 0xc
	s_add_u32 s4, s4, 12
	s_addc_u32 s5, s5, 0
	s_waitcnt lgkmcnt(0)
	v_mul_hi_u32 v5, s9, v3
	s_load_dword s9, s[2:3], 0x0
	s_add_u32 s2, s2, 4
	s_addc_u32 s3, s3, 0
	v_add_u32_e32 v5, v3, v5
	v_lshrrev_b32_e32 v5, s7, v5
	v_mul_lo_u32 v6, v5, s8
	s_add_i32 s6, s6, -1
	s_cmp_lg_u32 s6, 0
	v_sub_u32_e32 v3, v3, v6
	s_waitcnt lgkmcnt(0)
	v_mad_u64_u32 v[2:3], s[8:9], v3, s9, v[2:3]
	v_mov_b32_e32 v3, v5
	s_cbranch_scc1 .LBB133_54
.LBB133_55:
	s_cbranch_execnz .LBB133_58
.LBB133_56:
	s_load_dwordx4 s[4:7], s[20:21], 0x4
	s_load_dword s2, s[20:21], 0xc4
	s_cmp_lt_u32 s33, 2
	s_waitcnt lgkmcnt(0)
	v_mul_hi_u32 v2, s5, v4
	v_add_u32_e32 v2, v4, v2
	v_lshrrev_b32_e32 v3, s6, v2
	v_mul_lo_u32 v2, v3, s4
	v_sub_u32_e32 v2, v4, v2
	v_mul_lo_u32 v2, v2, s2
	s_cbranch_scc1 .LBB133_58
; %bb.57:
	s_load_dwordx4 s[4:7], s[20:21], 0x10
	s_load_dword s2, s[20:21], 0xc8
	s_waitcnt lgkmcnt(0)
	v_mul_hi_u32 v4, s5, v3
	v_add_u32_e32 v4, v3, v4
	v_lshrrev_b32_e32 v4, s6, v4
	v_mul_lo_u32 v4, v4, s4
	v_sub_u32_e32 v3, v3, v4
	v_mad_u64_u32 v[2:3], s[2:3], v3, s2, v[2:3]
.LBB133_58:
	s_and_b64 vcc, exec, s[0:1]
	v_add_u32_e32 v5, 0x180, v7
	s_cbranch_vccnz .LBB133_64
; %bb.59:
	s_cmp_lg_u32 s33, 0
	s_mov_b32 s24, 0
	s_cbranch_scc0 .LBB133_65
; %bb.60:
	s_min_u32 s25, s46, 15
	s_add_i32 s25, s25, 1
	s_cmp_eq_u32 s46, 2
	s_cbranch_scc1 .LBB133_66
; %bb.61:
	s_and_b32 s24, s25, 28
	s_add_u32 s2, s20, 0xc4
	s_addc_u32 s3, s21, 0
	s_waitcnt lgkmcnt(0)
	s_mov_b32 s26, 0
	v_mov_b32_e32 v3, 0
	s_mov_b64 s[22:23], s[20:21]
	v_mov_b32_e32 v4, v5
.LBB133_62:                             ; =>This Inner Loop Header: Depth=1
	s_load_dwordx8 s[4:11], s[22:23], 0x4
	s_load_dwordx4 s[12:15], s[22:23], 0x24
	s_load_dwordx4 s[16:19], s[2:3], 0x0
	s_add_u32 s22, s22, 48
	s_addc_u32 s23, s23, 0
	s_waitcnt lgkmcnt(0)
	v_mul_hi_u32 v6, s5, v4
	s_add_i32 s26, s26, 4
	s_add_u32 s2, s2, 16
	s_addc_u32 s3, s3, 0
	v_add_u32_e32 v6, v4, v6
	v_lshrrev_b32_e32 v6, s6, v6
	v_mul_lo_u32 v8, v6, s4
	v_mul_hi_u32 v10, s8, v6
	s_cmp_lg_u32 s24, s26
	v_sub_u32_e32 v4, v4, v8
	v_add_u32_e32 v8, v6, v10
	v_lshrrev_b32_e32 v8, s9, v8
	v_mul_lo_u32 v10, v4, s16
	v_mul_hi_u32 v4, s11, v8
	v_mul_lo_u32 v12, v8, s7
	v_add_u32_e32 v4, v8, v4
	v_lshrrev_b32_e32 v11, s12, v4
	v_mul_hi_u32 v4, s14, v11
	v_sub_u32_e32 v6, v6, v12
	v_mul_lo_u32 v12, v11, s10
	v_mul_lo_u32 v6, v6, s17
	v_add_u32_e32 v4, v11, v4
	v_lshrrev_b32_e32 v4, s15, v4
	v_mul_lo_u32 v13, v4, s13
	v_sub_u32_e32 v8, v8, v12
	v_mul_lo_u32 v8, v8, s18
	v_add3_u32 v3, v10, v3, v6
	v_sub_u32_e32 v11, v11, v13
	v_mul_lo_u32 v11, v11, s19
	v_add3_u32 v3, v8, v3, v11
	s_cbranch_scc1 .LBB133_62
; %bb.63:
	s_and_b32 s6, s25, 3
	s_cmp_eq_u32 s6, 0
	s_cbranch_scc0 .LBB133_67
	s_branch .LBB133_69
.LBB133_64:
                                        ; implicit-def: $vgpr3
	s_branch .LBB133_70
.LBB133_65:
	v_mov_b32_e32 v3, 0
	s_branch .LBB133_69
.LBB133_66:
	v_mov_b32_e32 v3, 0
	v_mov_b32_e32 v4, v5
	s_and_b32 s6, s25, 3
	s_cmp_eq_u32 s6, 0
	s_cbranch_scc1 .LBB133_69
.LBB133_67:
	s_lshl_b32 s2, s24, 2
	s_add_u32 s2, s20, s2
	s_addc_u32 s3, s21, 0
	s_add_u32 s2, s2, 0xc4
	s_addc_u32 s3, s3, 0
	s_mul_i32 s4, s24, 12
	s_add_u32 s4, s20, s4
	s_addc_u32 s5, s21, 0
.LBB133_68:                             ; =>This Inner Loop Header: Depth=1
	s_waitcnt lgkmcnt(0)
	s_load_dwordx2 s[8:9], s[4:5], 0x4
	s_load_dword s7, s[4:5], 0xc
	s_add_u32 s4, s4, 12
	s_addc_u32 s5, s5, 0
	s_waitcnt lgkmcnt(0)
	v_mul_hi_u32 v6, s9, v4
	s_load_dword s9, s[2:3], 0x0
	s_add_u32 s2, s2, 4
	s_addc_u32 s3, s3, 0
	v_add_u32_e32 v6, v4, v6
	v_lshrrev_b32_e32 v6, s7, v6
	v_mul_lo_u32 v8, v6, s8
	s_add_i32 s6, s6, -1
	s_cmp_lg_u32 s6, 0
	v_sub_u32_e32 v4, v4, v8
	s_waitcnt lgkmcnt(0)
	v_mad_u64_u32 v[3:4], s[8:9], v4, s9, v[3:4]
	v_mov_b32_e32 v4, v6
	s_cbranch_scc1 .LBB133_68
.LBB133_69:
	s_cbranch_execnz .LBB133_72
.LBB133_70:
	s_load_dwordx4 s[4:7], s[20:21], 0x4
	s_load_dword s2, s[20:21], 0xc4
	s_cmp_lt_u32 s33, 2
	s_waitcnt lgkmcnt(0)
	v_mul_hi_u32 v3, s5, v5
	v_add_u32_e32 v3, v5, v3
	v_lshrrev_b32_e32 v4, s6, v3
	v_mul_lo_u32 v3, v4, s4
	v_sub_u32_e32 v3, v5, v3
	v_mul_lo_u32 v3, v3, s2
	s_cbranch_scc1 .LBB133_72
; %bb.71:
	s_load_dwordx4 s[4:7], s[20:21], 0x10
	s_load_dword s2, s[20:21], 0xc8
	s_waitcnt lgkmcnt(0)
	v_mul_hi_u32 v5, s5, v4
	v_add_u32_e32 v5, v4, v5
	v_lshrrev_b32_e32 v5, s6, v5
	v_mul_lo_u32 v5, v5, s4
	v_sub_u32_e32 v4, v4, v5
	v_mad_u64_u32 v[3:4], s[2:3], v4, s2, v[3:4]
.LBB133_72:
	s_and_b64 vcc, exec, s[0:1]
	v_add_u32_e32 v6, 0x200, v7
	s_cbranch_vccnz .LBB133_78
; %bb.73:
	s_cmp_lg_u32 s33, 0
	s_mov_b32 s24, 0
	s_cbranch_scc0 .LBB133_79
; %bb.74:
	s_min_u32 s25, s46, 15
	s_add_i32 s25, s25, 1
	s_cmp_eq_u32 s46, 2
	s_cbranch_scc1 .LBB133_80
; %bb.75:
	s_and_b32 s24, s25, 28
	s_add_u32 s2, s20, 0xc4
	s_addc_u32 s3, s21, 0
	s_waitcnt lgkmcnt(0)
	s_mov_b32 s26, 0
	v_mov_b32_e32 v4, 0
	s_mov_b64 s[22:23], s[20:21]
	v_mov_b32_e32 v5, v6
.LBB133_76:                             ; =>This Inner Loop Header: Depth=1
	s_load_dwordx8 s[4:11], s[22:23], 0x4
	s_load_dwordx4 s[12:15], s[22:23], 0x24
	s_load_dwordx4 s[16:19], s[2:3], 0x0
	s_add_u32 s22, s22, 48
	s_addc_u32 s23, s23, 0
	s_waitcnt lgkmcnt(0)
	v_mul_hi_u32 v8, s5, v5
	s_add_i32 s26, s26, 4
	s_add_u32 s2, s2, 16
	s_addc_u32 s3, s3, 0
	v_add_u32_e32 v8, v5, v8
	v_lshrrev_b32_e32 v8, s6, v8
	v_mul_lo_u32 v10, v8, s4
	v_mul_hi_u32 v11, s8, v8
	s_cmp_lg_u32 s24, s26
	v_sub_u32_e32 v5, v5, v10
	v_add_u32_e32 v10, v8, v11
	v_lshrrev_b32_e32 v10, s9, v10
	v_mul_lo_u32 v11, v5, s16
	v_mul_hi_u32 v5, s11, v10
	v_mul_lo_u32 v13, v10, s7
	v_add_u32_e32 v5, v10, v5
	v_lshrrev_b32_e32 v12, s12, v5
	v_mul_hi_u32 v5, s14, v12
	v_sub_u32_e32 v8, v8, v13
	v_mul_lo_u32 v13, v12, s10
	v_mul_lo_u32 v8, v8, s17
	v_add_u32_e32 v5, v12, v5
	v_lshrrev_b32_e32 v5, s15, v5
	v_mul_lo_u32 v14, v5, s13
	v_sub_u32_e32 v10, v10, v13
	v_mul_lo_u32 v10, v10, s18
	v_add3_u32 v4, v11, v4, v8
	v_sub_u32_e32 v12, v12, v14
	v_mul_lo_u32 v12, v12, s19
	v_add3_u32 v4, v10, v4, v12
	s_cbranch_scc1 .LBB133_76
; %bb.77:
	s_and_b32 s6, s25, 3
	s_cmp_eq_u32 s6, 0
	s_cbranch_scc0 .LBB133_81
	s_branch .LBB133_83
.LBB133_78:
                                        ; implicit-def: $vgpr4
	s_branch .LBB133_84
.LBB133_79:
	v_mov_b32_e32 v4, 0
	s_branch .LBB133_83
.LBB133_80:
	v_mov_b32_e32 v4, 0
	v_mov_b32_e32 v5, v6
	s_and_b32 s6, s25, 3
	s_cmp_eq_u32 s6, 0
	s_cbranch_scc1 .LBB133_83
.LBB133_81:
	s_lshl_b32 s2, s24, 2
	s_add_u32 s2, s20, s2
	s_addc_u32 s3, s21, 0
	s_add_u32 s2, s2, 0xc4
	s_addc_u32 s3, s3, 0
	s_mul_i32 s4, s24, 12
	s_add_u32 s4, s20, s4
	s_addc_u32 s5, s21, 0
.LBB133_82:                             ; =>This Inner Loop Header: Depth=1
	s_waitcnt lgkmcnt(0)
	s_load_dwordx2 s[8:9], s[4:5], 0x4
	s_load_dword s7, s[4:5], 0xc
	s_add_u32 s4, s4, 12
	s_addc_u32 s5, s5, 0
	s_waitcnt lgkmcnt(0)
	v_mul_hi_u32 v8, s9, v5
	s_load_dword s9, s[2:3], 0x0
	s_add_u32 s2, s2, 4
	s_addc_u32 s3, s3, 0
	v_add_u32_e32 v8, v5, v8
	v_lshrrev_b32_e32 v8, s7, v8
	v_mul_lo_u32 v10, v8, s8
	s_add_i32 s6, s6, -1
	s_cmp_lg_u32 s6, 0
	v_sub_u32_e32 v5, v5, v10
	s_waitcnt lgkmcnt(0)
	v_mad_u64_u32 v[4:5], s[8:9], v5, s9, v[4:5]
	v_mov_b32_e32 v5, v8
	s_cbranch_scc1 .LBB133_82
.LBB133_83:
	s_cbranch_execnz .LBB133_86
.LBB133_84:
	s_load_dwordx4 s[4:7], s[20:21], 0x4
	s_load_dword s2, s[20:21], 0xc4
	s_cmp_lt_u32 s33, 2
	s_waitcnt lgkmcnt(0)
	v_mul_hi_u32 v4, s5, v6
	v_add_u32_e32 v4, v6, v4
	v_lshrrev_b32_e32 v5, s6, v4
	v_mul_lo_u32 v4, v5, s4
	v_sub_u32_e32 v4, v6, v4
	v_mul_lo_u32 v4, v4, s2
	s_cbranch_scc1 .LBB133_86
; %bb.85:
	s_load_dwordx4 s[4:7], s[20:21], 0x10
	s_load_dword s2, s[20:21], 0xc8
	s_waitcnt lgkmcnt(0)
	v_mul_hi_u32 v6, s5, v5
	v_add_u32_e32 v6, v5, v6
	v_lshrrev_b32_e32 v6, s6, v6
	v_mul_lo_u32 v6, v6, s4
	v_sub_u32_e32 v5, v5, v6
	v_mad_u64_u32 v[4:5], s[2:3], v5, s2, v[4:5]
.LBB133_86:
	s_and_b64 vcc, exec, s[0:1]
	v_add_u32_e32 v8, 0x280, v7
	s_cbranch_vccnz .LBB133_92
; %bb.87:
	s_cmp_lg_u32 s33, 0
	s_mov_b32 s24, 0
	s_cbranch_scc0 .LBB133_93
; %bb.88:
	s_min_u32 s25, s46, 15
	s_add_i32 s25, s25, 1
	s_cmp_eq_u32 s46, 2
	s_cbranch_scc1 .LBB133_94
; %bb.89:
	s_and_b32 s24, s25, 28
	s_add_u32 s2, s20, 0xc4
	s_addc_u32 s3, s21, 0
	s_waitcnt lgkmcnt(0)
	s_mov_b32 s26, 0
	v_mov_b32_e32 v5, 0
	s_mov_b64 s[22:23], s[20:21]
	v_mov_b32_e32 v6, v8
.LBB133_90:                             ; =>This Inner Loop Header: Depth=1
	s_load_dwordx8 s[4:11], s[22:23], 0x4
	s_load_dwordx4 s[12:15], s[22:23], 0x24
	s_load_dwordx4 s[16:19], s[2:3], 0x0
	s_add_u32 s22, s22, 48
	s_addc_u32 s23, s23, 0
	s_waitcnt lgkmcnt(0)
	v_mul_hi_u32 v10, s5, v6
	s_add_i32 s26, s26, 4
	s_add_u32 s2, s2, 16
	s_addc_u32 s3, s3, 0
	v_add_u32_e32 v10, v6, v10
	v_lshrrev_b32_e32 v10, s6, v10
	v_mul_lo_u32 v11, v10, s4
	v_mul_hi_u32 v12, s8, v10
	s_cmp_lg_u32 s24, s26
	v_sub_u32_e32 v6, v6, v11
	v_add_u32_e32 v11, v10, v12
	v_lshrrev_b32_e32 v11, s9, v11
	v_mul_lo_u32 v12, v6, s16
	v_mul_hi_u32 v6, s11, v11
	v_mul_lo_u32 v14, v11, s7
	v_add_u32_e32 v6, v11, v6
	v_lshrrev_b32_e32 v13, s12, v6
	v_mul_hi_u32 v6, s14, v13
	v_sub_u32_e32 v10, v10, v14
	v_mul_lo_u32 v14, v13, s10
	v_mul_lo_u32 v10, v10, s17
	v_add_u32_e32 v6, v13, v6
	v_lshrrev_b32_e32 v6, s15, v6
	v_mul_lo_u32 v15, v6, s13
	v_sub_u32_e32 v11, v11, v14
	v_mul_lo_u32 v11, v11, s18
	v_add3_u32 v5, v12, v5, v10
	v_sub_u32_e32 v13, v13, v15
	v_mul_lo_u32 v13, v13, s19
	v_add3_u32 v5, v11, v5, v13
	s_cbranch_scc1 .LBB133_90
; %bb.91:
	s_and_b32 s6, s25, 3
	s_cmp_eq_u32 s6, 0
	s_cbranch_scc0 .LBB133_95
	s_branch .LBB133_97
.LBB133_92:
                                        ; implicit-def: $vgpr5
	s_branch .LBB133_98
.LBB133_93:
	v_mov_b32_e32 v5, 0
	s_branch .LBB133_97
.LBB133_94:
	v_mov_b32_e32 v5, 0
	v_mov_b32_e32 v6, v8
	s_and_b32 s6, s25, 3
	s_cmp_eq_u32 s6, 0
	s_cbranch_scc1 .LBB133_97
.LBB133_95:
	s_lshl_b32 s2, s24, 2
	s_add_u32 s2, s20, s2
	s_addc_u32 s3, s21, 0
	s_add_u32 s2, s2, 0xc4
	s_addc_u32 s3, s3, 0
	s_mul_i32 s4, s24, 12
	s_add_u32 s4, s20, s4
	s_addc_u32 s5, s21, 0
.LBB133_96:                             ; =>This Inner Loop Header: Depth=1
	s_waitcnt lgkmcnt(0)
	s_load_dwordx2 s[8:9], s[4:5], 0x4
	s_load_dword s7, s[4:5], 0xc
	s_add_u32 s4, s4, 12
	s_addc_u32 s5, s5, 0
	s_waitcnt lgkmcnt(0)
	v_mul_hi_u32 v10, s9, v6
	s_load_dword s9, s[2:3], 0x0
	s_add_u32 s2, s2, 4
	s_addc_u32 s3, s3, 0
	v_add_u32_e32 v10, v6, v10
	v_lshrrev_b32_e32 v10, s7, v10
	v_mul_lo_u32 v11, v10, s8
	s_add_i32 s6, s6, -1
	s_cmp_lg_u32 s6, 0
	v_sub_u32_e32 v6, v6, v11
	s_waitcnt lgkmcnt(0)
	v_mad_u64_u32 v[5:6], s[8:9], v6, s9, v[5:6]
	v_mov_b32_e32 v6, v10
	s_cbranch_scc1 .LBB133_96
.LBB133_97:
	s_cbranch_execnz .LBB133_100
.LBB133_98:
	s_load_dwordx4 s[4:7], s[20:21], 0x4
	s_load_dword s2, s[20:21], 0xc4
	s_cmp_lt_u32 s33, 2
	s_waitcnt lgkmcnt(0)
	v_mul_hi_u32 v5, s5, v8
	v_add_u32_e32 v5, v8, v5
	v_lshrrev_b32_e32 v6, s6, v5
	v_mul_lo_u32 v5, v6, s4
	v_sub_u32_e32 v5, v8, v5
	v_mul_lo_u32 v5, v5, s2
	s_cbranch_scc1 .LBB133_100
; %bb.99:
	s_load_dwordx4 s[4:7], s[20:21], 0x10
	s_load_dword s2, s[20:21], 0xc8
	s_waitcnt lgkmcnt(0)
	v_mul_hi_u32 v8, s5, v6
	v_add_u32_e32 v8, v6, v8
	v_lshrrev_b32_e32 v8, s6, v8
	v_mul_lo_u32 v8, v8, s4
	v_sub_u32_e32 v6, v6, v8
	v_mad_u64_u32 v[5:6], s[2:3], v6, s2, v[5:6]
.LBB133_100:
	s_and_b64 vcc, exec, s[0:1]
	v_add_u32_e32 v8, 0x300, v7
	s_cbranch_vccnz .LBB133_106
; %bb.101:
	s_cmp_lg_u32 s33, 0
	s_mov_b32 s24, 0
	s_cbranch_scc0 .LBB133_107
; %bb.102:
	s_min_u32 s25, s46, 15
	s_add_i32 s25, s25, 1
	s_cmp_eq_u32 s46, 2
	s_cbranch_scc1 .LBB133_108
; %bb.103:
	s_and_b32 s24, s25, 28
	s_add_u32 s2, s20, 0xc4
	s_addc_u32 s3, s21, 0
	s_waitcnt lgkmcnt(0)
	s_mov_b32 s26, 0
	v_mov_b32_e32 v6, 0
	s_mov_b64 s[22:23], s[20:21]
	v_mov_b32_e32 v7, v8
.LBB133_104:                            ; =>This Inner Loop Header: Depth=1
	s_load_dwordx8 s[4:11], s[22:23], 0x4
	s_load_dwordx4 s[12:15], s[22:23], 0x24
	s_load_dwordx4 s[16:19], s[2:3], 0x0
	s_add_u32 s22, s22, 48
	s_addc_u32 s23, s23, 0
	s_waitcnt lgkmcnt(0)
	v_mul_hi_u32 v10, s5, v7
	s_add_i32 s26, s26, 4
	s_add_u32 s2, s2, 16
	s_addc_u32 s3, s3, 0
	v_add_u32_e32 v10, v7, v10
	v_lshrrev_b32_e32 v10, s6, v10
	v_mul_lo_u32 v11, v10, s4
	v_mul_hi_u32 v12, s8, v10
	s_cmp_lg_u32 s24, s26
	v_sub_u32_e32 v7, v7, v11
	v_add_u32_e32 v11, v10, v12
	v_lshrrev_b32_e32 v11, s9, v11
	v_mul_lo_u32 v12, v7, s16
	v_mul_hi_u32 v7, s11, v11
	v_mul_lo_u32 v14, v11, s7
	v_add_u32_e32 v7, v11, v7
	v_lshrrev_b32_e32 v13, s12, v7
	v_mul_hi_u32 v7, s14, v13
	v_sub_u32_e32 v10, v10, v14
	v_mul_lo_u32 v14, v13, s10
	v_mul_lo_u32 v10, v10, s17
	v_add_u32_e32 v7, v13, v7
	v_lshrrev_b32_e32 v7, s15, v7
	v_mul_lo_u32 v15, v7, s13
	v_sub_u32_e32 v11, v11, v14
	v_mul_lo_u32 v11, v11, s18
	v_add3_u32 v6, v12, v6, v10
	v_sub_u32_e32 v13, v13, v15
	v_mul_lo_u32 v13, v13, s19
	v_add3_u32 v6, v11, v6, v13
	s_cbranch_scc1 .LBB133_104
; %bb.105:
	s_and_b32 s6, s25, 3
	s_cmp_eq_u32 s6, 0
	s_cbranch_scc0 .LBB133_109
	s_branch .LBB133_111
.LBB133_106:
                                        ; implicit-def: $vgpr6
	s_branch .LBB133_112
.LBB133_107:
	v_mov_b32_e32 v6, 0
	s_branch .LBB133_111
.LBB133_108:
	v_mov_b32_e32 v6, 0
	v_mov_b32_e32 v7, v8
	s_and_b32 s6, s25, 3
	s_cmp_eq_u32 s6, 0
	s_cbranch_scc1 .LBB133_111
.LBB133_109:
	s_lshl_b32 s2, s24, 2
	s_add_u32 s2, s20, s2
	s_addc_u32 s3, s21, 0
	s_add_u32 s2, s2, 0xc4
	s_addc_u32 s3, s3, 0
	s_mul_i32 s4, s24, 12
	s_add_u32 s4, s20, s4
	s_addc_u32 s5, s21, 0
.LBB133_110:                            ; =>This Inner Loop Header: Depth=1
	s_waitcnt lgkmcnt(0)
	s_load_dwordx2 s[8:9], s[4:5], 0x4
	s_load_dword s7, s[4:5], 0xc
	s_add_u32 s4, s4, 12
	s_addc_u32 s5, s5, 0
	s_waitcnt lgkmcnt(0)
	v_mul_hi_u32 v10, s9, v7
	s_load_dword s9, s[2:3], 0x0
	s_add_u32 s2, s2, 4
	s_addc_u32 s3, s3, 0
	v_add_u32_e32 v10, v7, v10
	v_lshrrev_b32_e32 v10, s7, v10
	v_mul_lo_u32 v11, v10, s8
	s_add_i32 s6, s6, -1
	s_cmp_lg_u32 s6, 0
	v_sub_u32_e32 v7, v7, v11
	s_waitcnt lgkmcnt(0)
	v_mad_u64_u32 v[6:7], s[8:9], v7, s9, v[6:7]
	v_mov_b32_e32 v7, v10
	s_cbranch_scc1 .LBB133_110
.LBB133_111:
	s_cbranch_execnz .LBB133_114
.LBB133_112:
	s_load_dwordx4 s[4:7], s[20:21], 0x4
	s_load_dword s2, s[20:21], 0xc4
	s_cmp_lt_u32 s33, 2
	s_waitcnt lgkmcnt(0)
	v_mul_hi_u32 v6, s5, v8
	v_add_u32_e32 v6, v8, v6
	v_lshrrev_b32_e32 v7, s6, v6
	v_mul_lo_u32 v6, v7, s4
	v_sub_u32_e32 v6, v8, v6
	v_mul_lo_u32 v6, v6, s2
	s_cbranch_scc1 .LBB133_114
; %bb.113:
	s_load_dwordx4 s[4:7], s[20:21], 0x10
	s_load_dword s2, s[20:21], 0xc8
	s_waitcnt lgkmcnt(0)
	v_mul_hi_u32 v8, s5, v7
	v_add_u32_e32 v8, v7, v8
	v_lshrrev_b32_e32 v8, s6, v8
	v_mul_lo_u32 v8, v8, s4
	v_sub_u32_e32 v7, v7, v8
	v_mad_u64_u32 v[6:7], s[2:3], v7, s2, v[6:7]
.LBB133_114:
	s_and_b64 vcc, exec, s[0:1]
	s_cbranch_vccnz .LBB133_120
; %bb.115:
	s_cmp_lg_u32 s33, 0
	s_mov_b32 s22, 0
	s_cbranch_scc0 .LBB133_121
; %bb.116:
	s_min_u32 s23, s46, 15
	s_add_i32 s23, s23, 1
	s_cmp_eq_u32 s46, 2
	s_cbranch_scc1 .LBB133_122
; %bb.117:
	s_and_b32 s22, s23, 28
	s_add_u32 s16, s20, 0xc4
	s_addc_u32 s17, s21, 0
	s_mov_b32 s24, 0
	v_mov_b32_e32 v7, 0
	s_mov_b64 s[18:19], s[20:21]
	v_mov_b32_e32 v8, v9
.LBB133_118:                            ; =>This Inner Loop Header: Depth=1
	s_load_dwordx8 s[0:7], s[18:19], 0x4
	s_waitcnt lgkmcnt(0)
	s_load_dwordx4 s[8:11], s[18:19], 0x24
	s_load_dwordx4 s[12:15], s[16:17], 0x0
	s_add_u32 s18, s18, 48
	s_addc_u32 s19, s19, 0
	v_mul_hi_u32 v10, s1, v8
	s_add_i32 s24, s24, 4
	s_add_u32 s16, s16, 16
	s_addc_u32 s17, s17, 0
	v_add_u32_e32 v10, v8, v10
	v_lshrrev_b32_e32 v10, s2, v10
	v_mul_lo_u32 v11, v10, s0
	v_mul_hi_u32 v12, s4, v10
	s_cmp_lg_u32 s22, s24
	v_sub_u32_e32 v8, v8, v11
	v_add_u32_e32 v11, v10, v12
	v_lshrrev_b32_e32 v11, s5, v11
	s_waitcnt lgkmcnt(0)
	v_mul_lo_u32 v12, v8, s12
	v_mul_hi_u32 v8, s7, v11
	v_mul_lo_u32 v14, v11, s3
	v_add_u32_e32 v8, v11, v8
	v_lshrrev_b32_e32 v13, s8, v8
	v_mul_hi_u32 v8, s10, v13
	v_sub_u32_e32 v10, v10, v14
	v_mul_lo_u32 v14, v13, s6
	v_mul_lo_u32 v10, v10, s13
	v_add_u32_e32 v8, v13, v8
	v_lshrrev_b32_e32 v8, s11, v8
	v_mul_lo_u32 v15, v8, s9
	v_sub_u32_e32 v11, v11, v14
	v_mul_lo_u32 v11, v11, s14
	v_add3_u32 v7, v12, v7, v10
	v_sub_u32_e32 v13, v13, v15
	v_mul_lo_u32 v13, v13, s15
	v_add3_u32 v7, v11, v7, v13
	s_cbranch_scc1 .LBB133_118
; %bb.119:
	s_and_b32 s4, s23, 3
	s_cmp_eq_u32 s4, 0
	s_cbranch_scc0 .LBB133_123
	s_branch .LBB133_125
.LBB133_120:
                                        ; implicit-def: $vgpr7
	s_branch .LBB133_126
.LBB133_121:
	v_mov_b32_e32 v7, 0
	s_branch .LBB133_125
.LBB133_122:
	v_mov_b32_e32 v7, 0
	v_mov_b32_e32 v8, v9
	s_and_b32 s4, s23, 3
	s_cmp_eq_u32 s4, 0
	s_cbranch_scc1 .LBB133_125
.LBB133_123:
	s_lshl_b32 s0, s22, 2
	s_add_u32 s0, s20, s0
	s_addc_u32 s1, s21, 0
	s_add_u32 s0, s0, 0xc4
	s_addc_u32 s1, s1, 0
	s_mul_i32 s2, s22, 12
	s_add_u32 s2, s20, s2
	s_addc_u32 s3, s21, 0
.LBB133_124:                            ; =>This Inner Loop Header: Depth=1
	s_load_dwordx2 s[6:7], s[2:3], 0x4
	s_load_dword s5, s[2:3], 0xc
	s_add_u32 s2, s2, 12
	s_addc_u32 s3, s3, 0
	s_waitcnt lgkmcnt(0)
	v_mul_hi_u32 v10, s7, v8
	s_load_dword s7, s[0:1], 0x0
	s_add_u32 s0, s0, 4
	s_addc_u32 s1, s1, 0
	v_add_u32_e32 v10, v8, v10
	v_lshrrev_b32_e32 v10, s5, v10
	v_mul_lo_u32 v11, v10, s6
	s_add_i32 s4, s4, -1
	s_cmp_lg_u32 s4, 0
	v_sub_u32_e32 v8, v8, v11
	s_waitcnt lgkmcnt(0)
	v_mad_u64_u32 v[7:8], s[6:7], v8, s7, v[7:8]
	v_mov_b32_e32 v8, v10
	s_cbranch_scc1 .LBB133_124
.LBB133_125:
	s_cbranch_execnz .LBB133_128
.LBB133_126:
	s_load_dwordx4 s[0:3], s[20:21], 0x4
	s_waitcnt lgkmcnt(0)
	s_load_dword s3, s[20:21], 0xc4
	s_cmp_lt_u32 s33, 2
	v_mul_hi_u32 v7, s1, v9
	v_add_u32_e32 v7, v9, v7
	v_lshrrev_b32_e32 v8, s2, v7
	v_mul_lo_u32 v7, v8, s0
	v_sub_u32_e32 v7, v9, v7
	s_waitcnt lgkmcnt(0)
	v_mul_lo_u32 v7, v7, s3
	s_cbranch_scc1 .LBB133_128
; %bb.127:
	s_load_dwordx4 s[0:3], s[20:21], 0x10
	s_waitcnt lgkmcnt(0)
	s_load_dword s3, s[20:21], 0xc8
	v_mul_hi_u32 v9, s1, v8
	v_add_u32_e32 v9, v8, v9
	v_lshrrev_b32_e32 v9, s2, v9
	v_mul_lo_u32 v9, v9, s0
	v_sub_u32_e32 v8, v8, v9
	s_waitcnt lgkmcnt(0)
	v_mad_u64_u32 v[7:8], s[0:1], v8, s3, v[7:8]
.LBB133_128:
	s_load_dword s2, s[20:21], 0x110
	s_load_dwordx2 s[0:1], s[20:21], 0x108
	s_waitcnt lgkmcnt(0)
	v_mov_b32_e32 v8, s2
	s_nop 0
	global_store_byte v0, v8, s[0:1]
	global_store_byte v1, v8, s[0:1]
	;; [unrolled: 1-line block ×8, first 2 shown]
	s_endpgm
.LBB133_129:
	v_mov_b32_e32 v0, 0
	s_branch .LBB133_135
.LBB133_130:
	v_mov_b32_e32 v0, 0
	s_branch .LBB133_151
.LBB133_131:
	v_mov_b32_e32 v0, 0
	s_mov_b32 s50, 0
	v_mov_b32_e32 v1, v7
.LBB133_132:
	s_and_b32 s4, s51, 3
	s_cmp_eq_u32 s4, 0
	s_cbranch_scc1 .LBB133_135
; %bb.133:
	s_lshl_b32 s0, s50, 2
	s_add_u32 s0, s20, s0
	s_addc_u32 s1, s21, 0
	s_add_u32 s0, s0, 0xc4
	s_addc_u32 s1, s1, 0
	s_mul_i32 s2, s50, 12
	s_add_u32 s2, s20, s2
	s_addc_u32 s3, s21, 0
.LBB133_134:                            ; =>This Inner Loop Header: Depth=1
	s_load_dwordx2 s[6:7], s[2:3], 0x4
	s_load_dword s5, s[2:3], 0xc
	s_add_u32 s2, s2, 12
	s_addc_u32 s3, s3, 0
	s_waitcnt lgkmcnt(0)
	v_mul_hi_u32 v2, s7, v1
	s_load_dword s7, s[0:1], 0x0
	s_add_u32 s0, s0, 4
	s_addc_u32 s1, s1, 0
	v_add_u32_e32 v2, v1, v2
	v_lshrrev_b32_e32 v2, s5, v2
	v_mul_lo_u32 v3, v2, s6
	s_add_i32 s4, s4, -1
	s_cmp_lg_u32 s4, 0
	v_sub_u32_e32 v1, v1, v3
	s_waitcnt lgkmcnt(0)
	v_mad_u64_u32 v[0:1], s[6:7], v1, s7, v[0:1]
	v_mov_b32_e32 v1, v2
	s_cbranch_scc1 .LBB133_134
.LBB133_135:
	s_cbranch_execnz .LBB133_138
.LBB133_136:
	s_waitcnt lgkmcnt(0)
	v_mul_hi_u32 v0, s9, v7
	s_andn2_b64 vcc, exec, s[34:35]
	v_add_u32_e32 v0, v7, v0
	v_lshrrev_b32_e32 v1, s10, v0
	v_mul_lo_u32 v0, v1, s8
	v_sub_u32_e32 v0, v7, v0
	v_mul_lo_u32 v0, v0, s28
	s_cbranch_vccnz .LBB133_138
; %bb.137:
	v_mul_hi_u32 v2, s30, v1
	v_add_u32_e32 v2, v1, v2
	v_lshrrev_b32_e32 v2, s31, v2
	v_mul_lo_u32 v2, v2, s11
	v_sub_u32_e32 v1, v1, v2
	v_mad_u64_u32 v[0:1], s[0:1], v1, s29, v[0:1]
.LBB133_138:
	s_waitcnt lgkmcnt(0)
	v_mov_b32_e32 v1, s47
	v_add_u32_e32 v7, 0x80, v7
	global_store_byte v0, v1, s[26:27]
	s_or_b64 exec, exec, s[40:41]
	v_cmp_gt_i32_e32 vcc, s48, v7
	s_and_saveexec_b64 s[40:41], vcc
	s_cbranch_execnz .LBB133_15
.LBB133_139:
	s_or_b64 exec, exec, s[40:41]
	v_cmp_gt_i32_e32 vcc, s48, v7
	s_and_saveexec_b64 s[40:41], vcc
	s_cbranch_execz .LBB133_155
.LBB133_140:
	s_andn2_b64 vcc, exec, s[22:23]
	s_cbranch_vccnz .LBB133_145
; %bb.141:
	s_andn2_b64 vcc, exec, s[38:39]
	s_cbranch_vccnz .LBB133_146
; %bb.142:
	s_add_i32 s51, s49, 1
	s_cmp_eq_u32 s46, 2
	s_cbranch_scc1 .LBB133_163
; %bb.143:
	s_and_b32 s50, s51, 28
	s_mov_b32 s52, 0
	v_mov_b32_e32 v0, 0
	s_mov_b64 s[42:43], s[20:21]
	s_mov_b64 s[44:45], s[36:37]
	v_mov_b32_e32 v1, v7
.LBB133_144:                            ; =>This Inner Loop Header: Depth=1
	s_load_dwordx8 s[0:7], s[42:43], 0x4
	s_load_dwordx4 s[12:15], s[42:43], 0x24
	s_load_dwordx4 s[16:19], s[44:45], 0x0
	s_add_u32 s42, s42, 48
	s_addc_u32 s43, s43, 0
	s_waitcnt lgkmcnt(0)
	v_mul_hi_u32 v2, s1, v1
	s_add_i32 s52, s52, 4
	s_add_u32 s44, s44, 16
	s_addc_u32 s45, s45, 0
	v_add_u32_e32 v2, v1, v2
	v_lshrrev_b32_e32 v2, s2, v2
	v_mul_lo_u32 v3, v2, s0
	v_mul_hi_u32 v4, s4, v2
	s_cmp_eq_u32 s50, s52
	v_sub_u32_e32 v1, v1, v3
	v_add_u32_e32 v3, v2, v4
	v_lshrrev_b32_e32 v3, s5, v3
	v_mul_lo_u32 v4, v1, s16
	v_mul_hi_u32 v1, s7, v3
	v_mul_lo_u32 v6, v3, s3
	v_add_u32_e32 v1, v3, v1
	v_lshrrev_b32_e32 v5, s12, v1
	v_mul_hi_u32 v1, s14, v5
	v_sub_u32_e32 v2, v2, v6
	v_mul_lo_u32 v6, v5, s6
	v_mul_lo_u32 v2, v2, s17
	v_add_u32_e32 v1, v5, v1
	v_lshrrev_b32_e32 v1, s15, v1
	v_mul_lo_u32 v8, v1, s13
	v_sub_u32_e32 v3, v3, v6
	v_mul_lo_u32 v3, v3, s18
	v_add3_u32 v0, v4, v0, v2
	v_sub_u32_e32 v5, v5, v8
	v_mul_lo_u32 v5, v5, s19
	v_add3_u32 v0, v3, v0, v5
	s_cbranch_scc0 .LBB133_144
	s_branch .LBB133_164
.LBB133_145:
                                        ; implicit-def: $vgpr0
	s_branch .LBB133_168
.LBB133_146:
	v_mov_b32_e32 v0, 0
	s_branch .LBB133_167
.LBB133_147:
	v_mov_b32_e32 v0, 0
	s_mov_b32 s50, 0
	v_mov_b32_e32 v1, v7
.LBB133_148:
	s_and_b32 s4, s51, 3
	s_cmp_eq_u32 s4, 0
	s_cbranch_scc1 .LBB133_151
; %bb.149:
	s_lshl_b32 s0, s50, 2
	s_add_u32 s0, s20, s0
	s_addc_u32 s1, s21, 0
	s_add_u32 s0, s0, 0xc4
	s_addc_u32 s1, s1, 0
	s_mul_i32 s2, s50, 12
	s_add_u32 s2, s20, s2
	s_addc_u32 s3, s21, 0
.LBB133_150:                            ; =>This Inner Loop Header: Depth=1
	s_load_dwordx2 s[6:7], s[2:3], 0x4
	s_load_dword s5, s[2:3], 0xc
	s_add_u32 s2, s2, 12
	s_addc_u32 s3, s3, 0
	s_waitcnt lgkmcnt(0)
	v_mul_hi_u32 v2, s7, v1
	s_load_dword s7, s[0:1], 0x0
	s_add_u32 s0, s0, 4
	s_addc_u32 s1, s1, 0
	v_add_u32_e32 v2, v1, v2
	v_lshrrev_b32_e32 v2, s5, v2
	v_mul_lo_u32 v3, v2, s6
	s_add_i32 s4, s4, -1
	s_cmp_lg_u32 s4, 0
	v_sub_u32_e32 v1, v1, v3
	s_waitcnt lgkmcnt(0)
	v_mad_u64_u32 v[0:1], s[6:7], v1, s7, v[0:1]
	v_mov_b32_e32 v1, v2
	s_cbranch_scc1 .LBB133_150
.LBB133_151:
	s_cbranch_execnz .LBB133_154
.LBB133_152:
	s_waitcnt lgkmcnt(0)
	v_mul_hi_u32 v0, s9, v7
	s_andn2_b64 vcc, exec, s[34:35]
	v_add_u32_e32 v0, v7, v0
	v_lshrrev_b32_e32 v1, s10, v0
	v_mul_lo_u32 v0, v1, s8
	v_sub_u32_e32 v0, v7, v0
	v_mul_lo_u32 v0, v0, s28
	s_cbranch_vccnz .LBB133_154
; %bb.153:
	v_mul_hi_u32 v2, s30, v1
	v_add_u32_e32 v2, v1, v2
	v_lshrrev_b32_e32 v2, s31, v2
	v_mul_lo_u32 v2, v2, s11
	v_sub_u32_e32 v1, v1, v2
	v_mad_u64_u32 v[0:1], s[0:1], v1, s29, v[0:1]
.LBB133_154:
	s_waitcnt lgkmcnt(0)
	v_mov_b32_e32 v1, s47
	v_add_u32_e32 v7, 0x80, v7
	global_store_byte v0, v1, s[26:27]
	s_or_b64 exec, exec, s[40:41]
	v_cmp_gt_i32_e32 vcc, s48, v7
	s_and_saveexec_b64 s[40:41], vcc
	s_cbranch_execnz .LBB133_140
.LBB133_155:
	s_or_b64 exec, exec, s[40:41]
	v_cmp_gt_i32_e32 vcc, s48, v7
	s_and_saveexec_b64 s[40:41], vcc
	s_cbranch_execz .LBB133_171
.LBB133_156:
	s_andn2_b64 vcc, exec, s[22:23]
	s_cbranch_vccnz .LBB133_161
; %bb.157:
	s_andn2_b64 vcc, exec, s[38:39]
	s_cbranch_vccnz .LBB133_162
; %bb.158:
	s_add_i32 s51, s49, 1
	s_cmp_eq_u32 s46, 2
	s_cbranch_scc1 .LBB133_179
; %bb.159:
	s_and_b32 s50, s51, 28
	s_mov_b32 s52, 0
	v_mov_b32_e32 v0, 0
	s_mov_b64 s[42:43], s[20:21]
	s_mov_b64 s[44:45], s[36:37]
	v_mov_b32_e32 v1, v7
.LBB133_160:                            ; =>This Inner Loop Header: Depth=1
	s_load_dwordx8 s[0:7], s[42:43], 0x4
	s_load_dwordx4 s[12:15], s[42:43], 0x24
	s_load_dwordx4 s[16:19], s[44:45], 0x0
	s_add_u32 s42, s42, 48
	s_addc_u32 s43, s43, 0
	s_waitcnt lgkmcnt(0)
	v_mul_hi_u32 v2, s1, v1
	s_add_i32 s52, s52, 4
	s_add_u32 s44, s44, 16
	s_addc_u32 s45, s45, 0
	v_add_u32_e32 v2, v1, v2
	v_lshrrev_b32_e32 v2, s2, v2
	v_mul_lo_u32 v3, v2, s0
	v_mul_hi_u32 v4, s4, v2
	s_cmp_eq_u32 s50, s52
	v_sub_u32_e32 v1, v1, v3
	v_add_u32_e32 v3, v2, v4
	v_lshrrev_b32_e32 v3, s5, v3
	v_mul_lo_u32 v4, v1, s16
	v_mul_hi_u32 v1, s7, v3
	v_mul_lo_u32 v6, v3, s3
	v_add_u32_e32 v1, v3, v1
	v_lshrrev_b32_e32 v5, s12, v1
	v_mul_hi_u32 v1, s14, v5
	v_sub_u32_e32 v2, v2, v6
	v_mul_lo_u32 v6, v5, s6
	v_mul_lo_u32 v2, v2, s17
	v_add_u32_e32 v1, v5, v1
	v_lshrrev_b32_e32 v1, s15, v1
	v_mul_lo_u32 v8, v1, s13
	v_sub_u32_e32 v3, v3, v6
	v_mul_lo_u32 v3, v3, s18
	v_add3_u32 v0, v4, v0, v2
	v_sub_u32_e32 v5, v5, v8
	v_mul_lo_u32 v5, v5, s19
	v_add3_u32 v0, v3, v0, v5
	s_cbranch_scc0 .LBB133_160
	s_branch .LBB133_180
.LBB133_161:
                                        ; implicit-def: $vgpr0
	s_branch .LBB133_184
.LBB133_162:
	v_mov_b32_e32 v0, 0
	s_branch .LBB133_183
.LBB133_163:
	v_mov_b32_e32 v0, 0
	s_mov_b32 s50, 0
	v_mov_b32_e32 v1, v7
.LBB133_164:
	s_and_b32 s4, s51, 3
	s_cmp_eq_u32 s4, 0
	s_cbranch_scc1 .LBB133_167
; %bb.165:
	s_lshl_b32 s0, s50, 2
	s_add_u32 s0, s20, s0
	s_addc_u32 s1, s21, 0
	s_add_u32 s0, s0, 0xc4
	s_addc_u32 s1, s1, 0
	s_mul_i32 s2, s50, 12
	s_add_u32 s2, s20, s2
	s_addc_u32 s3, s21, 0
.LBB133_166:                            ; =>This Inner Loop Header: Depth=1
	s_load_dwordx2 s[6:7], s[2:3], 0x4
	s_load_dword s5, s[2:3], 0xc
	s_add_u32 s2, s2, 12
	s_addc_u32 s3, s3, 0
	s_waitcnt lgkmcnt(0)
	v_mul_hi_u32 v2, s7, v1
	s_load_dword s7, s[0:1], 0x0
	s_add_u32 s0, s0, 4
	s_addc_u32 s1, s1, 0
	v_add_u32_e32 v2, v1, v2
	v_lshrrev_b32_e32 v2, s5, v2
	v_mul_lo_u32 v3, v2, s6
	s_add_i32 s4, s4, -1
	s_cmp_lg_u32 s4, 0
	v_sub_u32_e32 v1, v1, v3
	s_waitcnt lgkmcnt(0)
	v_mad_u64_u32 v[0:1], s[6:7], v1, s7, v[0:1]
	v_mov_b32_e32 v1, v2
	s_cbranch_scc1 .LBB133_166
.LBB133_167:
	s_cbranch_execnz .LBB133_170
.LBB133_168:
	s_waitcnt lgkmcnt(0)
	v_mul_hi_u32 v0, s9, v7
	s_andn2_b64 vcc, exec, s[34:35]
	v_add_u32_e32 v0, v7, v0
	v_lshrrev_b32_e32 v1, s10, v0
	v_mul_lo_u32 v0, v1, s8
	v_sub_u32_e32 v0, v7, v0
	v_mul_lo_u32 v0, v0, s28
	s_cbranch_vccnz .LBB133_170
; %bb.169:
	v_mul_hi_u32 v2, s30, v1
	v_add_u32_e32 v2, v1, v2
	v_lshrrev_b32_e32 v2, s31, v2
	v_mul_lo_u32 v2, v2, s11
	v_sub_u32_e32 v1, v1, v2
	v_mad_u64_u32 v[0:1], s[0:1], v1, s29, v[0:1]
.LBB133_170:
	s_waitcnt lgkmcnt(0)
	v_mov_b32_e32 v1, s47
	v_add_u32_e32 v7, 0x80, v7
	global_store_byte v0, v1, s[26:27]
	s_or_b64 exec, exec, s[40:41]
	v_cmp_gt_i32_e32 vcc, s48, v7
	s_and_saveexec_b64 s[40:41], vcc
	s_cbranch_execnz .LBB133_156
.LBB133_171:
	s_or_b64 exec, exec, s[40:41]
	v_cmp_gt_i32_e32 vcc, s48, v7
	s_and_saveexec_b64 s[40:41], vcc
	s_cbranch_execz .LBB133_187
.LBB133_172:
	s_andn2_b64 vcc, exec, s[22:23]
	s_cbranch_vccnz .LBB133_177
; %bb.173:
	s_andn2_b64 vcc, exec, s[38:39]
	s_cbranch_vccnz .LBB133_178
; %bb.174:
	s_add_i32 s51, s49, 1
	s_cmp_eq_u32 s46, 2
	s_cbranch_scc1 .LBB133_195
; %bb.175:
	s_and_b32 s50, s51, 28
	s_mov_b32 s52, 0
	v_mov_b32_e32 v0, 0
	s_mov_b64 s[42:43], s[20:21]
	s_mov_b64 s[44:45], s[36:37]
	v_mov_b32_e32 v1, v7
.LBB133_176:                            ; =>This Inner Loop Header: Depth=1
	s_load_dwordx8 s[0:7], s[42:43], 0x4
	s_load_dwordx4 s[12:15], s[42:43], 0x24
	s_load_dwordx4 s[16:19], s[44:45], 0x0
	s_add_u32 s42, s42, 48
	s_addc_u32 s43, s43, 0
	s_waitcnt lgkmcnt(0)
	v_mul_hi_u32 v2, s1, v1
	s_add_i32 s52, s52, 4
	s_add_u32 s44, s44, 16
	s_addc_u32 s45, s45, 0
	v_add_u32_e32 v2, v1, v2
	v_lshrrev_b32_e32 v2, s2, v2
	v_mul_lo_u32 v3, v2, s0
	v_mul_hi_u32 v4, s4, v2
	s_cmp_eq_u32 s50, s52
	v_sub_u32_e32 v1, v1, v3
	v_add_u32_e32 v3, v2, v4
	v_lshrrev_b32_e32 v3, s5, v3
	v_mul_lo_u32 v4, v1, s16
	v_mul_hi_u32 v1, s7, v3
	v_mul_lo_u32 v6, v3, s3
	v_add_u32_e32 v1, v3, v1
	v_lshrrev_b32_e32 v5, s12, v1
	v_mul_hi_u32 v1, s14, v5
	v_sub_u32_e32 v2, v2, v6
	v_mul_lo_u32 v6, v5, s6
	v_mul_lo_u32 v2, v2, s17
	v_add_u32_e32 v1, v5, v1
	v_lshrrev_b32_e32 v1, s15, v1
	v_mul_lo_u32 v8, v1, s13
	v_sub_u32_e32 v3, v3, v6
	v_mul_lo_u32 v3, v3, s18
	v_add3_u32 v0, v4, v0, v2
	v_sub_u32_e32 v5, v5, v8
	v_mul_lo_u32 v5, v5, s19
	v_add3_u32 v0, v3, v0, v5
	s_cbranch_scc0 .LBB133_176
	s_branch .LBB133_196
.LBB133_177:
                                        ; implicit-def: $vgpr0
	s_branch .LBB133_200
.LBB133_178:
	v_mov_b32_e32 v0, 0
	s_branch .LBB133_199
.LBB133_179:
	v_mov_b32_e32 v0, 0
	s_mov_b32 s50, 0
	v_mov_b32_e32 v1, v7
.LBB133_180:
	s_and_b32 s4, s51, 3
	s_cmp_eq_u32 s4, 0
	s_cbranch_scc1 .LBB133_183
; %bb.181:
	s_lshl_b32 s0, s50, 2
	s_add_u32 s0, s20, s0
	s_addc_u32 s1, s21, 0
	s_add_u32 s0, s0, 0xc4
	s_addc_u32 s1, s1, 0
	s_mul_i32 s2, s50, 12
	s_add_u32 s2, s20, s2
	s_addc_u32 s3, s21, 0
.LBB133_182:                            ; =>This Inner Loop Header: Depth=1
	s_load_dwordx2 s[6:7], s[2:3], 0x4
	s_load_dword s5, s[2:3], 0xc
	s_add_u32 s2, s2, 12
	s_addc_u32 s3, s3, 0
	s_waitcnt lgkmcnt(0)
	v_mul_hi_u32 v2, s7, v1
	s_load_dword s7, s[0:1], 0x0
	s_add_u32 s0, s0, 4
	s_addc_u32 s1, s1, 0
	v_add_u32_e32 v2, v1, v2
	v_lshrrev_b32_e32 v2, s5, v2
	v_mul_lo_u32 v3, v2, s6
	s_add_i32 s4, s4, -1
	s_cmp_lg_u32 s4, 0
	v_sub_u32_e32 v1, v1, v3
	s_waitcnt lgkmcnt(0)
	v_mad_u64_u32 v[0:1], s[6:7], v1, s7, v[0:1]
	v_mov_b32_e32 v1, v2
	s_cbranch_scc1 .LBB133_182
.LBB133_183:
	s_cbranch_execnz .LBB133_186
.LBB133_184:
	s_waitcnt lgkmcnt(0)
	v_mul_hi_u32 v0, s9, v7
	s_andn2_b64 vcc, exec, s[34:35]
	v_add_u32_e32 v0, v7, v0
	v_lshrrev_b32_e32 v1, s10, v0
	v_mul_lo_u32 v0, v1, s8
	v_sub_u32_e32 v0, v7, v0
	v_mul_lo_u32 v0, v0, s28
	s_cbranch_vccnz .LBB133_186
; %bb.185:
	v_mul_hi_u32 v2, s30, v1
	v_add_u32_e32 v2, v1, v2
	v_lshrrev_b32_e32 v2, s31, v2
	v_mul_lo_u32 v2, v2, s11
	v_sub_u32_e32 v1, v1, v2
	v_mad_u64_u32 v[0:1], s[0:1], v1, s29, v[0:1]
.LBB133_186:
	s_waitcnt lgkmcnt(0)
	v_mov_b32_e32 v1, s47
	v_add_u32_e32 v7, 0x80, v7
	global_store_byte v0, v1, s[26:27]
	s_or_b64 exec, exec, s[40:41]
	v_cmp_gt_i32_e32 vcc, s48, v7
	s_and_saveexec_b64 s[40:41], vcc
	s_cbranch_execnz .LBB133_172
.LBB133_187:
	s_or_b64 exec, exec, s[40:41]
	v_cmp_gt_i32_e32 vcc, s48, v7
	s_and_saveexec_b64 s[40:41], vcc
	s_cbranch_execz .LBB133_203
.LBB133_188:
	s_andn2_b64 vcc, exec, s[22:23]
	s_cbranch_vccnz .LBB133_193
; %bb.189:
	s_andn2_b64 vcc, exec, s[38:39]
	s_cbranch_vccnz .LBB133_194
; %bb.190:
	s_add_i32 s51, s49, 1
	s_cmp_eq_u32 s46, 2
	s_cbranch_scc1 .LBB133_211
; %bb.191:
	s_and_b32 s50, s51, 28
	s_mov_b32 s52, 0
	v_mov_b32_e32 v0, 0
	s_mov_b64 s[42:43], s[20:21]
	s_mov_b64 s[44:45], s[36:37]
	v_mov_b32_e32 v1, v7
.LBB133_192:                            ; =>This Inner Loop Header: Depth=1
	s_load_dwordx8 s[0:7], s[42:43], 0x4
	s_load_dwordx4 s[12:15], s[42:43], 0x24
	s_load_dwordx4 s[16:19], s[44:45], 0x0
	s_add_u32 s42, s42, 48
	s_addc_u32 s43, s43, 0
	s_waitcnt lgkmcnt(0)
	v_mul_hi_u32 v2, s1, v1
	s_add_i32 s52, s52, 4
	s_add_u32 s44, s44, 16
	s_addc_u32 s45, s45, 0
	v_add_u32_e32 v2, v1, v2
	v_lshrrev_b32_e32 v2, s2, v2
	v_mul_lo_u32 v3, v2, s0
	v_mul_hi_u32 v4, s4, v2
	s_cmp_eq_u32 s50, s52
	v_sub_u32_e32 v1, v1, v3
	v_add_u32_e32 v3, v2, v4
	v_lshrrev_b32_e32 v3, s5, v3
	v_mul_lo_u32 v4, v1, s16
	v_mul_hi_u32 v1, s7, v3
	v_mul_lo_u32 v6, v3, s3
	v_add_u32_e32 v1, v3, v1
	v_lshrrev_b32_e32 v5, s12, v1
	v_mul_hi_u32 v1, s14, v5
	v_sub_u32_e32 v2, v2, v6
	v_mul_lo_u32 v6, v5, s6
	v_mul_lo_u32 v2, v2, s17
	v_add_u32_e32 v1, v5, v1
	v_lshrrev_b32_e32 v1, s15, v1
	v_mul_lo_u32 v8, v1, s13
	v_sub_u32_e32 v3, v3, v6
	v_mul_lo_u32 v3, v3, s18
	v_add3_u32 v0, v4, v0, v2
	v_sub_u32_e32 v5, v5, v8
	v_mul_lo_u32 v5, v5, s19
	v_add3_u32 v0, v3, v0, v5
	s_cbranch_scc0 .LBB133_192
	s_branch .LBB133_212
.LBB133_193:
                                        ; implicit-def: $vgpr0
	s_branch .LBB133_216
.LBB133_194:
	v_mov_b32_e32 v0, 0
	s_branch .LBB133_215
.LBB133_195:
	v_mov_b32_e32 v0, 0
	s_mov_b32 s50, 0
	v_mov_b32_e32 v1, v7
.LBB133_196:
	s_and_b32 s4, s51, 3
	s_cmp_eq_u32 s4, 0
	s_cbranch_scc1 .LBB133_199
; %bb.197:
	s_lshl_b32 s0, s50, 2
	s_add_u32 s0, s20, s0
	s_addc_u32 s1, s21, 0
	s_add_u32 s0, s0, 0xc4
	s_addc_u32 s1, s1, 0
	s_mul_i32 s2, s50, 12
	s_add_u32 s2, s20, s2
	s_addc_u32 s3, s21, 0
.LBB133_198:                            ; =>This Inner Loop Header: Depth=1
	s_load_dwordx2 s[6:7], s[2:3], 0x4
	s_load_dword s5, s[2:3], 0xc
	s_add_u32 s2, s2, 12
	s_addc_u32 s3, s3, 0
	s_waitcnt lgkmcnt(0)
	v_mul_hi_u32 v2, s7, v1
	s_load_dword s7, s[0:1], 0x0
	s_add_u32 s0, s0, 4
	s_addc_u32 s1, s1, 0
	v_add_u32_e32 v2, v1, v2
	v_lshrrev_b32_e32 v2, s5, v2
	v_mul_lo_u32 v3, v2, s6
	s_add_i32 s4, s4, -1
	s_cmp_lg_u32 s4, 0
	v_sub_u32_e32 v1, v1, v3
	s_waitcnt lgkmcnt(0)
	v_mad_u64_u32 v[0:1], s[6:7], v1, s7, v[0:1]
	v_mov_b32_e32 v1, v2
	s_cbranch_scc1 .LBB133_198
.LBB133_199:
	s_cbranch_execnz .LBB133_202
.LBB133_200:
	s_waitcnt lgkmcnt(0)
	v_mul_hi_u32 v0, s9, v7
	s_andn2_b64 vcc, exec, s[34:35]
	v_add_u32_e32 v0, v7, v0
	v_lshrrev_b32_e32 v1, s10, v0
	v_mul_lo_u32 v0, v1, s8
	v_sub_u32_e32 v0, v7, v0
	v_mul_lo_u32 v0, v0, s28
	s_cbranch_vccnz .LBB133_202
; %bb.201:
	v_mul_hi_u32 v2, s30, v1
	v_add_u32_e32 v2, v1, v2
	v_lshrrev_b32_e32 v2, s31, v2
	v_mul_lo_u32 v2, v2, s11
	v_sub_u32_e32 v1, v1, v2
	v_mad_u64_u32 v[0:1], s[0:1], v1, s29, v[0:1]
.LBB133_202:
	s_waitcnt lgkmcnt(0)
	v_mov_b32_e32 v1, s47
	v_add_u32_e32 v7, 0x80, v7
	global_store_byte v0, v1, s[26:27]
	s_or_b64 exec, exec, s[40:41]
	v_cmp_gt_i32_e32 vcc, s48, v7
	s_and_saveexec_b64 s[40:41], vcc
	s_cbranch_execnz .LBB133_188
.LBB133_203:
	s_or_b64 exec, exec, s[40:41]
	v_cmp_gt_i32_e32 vcc, s48, v7
	s_and_saveexec_b64 s[40:41], vcc
	s_cbranch_execz .LBB133_219
.LBB133_204:
	s_andn2_b64 vcc, exec, s[22:23]
	s_cbranch_vccnz .LBB133_209
; %bb.205:
	s_andn2_b64 vcc, exec, s[38:39]
	s_cbranch_vccnz .LBB133_210
; %bb.206:
	s_add_i32 s51, s49, 1
	s_cmp_eq_u32 s46, 2
	s_cbranch_scc1 .LBB133_222
; %bb.207:
	s_and_b32 s50, s51, 28
	s_mov_b32 s52, 0
	v_mov_b32_e32 v0, 0
	s_mov_b64 s[42:43], s[20:21]
	s_mov_b64 s[44:45], s[36:37]
	v_mov_b32_e32 v1, v7
.LBB133_208:                            ; =>This Inner Loop Header: Depth=1
	s_load_dwordx8 s[0:7], s[42:43], 0x4
	s_load_dwordx4 s[12:15], s[42:43], 0x24
	s_load_dwordx4 s[16:19], s[44:45], 0x0
	s_add_u32 s42, s42, 48
	s_addc_u32 s43, s43, 0
	s_waitcnt lgkmcnt(0)
	v_mul_hi_u32 v2, s1, v1
	s_add_i32 s52, s52, 4
	s_add_u32 s44, s44, 16
	s_addc_u32 s45, s45, 0
	v_add_u32_e32 v2, v1, v2
	v_lshrrev_b32_e32 v2, s2, v2
	v_mul_lo_u32 v3, v2, s0
	v_mul_hi_u32 v4, s4, v2
	s_cmp_eq_u32 s50, s52
	v_sub_u32_e32 v1, v1, v3
	v_add_u32_e32 v3, v2, v4
	v_lshrrev_b32_e32 v3, s5, v3
	v_mul_lo_u32 v4, v1, s16
	v_mul_hi_u32 v1, s7, v3
	v_mul_lo_u32 v6, v3, s3
	v_add_u32_e32 v1, v3, v1
	v_lshrrev_b32_e32 v5, s12, v1
	v_mul_hi_u32 v1, s14, v5
	v_sub_u32_e32 v2, v2, v6
	v_mul_lo_u32 v6, v5, s6
	v_mul_lo_u32 v2, v2, s17
	v_add_u32_e32 v1, v5, v1
	v_lshrrev_b32_e32 v1, s15, v1
	v_mul_lo_u32 v8, v1, s13
	v_sub_u32_e32 v3, v3, v6
	v_mul_lo_u32 v3, v3, s18
	v_add3_u32 v0, v4, v0, v2
	v_sub_u32_e32 v5, v5, v8
	v_mul_lo_u32 v5, v5, s19
	v_add3_u32 v0, v3, v0, v5
	s_cbranch_scc0 .LBB133_208
	s_branch .LBB133_223
.LBB133_209:
                                        ; implicit-def: $vgpr0
	s_branch .LBB133_227
.LBB133_210:
	v_mov_b32_e32 v0, 0
	s_branch .LBB133_226
.LBB133_211:
	v_mov_b32_e32 v0, 0
	s_mov_b32 s50, 0
	v_mov_b32_e32 v1, v7
.LBB133_212:
	s_and_b32 s4, s51, 3
	s_cmp_eq_u32 s4, 0
	s_cbranch_scc1 .LBB133_215
; %bb.213:
	s_lshl_b32 s0, s50, 2
	s_add_u32 s0, s20, s0
	s_addc_u32 s1, s21, 0
	s_add_u32 s0, s0, 0xc4
	s_addc_u32 s1, s1, 0
	s_mul_i32 s2, s50, 12
	s_add_u32 s2, s20, s2
	s_addc_u32 s3, s21, 0
.LBB133_214:                            ; =>This Inner Loop Header: Depth=1
	s_load_dwordx2 s[6:7], s[2:3], 0x4
	s_load_dword s5, s[2:3], 0xc
	s_add_u32 s2, s2, 12
	s_addc_u32 s3, s3, 0
	s_waitcnt lgkmcnt(0)
	v_mul_hi_u32 v2, s7, v1
	s_load_dword s7, s[0:1], 0x0
	s_add_u32 s0, s0, 4
	s_addc_u32 s1, s1, 0
	v_add_u32_e32 v2, v1, v2
	v_lshrrev_b32_e32 v2, s5, v2
	v_mul_lo_u32 v3, v2, s6
	s_add_i32 s4, s4, -1
	s_cmp_lg_u32 s4, 0
	v_sub_u32_e32 v1, v1, v3
	s_waitcnt lgkmcnt(0)
	v_mad_u64_u32 v[0:1], s[6:7], v1, s7, v[0:1]
	v_mov_b32_e32 v1, v2
	s_cbranch_scc1 .LBB133_214
.LBB133_215:
	s_cbranch_execnz .LBB133_218
.LBB133_216:
	s_waitcnt lgkmcnt(0)
	v_mul_hi_u32 v0, s9, v7
	s_andn2_b64 vcc, exec, s[34:35]
	v_add_u32_e32 v0, v7, v0
	v_lshrrev_b32_e32 v1, s10, v0
	v_mul_lo_u32 v0, v1, s8
	v_sub_u32_e32 v0, v7, v0
	v_mul_lo_u32 v0, v0, s28
	s_cbranch_vccnz .LBB133_218
; %bb.217:
	v_mul_hi_u32 v2, s30, v1
	v_add_u32_e32 v2, v1, v2
	v_lshrrev_b32_e32 v2, s31, v2
	v_mul_lo_u32 v2, v2, s11
	v_sub_u32_e32 v1, v1, v2
	v_mad_u64_u32 v[0:1], s[0:1], v1, s29, v[0:1]
.LBB133_218:
	s_waitcnt lgkmcnt(0)
	v_mov_b32_e32 v1, s47
	v_add_u32_e32 v7, 0x80, v7
	global_store_byte v0, v1, s[26:27]
	s_or_b64 exec, exec, s[40:41]
	v_cmp_gt_i32_e32 vcc, s48, v7
	s_and_saveexec_b64 s[40:41], vcc
	s_cbranch_execnz .LBB133_204
.LBB133_219:
	s_or_b64 exec, exec, s[40:41]
	v_cmp_gt_i32_e32 vcc, s48, v7
	s_and_saveexec_b64 s[40:41], vcc
	s_cbranch_execnz .LBB133_230
.LBB133_220:
	s_or_b64 exec, exec, s[40:41]
                                        ; implicit-def: $vgpr9
                                        ; implicit-def: $vgpr7
	s_andn2_saveexec_b64 s[0:1], s[24:25]
	s_cbranch_execnz .LBB133_8
.LBB133_221:
	s_endpgm
.LBB133_222:
	v_mov_b32_e32 v0, 0
	s_mov_b32 s50, 0
	v_mov_b32_e32 v1, v7
.LBB133_223:
	s_and_b32 s4, s51, 3
	s_cmp_eq_u32 s4, 0
	s_cbranch_scc1 .LBB133_226
; %bb.224:
	s_lshl_b32 s0, s50, 2
	s_add_u32 s0, s20, s0
	s_addc_u32 s1, s21, 0
	s_add_u32 s0, s0, 0xc4
	s_addc_u32 s1, s1, 0
	s_mul_i32 s2, s50, 12
	s_add_u32 s2, s20, s2
	s_addc_u32 s3, s21, 0
.LBB133_225:                            ; =>This Inner Loop Header: Depth=1
	s_load_dwordx2 s[6:7], s[2:3], 0x4
	s_load_dword s5, s[2:3], 0xc
	s_add_u32 s2, s2, 12
	s_addc_u32 s3, s3, 0
	s_waitcnt lgkmcnt(0)
	v_mul_hi_u32 v2, s7, v1
	s_load_dword s7, s[0:1], 0x0
	s_add_u32 s0, s0, 4
	s_addc_u32 s1, s1, 0
	v_add_u32_e32 v2, v1, v2
	v_lshrrev_b32_e32 v2, s5, v2
	v_mul_lo_u32 v3, v2, s6
	s_add_i32 s4, s4, -1
	s_cmp_lg_u32 s4, 0
	v_sub_u32_e32 v1, v1, v3
	s_waitcnt lgkmcnt(0)
	v_mad_u64_u32 v[0:1], s[6:7], v1, s7, v[0:1]
	v_mov_b32_e32 v1, v2
	s_cbranch_scc1 .LBB133_225
.LBB133_226:
	s_cbranch_execnz .LBB133_229
.LBB133_227:
	s_waitcnt lgkmcnt(0)
	v_mul_hi_u32 v0, s9, v7
	s_andn2_b64 vcc, exec, s[34:35]
	v_add_u32_e32 v0, v7, v0
	v_lshrrev_b32_e32 v1, s10, v0
	v_mul_lo_u32 v0, v1, s8
	v_sub_u32_e32 v0, v7, v0
	v_mul_lo_u32 v0, v0, s28
	s_cbranch_vccnz .LBB133_229
; %bb.228:
	v_mul_hi_u32 v2, s30, v1
	v_add_u32_e32 v2, v1, v2
	v_lshrrev_b32_e32 v2, s31, v2
	v_mul_lo_u32 v2, v2, s11
	v_sub_u32_e32 v1, v1, v2
	v_mad_u64_u32 v[0:1], s[0:1], v1, s29, v[0:1]
.LBB133_229:
	s_waitcnt lgkmcnt(0)
	v_mov_b32_e32 v1, s47
	v_add_u32_e32 v7, 0x80, v7
	global_store_byte v0, v1, s[26:27]
	s_or_b64 exec, exec, s[40:41]
	v_cmp_gt_i32_e32 vcc, s48, v7
	s_and_saveexec_b64 s[40:41], vcc
	s_cbranch_execz .LBB133_220
.LBB133_230:
	s_andn2_b64 vcc, exec, s[22:23]
	s_cbranch_vccnz .LBB133_235
; %bb.231:
	s_andn2_b64 vcc, exec, s[38:39]
	s_cbranch_vccnz .LBB133_236
; %bb.232:
	s_add_i32 s49, s49, 1
	s_cmp_eq_u32 s46, 2
	s_cbranch_scc1 .LBB133_237
; %bb.233:
	s_and_b32 s42, s49, 28
	s_mov_b32 s43, 0
	v_mov_b32_e32 v0, 0
	s_mov_b64 s[38:39], s[20:21]
	v_mov_b32_e32 v1, v7
.LBB133_234:                            ; =>This Inner Loop Header: Depth=1
	s_load_dwordx8 s[0:7], s[38:39], 0x4
	s_load_dwordx4 s[12:15], s[38:39], 0x24
	s_load_dwordx4 s[16:19], s[36:37], 0x0
	s_add_u32 s38, s38, 48
	s_addc_u32 s39, s39, 0
	s_waitcnt lgkmcnt(0)
	v_mul_hi_u32 v2, s1, v1
	s_add_i32 s43, s43, 4
	s_add_u32 s36, s36, 16
	s_addc_u32 s37, s37, 0
	v_add_u32_e32 v2, v1, v2
	v_lshrrev_b32_e32 v2, s2, v2
	v_mul_lo_u32 v3, v2, s0
	v_mul_hi_u32 v4, s4, v2
	s_cmp_eq_u32 s42, s43
	v_sub_u32_e32 v1, v1, v3
	v_add_u32_e32 v3, v2, v4
	v_lshrrev_b32_e32 v3, s5, v3
	v_mul_lo_u32 v4, v1, s16
	v_mul_hi_u32 v1, s7, v3
	v_mul_lo_u32 v6, v3, s3
	v_add_u32_e32 v1, v3, v1
	v_lshrrev_b32_e32 v5, s12, v1
	v_mul_hi_u32 v1, s14, v5
	v_sub_u32_e32 v2, v2, v6
	v_mul_lo_u32 v6, v5, s6
	v_mul_lo_u32 v2, v2, s17
	v_add_u32_e32 v1, v5, v1
	v_lshrrev_b32_e32 v1, s15, v1
	v_mul_lo_u32 v8, v1, s13
	v_sub_u32_e32 v3, v3, v6
	v_mul_lo_u32 v3, v3, s18
	v_add3_u32 v0, v4, v0, v2
	v_sub_u32_e32 v5, v5, v8
	v_mul_lo_u32 v5, v5, s19
	v_add3_u32 v0, v3, v0, v5
	s_cbranch_scc0 .LBB133_234
	s_branch .LBB133_238
.LBB133_235:
                                        ; implicit-def: $vgpr0
	s_branch .LBB133_242
.LBB133_236:
	v_mov_b32_e32 v0, 0
	s_branch .LBB133_241
.LBB133_237:
	v_mov_b32_e32 v0, 0
	s_mov_b32 s42, 0
	v_mov_b32_e32 v1, v7
.LBB133_238:
	s_and_b32 s4, s49, 3
	s_cmp_eq_u32 s4, 0
	s_cbranch_scc1 .LBB133_241
; %bb.239:
	s_lshl_b32 s0, s42, 2
	s_add_u32 s0, s20, s0
	s_addc_u32 s1, s21, 0
	s_add_u32 s0, s0, 0xc4
	s_addc_u32 s1, s1, 0
	s_mul_i32 s2, s42, 12
	s_add_u32 s2, s20, s2
	s_addc_u32 s3, s21, 0
.LBB133_240:                            ; =>This Inner Loop Header: Depth=1
	s_load_dwordx2 s[6:7], s[2:3], 0x4
	s_load_dword s5, s[2:3], 0xc
	s_add_u32 s2, s2, 12
	s_addc_u32 s3, s3, 0
	s_waitcnt lgkmcnt(0)
	v_mul_hi_u32 v2, s7, v1
	s_load_dword s7, s[0:1], 0x0
	s_add_u32 s0, s0, 4
	s_addc_u32 s1, s1, 0
	v_add_u32_e32 v2, v1, v2
	v_lshrrev_b32_e32 v2, s5, v2
	v_mul_lo_u32 v3, v2, s6
	s_add_i32 s4, s4, -1
	s_cmp_lg_u32 s4, 0
	v_sub_u32_e32 v1, v1, v3
	s_waitcnt lgkmcnt(0)
	v_mad_u64_u32 v[0:1], s[6:7], v1, s7, v[0:1]
	v_mov_b32_e32 v1, v2
	s_cbranch_scc1 .LBB133_240
.LBB133_241:
	s_cbranch_execnz .LBB133_244
.LBB133_242:
	s_waitcnt lgkmcnt(0)
	v_mul_hi_u32 v0, s9, v7
	s_andn2_b64 vcc, exec, s[34:35]
	v_add_u32_e32 v0, v7, v0
	v_lshrrev_b32_e32 v1, s10, v0
	v_mul_lo_u32 v0, v1, s8
	v_sub_u32_e32 v0, v7, v0
	v_mul_lo_u32 v0, v0, s28
	s_cbranch_vccnz .LBB133_244
; %bb.243:
	v_mul_hi_u32 v2, s30, v1
	v_add_u32_e32 v2, v1, v2
	v_lshrrev_b32_e32 v2, s31, v2
	v_mul_lo_u32 v2, v2, s11
	v_sub_u32_e32 v1, v1, v2
	v_mad_u64_u32 v[0:1], s[0:1], v1, s29, v[0:1]
.LBB133_244:
	s_waitcnt lgkmcnt(0)
	v_mov_b32_e32 v1, s47
	global_store_byte v0, v1, s[26:27]
	s_or_b64 exec, exec, s[40:41]
                                        ; implicit-def: $vgpr9
                                        ; implicit-def: $vgpr7
	s_andn2_saveexec_b64 s[0:1], s[24:25]
	s_cbranch_execz .LBB133_221
	s_branch .LBB133_8
	.section	.rodata,"a",@progbits
	.p2align	6, 0x0
	.amdhsa_kernel _ZN2at6native32elementwise_kernel_manual_unrollILi128ELi8EZNS0_22gpu_kernel_impl_nocastINS0_11FillFunctorIN3c1013Float8_e4m3fnEEEEEvRNS_18TensorIteratorBaseERKT_EUlibE_EEviT1_
		.amdhsa_group_segment_fixed_size 0
		.amdhsa_private_segment_fixed_size 0
		.amdhsa_kernarg_size 288
		.amdhsa_user_sgpr_count 6
		.amdhsa_user_sgpr_private_segment_buffer 1
		.amdhsa_user_sgpr_dispatch_ptr 0
		.amdhsa_user_sgpr_queue_ptr 0
		.amdhsa_user_sgpr_kernarg_segment_ptr 1
		.amdhsa_user_sgpr_dispatch_id 0
		.amdhsa_user_sgpr_flat_scratch_init 0
		.amdhsa_user_sgpr_private_segment_size 0
		.amdhsa_uses_dynamic_stack 0
		.amdhsa_system_sgpr_private_segment_wavefront_offset 0
		.amdhsa_system_sgpr_workgroup_id_x 1
		.amdhsa_system_sgpr_workgroup_id_y 0
		.amdhsa_system_sgpr_workgroup_id_z 0
		.amdhsa_system_sgpr_workgroup_info 0
		.amdhsa_system_vgpr_workitem_id 0
		.amdhsa_next_free_vgpr 16
		.amdhsa_next_free_sgpr 53
		.amdhsa_reserve_vcc 1
		.amdhsa_reserve_flat_scratch 0
		.amdhsa_float_round_mode_32 0
		.amdhsa_float_round_mode_16_64 0
		.amdhsa_float_denorm_mode_32 3
		.amdhsa_float_denorm_mode_16_64 3
		.amdhsa_dx10_clamp 1
		.amdhsa_ieee_mode 1
		.amdhsa_fp16_overflow 0
		.amdhsa_exception_fp_ieee_invalid_op 0
		.amdhsa_exception_fp_denorm_src 0
		.amdhsa_exception_fp_ieee_div_zero 0
		.amdhsa_exception_fp_ieee_overflow 0
		.amdhsa_exception_fp_ieee_underflow 0
		.amdhsa_exception_fp_ieee_inexact 0
		.amdhsa_exception_int_div_zero 0
	.end_amdhsa_kernel
	.section	.text._ZN2at6native32elementwise_kernel_manual_unrollILi128ELi8EZNS0_22gpu_kernel_impl_nocastINS0_11FillFunctorIN3c1013Float8_e4m3fnEEEEEvRNS_18TensorIteratorBaseERKT_EUlibE_EEviT1_,"axG",@progbits,_ZN2at6native32elementwise_kernel_manual_unrollILi128ELi8EZNS0_22gpu_kernel_impl_nocastINS0_11FillFunctorIN3c1013Float8_e4m3fnEEEEEvRNS_18TensorIteratorBaseERKT_EUlibE_EEviT1_,comdat
.Lfunc_end133:
	.size	_ZN2at6native32elementwise_kernel_manual_unrollILi128ELi8EZNS0_22gpu_kernel_impl_nocastINS0_11FillFunctorIN3c1013Float8_e4m3fnEEEEEvRNS_18TensorIteratorBaseERKT_EUlibE_EEviT1_, .Lfunc_end133-_ZN2at6native32elementwise_kernel_manual_unrollILi128ELi8EZNS0_22gpu_kernel_impl_nocastINS0_11FillFunctorIN3c1013Float8_e4m3fnEEEEEvRNS_18TensorIteratorBaseERKT_EUlibE_EEviT1_
                                        ; -- End function
	.set _ZN2at6native32elementwise_kernel_manual_unrollILi128ELi8EZNS0_22gpu_kernel_impl_nocastINS0_11FillFunctorIN3c1013Float8_e4m3fnEEEEEvRNS_18TensorIteratorBaseERKT_EUlibE_EEviT1_.num_vgpr, 16
	.set _ZN2at6native32elementwise_kernel_manual_unrollILi128ELi8EZNS0_22gpu_kernel_impl_nocastINS0_11FillFunctorIN3c1013Float8_e4m3fnEEEEEvRNS_18TensorIteratorBaseERKT_EUlibE_EEviT1_.num_agpr, 0
	.set _ZN2at6native32elementwise_kernel_manual_unrollILi128ELi8EZNS0_22gpu_kernel_impl_nocastINS0_11FillFunctorIN3c1013Float8_e4m3fnEEEEEvRNS_18TensorIteratorBaseERKT_EUlibE_EEviT1_.numbered_sgpr, 53
	.set _ZN2at6native32elementwise_kernel_manual_unrollILi128ELi8EZNS0_22gpu_kernel_impl_nocastINS0_11FillFunctorIN3c1013Float8_e4m3fnEEEEEvRNS_18TensorIteratorBaseERKT_EUlibE_EEviT1_.num_named_barrier, 0
	.set _ZN2at6native32elementwise_kernel_manual_unrollILi128ELi8EZNS0_22gpu_kernel_impl_nocastINS0_11FillFunctorIN3c1013Float8_e4m3fnEEEEEvRNS_18TensorIteratorBaseERKT_EUlibE_EEviT1_.private_seg_size, 0
	.set _ZN2at6native32elementwise_kernel_manual_unrollILi128ELi8EZNS0_22gpu_kernel_impl_nocastINS0_11FillFunctorIN3c1013Float8_e4m3fnEEEEEvRNS_18TensorIteratorBaseERKT_EUlibE_EEviT1_.uses_vcc, 1
	.set _ZN2at6native32elementwise_kernel_manual_unrollILi128ELi8EZNS0_22gpu_kernel_impl_nocastINS0_11FillFunctorIN3c1013Float8_e4m3fnEEEEEvRNS_18TensorIteratorBaseERKT_EUlibE_EEviT1_.uses_flat_scratch, 0
	.set _ZN2at6native32elementwise_kernel_manual_unrollILi128ELi8EZNS0_22gpu_kernel_impl_nocastINS0_11FillFunctorIN3c1013Float8_e4m3fnEEEEEvRNS_18TensorIteratorBaseERKT_EUlibE_EEviT1_.has_dyn_sized_stack, 0
	.set _ZN2at6native32elementwise_kernel_manual_unrollILi128ELi8EZNS0_22gpu_kernel_impl_nocastINS0_11FillFunctorIN3c1013Float8_e4m3fnEEEEEvRNS_18TensorIteratorBaseERKT_EUlibE_EEviT1_.has_recursion, 0
	.set _ZN2at6native32elementwise_kernel_manual_unrollILi128ELi8EZNS0_22gpu_kernel_impl_nocastINS0_11FillFunctorIN3c1013Float8_e4m3fnEEEEEvRNS_18TensorIteratorBaseERKT_EUlibE_EEviT1_.has_indirect_call, 0
	.section	.AMDGPU.csdata,"",@progbits
; Kernel info:
; codeLenInByte = 9820
; TotalNumSgprs: 57
; NumVgprs: 16
; ScratchSize: 0
; MemoryBound: 0
; FloatMode: 240
; IeeeMode: 1
; LDSByteSize: 0 bytes/workgroup (compile time only)
; SGPRBlocks: 7
; VGPRBlocks: 3
; NumSGPRsForWavesPerEU: 57
; NumVGPRsForWavesPerEU: 16
; Occupancy: 10
; WaveLimiterHint : 1
; COMPUTE_PGM_RSRC2:SCRATCH_EN: 0
; COMPUTE_PGM_RSRC2:USER_SGPR: 6
; COMPUTE_PGM_RSRC2:TRAP_HANDLER: 0
; COMPUTE_PGM_RSRC2:TGID_X_EN: 1
; COMPUTE_PGM_RSRC2:TGID_Y_EN: 0
; COMPUTE_PGM_RSRC2:TGID_Z_EN: 0
; COMPUTE_PGM_RSRC2:TIDIG_COMP_CNT: 0
	.section	.text._ZN2at6native32elementwise_kernel_manual_unrollILi128ELi4EZNS0_15gpu_kernel_implINS0_11FillFunctorIN3c1013Float8_e4m3fnEEEEEvRNS_18TensorIteratorBaseERKT_EUlibE_EEviT1_,"axG",@progbits,_ZN2at6native32elementwise_kernel_manual_unrollILi128ELi4EZNS0_15gpu_kernel_implINS0_11FillFunctorIN3c1013Float8_e4m3fnEEEEEvRNS_18TensorIteratorBaseERKT_EUlibE_EEviT1_,comdat
	.protected	_ZN2at6native32elementwise_kernel_manual_unrollILi128ELi4EZNS0_15gpu_kernel_implINS0_11FillFunctorIN3c1013Float8_e4m3fnEEEEEvRNS_18TensorIteratorBaseERKT_EUlibE_EEviT1_ ; -- Begin function _ZN2at6native32elementwise_kernel_manual_unrollILi128ELi4EZNS0_15gpu_kernel_implINS0_11FillFunctorIN3c1013Float8_e4m3fnEEEEEvRNS_18TensorIteratorBaseERKT_EUlibE_EEviT1_
	.globl	_ZN2at6native32elementwise_kernel_manual_unrollILi128ELi4EZNS0_15gpu_kernel_implINS0_11FillFunctorIN3c1013Float8_e4m3fnEEEEEvRNS_18TensorIteratorBaseERKT_EUlibE_EEviT1_
	.p2align	8
	.type	_ZN2at6native32elementwise_kernel_manual_unrollILi128ELi4EZNS0_15gpu_kernel_implINS0_11FillFunctorIN3c1013Float8_e4m3fnEEEEEvRNS_18TensorIteratorBaseERKT_EUlibE_EEviT1_,@function
_ZN2at6native32elementwise_kernel_manual_unrollILi128ELi4EZNS0_15gpu_kernel_implINS0_11FillFunctorIN3c1013Float8_e4m3fnEEEEEvRNS_18TensorIteratorBaseERKT_EUlibE_EEviT1_: ; @_ZN2at6native32elementwise_kernel_manual_unrollILi128ELi4EZNS0_15gpu_kernel_implINS0_11FillFunctorIN3c1013Float8_e4m3fnEEEEEvRNS_18TensorIteratorBaseERKT_EUlibE_EEviT1_
; %bb.0:
	s_load_dwordx4 s[8:11], s[4:5], 0x8
	s_load_dword s44, s[4:5], 0x0
	v_lshl_or_b32 v17, s6, 9, v0
	v_or_b32_e32 v0, 0x180, v17
	s_mov_b64 s[6:7], 0
	s_waitcnt lgkmcnt(0)
	s_bfe_u32 s33, s11, 0x80008
	v_cmp_le_i32_e32 vcc, s44, v0
	s_mov_b64 s[0:1], 0
	s_and_saveexec_b64 s[2:3], vcc
	s_xor_b64 s[12:13], exec, s[2:3]
	s_cbranch_execz .LBB134_404
; %bb.1:
	s_lshl_b32 s0, s11, 24
	s_and_b32 s1, s0, 0x80000000
	s_and_b32 s0, s0, 0x7f000000
	s_flbit_i32_b32 s2, s0
	s_min_u32 s2, s2, 32
	v_sub_u32_e64 v0, s2, 4 clamp
	v_readfirstlane_b32 s3, v0
	s_lshl_b32 s4, s0, s3
	s_add_i32 s2, s0, 0x1000000
	s_lshr_b32 s4, s4, 4
	s_lshl_b32 s3, s3, 23
	s_ashr_i32 s2, s2, 8
	s_sub_i32 s3, s4, s3
	s_and_b32 s2, s2, 0x7f800000
	s_add_i32 s3, s3, 0x3c000000
	s_or_b32 s2, s3, s2
	s_cmp_lg_u32 s0, 0
	s_cselect_b32 s26, s2, 0
	s_or_b32 s48, s26, s1
	s_lshr_b32 s14, s26, 23
	s_cmpk_eq_i32 s14, 0xff
	s_cselect_b64 s[4:5], -1, 0
	s_bitcmp1_b32 s26, 22
	s_cselect_b64 s[0:1], -1, 0
	s_and_b32 s2, s26, 0x3fffff
	s_or_b32 s2, s14, s2
	s_cmp_lg_u32 s2, 0
	s_cselect_b64 s[2:3], -1, 0
	v_trunc_f32_e32 v2, s48
	s_and_b64 s[0:1], s[0:1], s[2:3]
	s_and_b32 s27, s48, 0x7fffffff
	v_mul_f32_e32 v0, 0x2f800000, v2
	s_cmp_lt_u32 s27, 0x43800000
	v_floor_f32_e32 v0, v0
	v_mov_b32_e32 v1, v2
	s_cselect_b64 s[22:23], -1, 0
	s_cmp_gt_u32 s27, 0x3bffffff
	v_fmac_f32_e32 v1, 0xcf800000, v0
	v_cvt_u32_f32_e32 v7, v0
	v_cndmask_b32_e64 v0, 0, 1, s[0:1]
	s_cselect_b64 s[2:3], -1, 0
	s_bfe_u32 s0, s26, 0x10014
	v_add_u32_e32 v16, s14, v0
	s_add_i32 s0, s48, s0
	v_mov_b32_e32 v0, 0x46000000
	s_add_i32 s0, s0, 0x487ffff
	v_add_f32_e64 v14, |s48|, v0
	s_lshr_b32 s55, s0, 20
	v_readfirstlane_b32 s0, v14
	s_and_b32 s0, s0, 0xff
	s_cmp_lg_u32 s0, 0
	s_cselect_b64 s[24:25], -1, 0
	s_lshr_b32 s0, s48, 24
	s_and_b32 s49, s0, 0x80
	s_cmp_gt_u32 s27, 0x477fffff
	s_cselect_b64 s[14:15], -1, 0
	s_cmp_lt_u32 s27, 0x47800000
	s_cselect_b64 s[18:19], -1, 0
	s_cmp_gt_u32 s27, 0x37ffffff
	s_cselect_b64 s[0:1], -1, 0
	s_bfe_u32 s16, s26, 0x10015
	s_add_i32 s30, s48, s16
	v_mov_b32_e32 v0, 0x42800000
	s_add_i32 s16, s30, 0x88fffff
	v_add_f32_e64 v13, |s48|, v0
	s_lshr_b32 s54, s16, 21
	v_readfirstlane_b32 s16, v13
	s_and_b32 s16, s16, 0xff
	s_cmp_lg_u32 s16, 0
	s_cselect_b64 s[20:21], -1, 0
	s_cmp_lt_u32 s27, 0x38800000
	s_mov_b32 s28, 0x2f800000
	s_cselect_b64 s[16:17], -1, 0
	s_add_i32 s30, s30, 0x80fffff
	s_lshr_b32 s51, s30, 21
	v_mul_f32_e64 v3, |v2|, s28
	s_mov_b32 s29, 0xcf800000
	s_cmp_gt_u32 s27, 0x7f800000
	s_movk_i32 s27, 0x7f
	v_floor_f32_e32 v3, v3
	s_cselect_b32 s53, s27, 0x7c
	s_bfe_u32 s26, s26, 0x10010
	v_fma_f32 v4, v3, s29, |v2|
	s_add_i32 s26, s48, s26
	v_cvt_u32_f32_e32 v4, v4
	s_addk_i32 s26, 0x7fff
	v_cvt_u32_f32_e32 v3, v3
	v_mov_b32_e32 v0, 0x43000000
	s_lshr_b32 s30, s26, 16
	v_cmp_o_f32_e64 s[26:27], s48, s48
	v_add_f32_e64 v0, |s48|, v0
	s_and_b64 s[26:27], s[26:27], exec
	v_ashrrev_i32_e32 v2, 31, v2
	v_cvt_u32_f32_e32 v6, v1
	v_cvt_u32_f32_e32 v15, s48
	v_readfirstlane_b32 s52, v0
	s_cselect_b32 s50, s30, 0x7fc0
	s_and_b32 s26, s11, 0x7f
	v_cvt_f64_f32_e32 v[0:1], s48
	v_cvt_f16_f32_e32 v11, s48
	v_xor_b32_e32 v4, v4, v2
	v_cvt_i32_f32_e32 v10, s48
	s_cmp_lg_u32 s26, 0
	v_xor_b32_e32 v3, v3, v2
	v_sub_co_u32_e32 v4, vcc, v4, v2
	s_cselect_b64 s[26:27], -1, 0
	v_subb_co_u32_e32 v5, vcc, v3, v2, vcc
	v_cndmask_b32_e64 v12, 0, 1, s[26:27]
	v_cmp_gt_i32_e32 vcc, s44, v17
	s_mov_b64 s[30:31], -1
	s_mov_b64 s[34:35], 0
	s_mov_b64 s[26:27], 0
	s_and_saveexec_b64 s[28:29], vcc
	s_cbranch_execz .LBB134_100
; %bb.2:
	v_mul_lo_u32 v2, v17, s10
	v_mov_b32_e32 v3, s9
	s_and_b32 s38, 0xffff, s33
	s_cmp_lt_i32 s38, 11
	v_ashrrev_i32_e32 v9, 31, v2
	v_add_co_u32_e32 v8, vcc, s8, v2
	v_addc_co_u32_e32 v9, vcc, v3, v9, vcc
	s_cbranch_scc1 .LBB134_9
; %bb.3:
	s_cmp_gt_i32 s38, 25
	s_cbranch_scc0 .LBB134_12
; %bb.4:
	s_cmp_gt_i32 s38, 28
	s_cbranch_scc0 .LBB134_13
	;; [unrolled: 3-line block ×4, first 2 shown]
; %bb.7:
	s_mov_b64 s[36:37], 0
	s_mov_b64 s[26:27], -1
	s_cmp_eq_u32 s38, 46
	s_mov_b64 s[30:31], 0
	s_cbranch_scc0 .LBB134_16
; %bb.8:
	v_mov_b32_e32 v2, s50
	global_store_dword v[8:9], v2, off
	s_mov_b64 s[30:31], -1
	s_mov_b64 s[26:27], 0
	s_branch .LBB134_16
.LBB134_9:
	s_mov_b64 s[30:31], 0
	s_cbranch_execnz .LBB134_60
.LBB134_10:
	s_andn2_b64 vcc, exec, s[30:31]
	s_cbranch_vccnz .LBB134_98
.LBB134_11:
	v_add_u32_e32 v17, 0x80, v17
	s_mov_b64 s[30:31], -1
	s_branch .LBB134_99
.LBB134_12:
	s_mov_b64 s[30:31], 0
	s_cbranch_execnz .LBB134_38
	s_branch .LBB134_59
.LBB134_13:
	s_mov_b64 s[36:37], -1
	s_mov_b64 s[30:31], 0
	s_branch .LBB134_24
.LBB134_14:
	s_mov_b64 s[36:37], -1
	s_mov_b64 s[30:31], 0
	s_branch .LBB134_20
.LBB134_15:
	s_mov_b64 s[36:37], -1
	s_mov_b64 s[30:31], 0
.LBB134_16:
	s_and_b64 vcc, exec, s[36:37]
	s_cbranch_vccz .LBB134_19
; %bb.17:
	s_cmp_eq_u32 s38, 44
	s_mov_b64 s[26:27], -1
	s_cbranch_scc0 .LBB134_19
; %bb.18:
	v_mov_b32_e32 v2, 0xffff
	v_cndmask_b32_e64 v2, v16, v2, s[4:5]
	global_store_byte v[8:9], v2, off
	s_mov_b64 s[30:31], -1
	s_mov_b64 s[26:27], 0
.LBB134_19:
	s_mov_b64 s[36:37], 0
.LBB134_20:
	s_and_b64 vcc, exec, s[36:37]
	s_cbranch_vccz .LBB134_23
; %bb.21:
	s_cmp_eq_u32 s38, 29
	s_mov_b64 s[26:27], -1
	s_cbranch_scc0 .LBB134_23
; %bb.22:
	global_store_dwordx2 v[8:9], v[6:7], off
	s_mov_b64 s[30:31], -1
	s_mov_b64 s[26:27], 0
.LBB134_23:
	s_mov_b64 s[36:37], 0
.LBB134_24:
	s_and_b64 vcc, exec, s[36:37]
	s_cbranch_vccz .LBB134_37
; %bb.25:
	s_cmp_lt_i32 s38, 27
	s_mov_b64 s[30:31], -1
	s_cbranch_scc1 .LBB134_31
; %bb.26:
	s_cmp_gt_i32 s38, 27
	s_cbranch_scc0 .LBB134_28
; %bb.27:
	s_mov_b64 s[30:31], 0
	global_store_dword v[8:9], v15, off
.LBB134_28:
	s_andn2_b64 vcc, exec, s[30:31]
	s_cbranch_vccnz .LBB134_30
; %bb.29:
	global_store_short v[8:9], v15, off
.LBB134_30:
	s_mov_b64 s[30:31], 0
.LBB134_31:
	s_andn2_b64 vcc, exec, s[30:31]
	s_cbranch_vccnz .LBB134_36
; %bb.32:
	s_andn2_b64 vcc, exec, s[22:23]
	v_mov_b32_e32 v2, 0x80
	s_cbranch_vccnz .LBB134_35
; %bb.33:
	s_or_b64 s[30:31], s[2:3], s[24:25]
	s_andn2_b64 vcc, exec, s[30:31]
	v_mov_b32_e32 v2, 0
	s_cbranch_vccnz .LBB134_35
; %bb.34:
	v_mov_b32_e32 v2, s55
	v_cndmask_b32_e64 v2, v14, v2, s[2:3]
	v_or_b32_e32 v2, s49, v2
.LBB134_35:
	global_store_byte v[8:9], v2, off
.LBB134_36:
	s_mov_b64 s[30:31], -1
.LBB134_37:
	s_branch .LBB134_59
.LBB134_38:
	s_cmp_gt_i32 s38, 22
	s_mov_b64 s[36:37], -1
	s_cbranch_scc0 .LBB134_51
; %bb.39:
	s_cmp_lt_i32 s38, 24
	s_mov_b64 s[30:31], -1
	s_cbranch_scc1 .LBB134_48
; %bb.40:
	s_cmp_gt_i32 s38, 24
	s_cbranch_scc0 .LBB134_45
; %bb.41:
	s_andn2_b64 vcc, exec, s[18:19]
	v_mov_b32_e32 v2, 0x80
	s_cbranch_vccnz .LBB134_44
; %bb.42:
	s_or_b64 s[30:31], s[0:1], s[20:21]
	s_andn2_b64 vcc, exec, s[30:31]
	v_mov_b32_e32 v2, 0
	s_cbranch_vccnz .LBB134_44
; %bb.43:
	v_mov_b32_e32 v2, s54
	v_cndmask_b32_e64 v2, v13, v2, s[0:1]
	v_or_b32_e32 v2, s49, v2
.LBB134_44:
	s_mov_b64 s[30:31], 0
	global_store_byte v[8:9], v2, off
.LBB134_45:
	s_and_b64 vcc, exec, s[30:31]
	s_cbranch_vccz .LBB134_47
; %bb.46:
	v_mov_b32_e32 v2, s11
	global_store_byte v[8:9], v2, off
.LBB134_47:
	s_mov_b64 s[30:31], 0
.LBB134_48:
	s_andn2_b64 vcc, exec, s[30:31]
	s_cbranch_vccnz .LBB134_50
; %bb.49:
	s_and_b64 s[30:31], s[16:17], exec
	s_cselect_b32 s36, s52, s51
	s_and_b64 s[30:31], s[14:15], exec
	s_cselect_b32 s30, s53, s36
	s_or_b32 s30, s30, s49
	v_mov_b32_e32 v2, s30
	global_store_byte v[8:9], v2, off
.LBB134_50:
	s_mov_b64 s[36:37], 0
	s_mov_b64 s[30:31], -1
.LBB134_51:
	s_andn2_b64 vcc, exec, s[36:37]
	s_cbranch_vccnz .LBB134_59
; %bb.52:
	s_cmp_gt_i32 s38, 14
	s_mov_b64 s[36:37], -1
	s_cbranch_scc0 .LBB134_56
; %bb.53:
	s_cmp_eq_u32 s38, 15
	s_mov_b64 s[26:27], -1
	s_cbranch_scc0 .LBB134_55
; %bb.54:
	v_mov_b32_e32 v2, s50
	global_store_short v[8:9], v2, off
	s_mov_b64 s[30:31], -1
	s_mov_b64 s[26:27], 0
.LBB134_55:
	s_mov_b64 s[36:37], 0
.LBB134_56:
	s_and_b64 vcc, exec, s[36:37]
	s_cbranch_vccz .LBB134_59
; %bb.57:
	s_cmp_eq_u32 s38, 11
	s_mov_b64 s[26:27], -1
	s_cbranch_scc0 .LBB134_59
; %bb.58:
	s_mov_b64 s[30:31], -1
	s_mov_b64 s[26:27], 0
	global_store_byte v[8:9], v12, off
.LBB134_59:
	s_branch .LBB134_10
.LBB134_60:
	s_cmp_lt_i32 s38, 5
	s_mov_b64 s[30:31], -1
	s_cbranch_scc1 .LBB134_81
; %bb.61:
	s_cmp_lt_i32 s38, 8
	s_cbranch_scc1 .LBB134_71
; %bb.62:
	s_cmp_lt_i32 s38, 9
	s_cbranch_scc1 .LBB134_68
; %bb.63:
	s_cmp_gt_i32 s38, 9
	s_cbranch_scc0 .LBB134_65
; %bb.64:
	v_mov_b32_e32 v2, 0
	v_mov_b32_e32 v3, v2
	global_store_dwordx4 v[8:9], v[0:3], off
	s_mov_b64 s[30:31], 0
.LBB134_65:
	s_andn2_b64 vcc, exec, s[30:31]
	s_cbranch_vccnz .LBB134_67
; %bb.66:
	v_mov_b32_e32 v2, s48
	v_mov_b32_e32 v3, 0
	global_store_dwordx2 v[8:9], v[2:3], off
.LBB134_67:
	s_mov_b64 s[30:31], 0
.LBB134_68:
	s_andn2_b64 vcc, exec, s[30:31]
	s_cbranch_vccnz .LBB134_70
; %bb.69:
	global_store_dword v[8:9], v11, off
.LBB134_70:
	s_mov_b64 s[30:31], 0
.LBB134_71:
	s_andn2_b64 vcc, exec, s[30:31]
	s_cbranch_vccnz .LBB134_80
; %bb.72:
	s_cmp_lt_i32 s38, 6
	s_mov_b64 s[30:31], -1
	s_cbranch_scc1 .LBB134_78
; %bb.73:
	s_cmp_gt_i32 s38, 6
	s_cbranch_scc0 .LBB134_75
; %bb.74:
	global_store_dwordx2 v[8:9], v[0:1], off
	s_mov_b64 s[30:31], 0
.LBB134_75:
	s_andn2_b64 vcc, exec, s[30:31]
	s_cbranch_vccnz .LBB134_77
; %bb.76:
	v_mov_b32_e32 v2, s48
	global_store_dword v[8:9], v2, off
.LBB134_77:
	s_mov_b64 s[30:31], 0
.LBB134_78:
	s_andn2_b64 vcc, exec, s[30:31]
	s_cbranch_vccnz .LBB134_80
; %bb.79:
	global_store_short v[8:9], v11, off
.LBB134_80:
	s_mov_b64 s[30:31], 0
.LBB134_81:
	s_andn2_b64 vcc, exec, s[30:31]
	s_cbranch_vccnz .LBB134_97
; %bb.82:
	s_cmp_lt_i32 s38, 2
	s_mov_b64 s[30:31], -1
	s_cbranch_scc1 .LBB134_92
; %bb.83:
	s_cmp_lt_i32 s38, 3
	s_cbranch_scc1 .LBB134_89
; %bb.84:
	s_cmp_gt_i32 s38, 3
	s_cbranch_scc0 .LBB134_86
; %bb.85:
	global_store_dwordx2 v[8:9], v[4:5], off
	s_mov_b64 s[30:31], 0
.LBB134_86:
	s_andn2_b64 vcc, exec, s[30:31]
	s_cbranch_vccnz .LBB134_88
; %bb.87:
	global_store_dword v[8:9], v10, off
.LBB134_88:
	s_mov_b64 s[30:31], 0
.LBB134_89:
	s_andn2_b64 vcc, exec, s[30:31]
	s_cbranch_vccnz .LBB134_91
; %bb.90:
	global_store_short v[8:9], v10, off
.LBB134_91:
	s_mov_b64 s[30:31], 0
.LBB134_92:
	s_andn2_b64 vcc, exec, s[30:31]
	s_cbranch_vccnz .LBB134_97
; %bb.93:
	s_cmp_gt_i32 s38, 0
	s_mov_b64 s[30:31], -1
	s_cbranch_scc0 .LBB134_95
; %bb.94:
	global_store_byte v[8:9], v10, off
	s_mov_b64 s[30:31], 0
.LBB134_95:
	s_andn2_b64 vcc, exec, s[30:31]
	s_cbranch_vccnz .LBB134_97
; %bb.96:
	global_store_byte v[8:9], v4, off
.LBB134_97:
	s_branch .LBB134_11
.LBB134_98:
	s_mov_b64 s[30:31], 0
                                        ; implicit-def: $vgpr17
.LBB134_99:
	s_and_b64 s[26:27], s[26:27], exec
	s_orn2_b64 s[30:31], s[30:31], exec
.LBB134_100:
	s_or_b64 exec, exec, s[28:29]
	s_mov_b64 s[36:37], 0
                                        ; implicit-def: $vgpr8_vgpr9
	s_and_saveexec_b64 s[28:29], s[30:31]
	s_cbranch_execz .LBB134_109
; %bb.101:
	v_cmp_gt_i32_e32 vcc, s44, v17
	s_mov_b64 s[38:39], -1
	s_mov_b64 s[30:31], s[26:27]
	s_and_saveexec_b64 s[34:35], vcc
	s_cbranch_execz .LBB134_204
; %bb.102:
	v_mul_lo_u32 v2, v17, s10
	v_mov_b32_e32 v3, s9
	s_and_b32 s40, 0xffff, s33
	s_cmp_lt_i32 s40, 11
	v_ashrrev_i32_e32 v9, 31, v2
	v_add_co_u32_e32 v8, vcc, s8, v2
	v_addc_co_u32_e32 v9, vcc, v3, v9, vcc
	s_cbranch_scc1 .LBB134_112
; %bb.103:
	s_cmp_gt_i32 s40, 25
	s_cbranch_scc0 .LBB134_115
; %bb.104:
	s_cmp_gt_i32 s40, 28
	s_cbranch_scc0 .LBB134_116
	;; [unrolled: 3-line block ×4, first 2 shown]
; %bb.107:
	s_mov_b64 s[38:39], 0
	s_mov_b64 s[30:31], -1
	s_cmp_eq_u32 s40, 46
	s_cbranch_scc0 .LBB134_119
; %bb.108:
	v_mov_b32_e32 v2, s50
	global_store_dword v[8:9], v2, off
	s_mov_b64 s[36:37], -1
	s_mov_b64 s[30:31], 0
	s_branch .LBB134_119
.LBB134_109:
	s_or_b64 exec, exec, s[28:29]
	s_mov_b64 s[0:1], 0
	s_and_saveexec_b64 s[2:3], s[26:27]
	s_cbranch_execnz .LBB134_364
.LBB134_110:
	s_or_b64 exec, exec, s[2:3]
	s_and_saveexec_b64 s[2:3], s[34:35]
	s_xor_b64 s[2:3], exec, s[2:3]
	s_cbranch_execz .LBB134_365
.LBB134_111:
	global_store_byte v[8:9], v12, off
	s_or_b64 exec, exec, s[2:3]
	s_and_saveexec_b64 s[2:3], s[36:37]
	s_xor_b64 s[2:3], exec, s[2:3]
	s_cbranch_execz .LBB134_403
	s_branch .LBB134_366
.LBB134_112:
	s_mov_b64 s[30:31], s[26:27]
	s_and_b64 vcc, exec, s[38:39]
	s_cbranch_vccnz .LBB134_164
.LBB134_113:
	s_andn2_b64 vcc, exec, s[36:37]
	s_cbranch_vccnz .LBB134_202
.LBB134_114:
	v_add_u32_e32 v17, 0x80, v17
	s_mov_b64 s[36:37], -1
	s_branch .LBB134_203
.LBB134_115:
	s_mov_b64 s[30:31], s[26:27]
	s_branch .LBB134_141
.LBB134_116:
	s_mov_b64 s[30:31], s[26:27]
	s_branch .LBB134_127
.LBB134_117:
	s_mov_b64 s[30:31], s[26:27]
	s_branch .LBB134_123
.LBB134_118:
	s_mov_b64 s[30:31], s[26:27]
.LBB134_119:
	s_and_b64 vcc, exec, s[38:39]
	s_cbranch_vccz .LBB134_122
; %bb.120:
	s_cmp_eq_u32 s40, 44
	s_mov_b64 s[30:31], -1
	s_cbranch_scc0 .LBB134_122
; %bb.121:
	v_mov_b32_e32 v2, 0xffff
	v_cndmask_b32_e64 v2, v16, v2, s[4:5]
	s_mov_b64 s[36:37], -1
	s_mov_b64 s[30:31], 0
	global_store_byte v[8:9], v2, off
.LBB134_122:
	s_mov_b64 s[38:39], 0
.LBB134_123:
	s_and_b64 vcc, exec, s[38:39]
	s_cbranch_vccz .LBB134_126
; %bb.124:
	s_cmp_eq_u32 s40, 29
	s_mov_b64 s[30:31], -1
	s_cbranch_scc0 .LBB134_126
; %bb.125:
	global_store_dwordx2 v[8:9], v[6:7], off
	s_mov_b64 s[36:37], -1
	s_mov_b64 s[30:31], 0
.LBB134_126:
	s_mov_b64 s[38:39], 0
.LBB134_127:
	s_and_b64 vcc, exec, s[38:39]
	s_cbranch_vccz .LBB134_140
; %bb.128:
	s_cmp_lt_i32 s40, 27
	s_mov_b64 s[36:37], -1
	s_cbranch_scc1 .LBB134_134
; %bb.129:
	s_cmp_gt_i32 s40, 27
	s_cbranch_scc0 .LBB134_131
; %bb.130:
	s_mov_b64 s[36:37], 0
	global_store_dword v[8:9], v15, off
.LBB134_131:
	s_andn2_b64 vcc, exec, s[36:37]
	s_cbranch_vccnz .LBB134_133
; %bb.132:
	global_store_short v[8:9], v15, off
.LBB134_133:
	s_mov_b64 s[36:37], 0
.LBB134_134:
	s_andn2_b64 vcc, exec, s[36:37]
	s_cbranch_vccnz .LBB134_139
; %bb.135:
	s_andn2_b64 vcc, exec, s[22:23]
	v_mov_b32_e32 v2, 0x80
	s_cbranch_vccnz .LBB134_138
; %bb.136:
	s_or_b64 s[36:37], s[2:3], s[24:25]
	s_andn2_b64 vcc, exec, s[36:37]
	v_mov_b32_e32 v2, 0
	s_cbranch_vccnz .LBB134_138
; %bb.137:
	v_mov_b32_e32 v2, s55
	v_cndmask_b32_e64 v2, v14, v2, s[2:3]
	v_or_b32_e32 v2, s49, v2
.LBB134_138:
	global_store_byte v[8:9], v2, off
.LBB134_139:
	s_mov_b64 s[36:37], -1
.LBB134_140:
	s_mov_b64 s[38:39], 0
.LBB134_141:
	s_and_b64 vcc, exec, s[38:39]
	s_cbranch_vccz .LBB134_163
; %bb.142:
	s_cmp_gt_i32 s40, 22
	s_mov_b64 s[38:39], -1
	s_cbranch_scc0 .LBB134_155
; %bb.143:
	s_cmp_lt_i32 s40, 24
	s_mov_b64 s[36:37], -1
	s_cbranch_scc1 .LBB134_152
; %bb.144:
	s_cmp_gt_i32 s40, 24
	s_cbranch_scc0 .LBB134_149
; %bb.145:
	s_andn2_b64 vcc, exec, s[18:19]
	v_mov_b32_e32 v2, 0x80
	s_cbranch_vccnz .LBB134_148
; %bb.146:
	s_or_b64 s[36:37], s[0:1], s[20:21]
	s_andn2_b64 vcc, exec, s[36:37]
	v_mov_b32_e32 v2, 0
	s_cbranch_vccnz .LBB134_148
; %bb.147:
	v_mov_b32_e32 v2, s54
	v_cndmask_b32_e64 v2, v13, v2, s[0:1]
	v_or_b32_e32 v2, s49, v2
.LBB134_148:
	s_mov_b64 s[36:37], 0
	global_store_byte v[8:9], v2, off
.LBB134_149:
	s_and_b64 vcc, exec, s[36:37]
	s_cbranch_vccz .LBB134_151
; %bb.150:
	v_mov_b32_e32 v2, s11
	global_store_byte v[8:9], v2, off
.LBB134_151:
	s_mov_b64 s[36:37], 0
.LBB134_152:
	s_andn2_b64 vcc, exec, s[36:37]
	s_cbranch_vccnz .LBB134_154
; %bb.153:
	s_and_b64 s[36:37], s[16:17], exec
	s_cselect_b32 s38, s52, s51
	s_and_b64 s[36:37], s[14:15], exec
	s_cselect_b32 s36, s53, s38
	s_or_b32 s36, s36, s49
	v_mov_b32_e32 v2, s36
	global_store_byte v[8:9], v2, off
.LBB134_154:
	s_mov_b64 s[38:39], 0
	s_mov_b64 s[36:37], -1
.LBB134_155:
	s_andn2_b64 vcc, exec, s[38:39]
	s_cbranch_vccnz .LBB134_163
; %bb.156:
	s_cmp_gt_i32 s40, 14
	s_mov_b64 s[38:39], -1
	s_cbranch_scc0 .LBB134_160
; %bb.157:
	s_cmp_eq_u32 s40, 15
	s_mov_b64 s[30:31], -1
	s_cbranch_scc0 .LBB134_159
; %bb.158:
	v_mov_b32_e32 v2, s50
	global_store_short v[8:9], v2, off
	s_mov_b64 s[36:37], -1
	s_mov_b64 s[30:31], 0
.LBB134_159:
	s_mov_b64 s[38:39], 0
.LBB134_160:
	s_and_b64 vcc, exec, s[38:39]
	s_cbranch_vccz .LBB134_163
; %bb.161:
	s_cmp_eq_u32 s40, 11
	s_mov_b64 s[30:31], -1
	s_cbranch_scc0 .LBB134_163
; %bb.162:
	s_mov_b64 s[36:37], -1
	s_mov_b64 s[30:31], 0
	global_store_byte v[8:9], v12, off
.LBB134_163:
	s_branch .LBB134_113
.LBB134_164:
	s_cmp_lt_i32 s40, 5
	s_mov_b64 s[36:37], -1
	s_cbranch_scc1 .LBB134_185
; %bb.165:
	s_cmp_lt_i32 s40, 8
	s_cbranch_scc1 .LBB134_175
; %bb.166:
	s_cmp_lt_i32 s40, 9
	s_cbranch_scc1 .LBB134_172
; %bb.167:
	s_cmp_gt_i32 s40, 9
	s_cbranch_scc0 .LBB134_169
; %bb.168:
	v_mov_b32_e32 v2, 0
	v_mov_b32_e32 v3, v2
	s_mov_b64 s[36:37], 0
	global_store_dwordx4 v[8:9], v[0:3], off
.LBB134_169:
	s_andn2_b64 vcc, exec, s[36:37]
	s_cbranch_vccnz .LBB134_171
; %bb.170:
	v_mov_b32_e32 v2, s48
	v_mov_b32_e32 v3, 0
	global_store_dwordx2 v[8:9], v[2:3], off
.LBB134_171:
	s_mov_b64 s[36:37], 0
.LBB134_172:
	s_andn2_b64 vcc, exec, s[36:37]
	s_cbranch_vccnz .LBB134_174
; %bb.173:
	global_store_dword v[8:9], v11, off
.LBB134_174:
	s_mov_b64 s[36:37], 0
.LBB134_175:
	s_andn2_b64 vcc, exec, s[36:37]
	s_cbranch_vccnz .LBB134_184
; %bb.176:
	s_cmp_lt_i32 s40, 6
	s_mov_b64 s[36:37], -1
	s_cbranch_scc1 .LBB134_182
; %bb.177:
	s_cmp_gt_i32 s40, 6
	s_cbranch_scc0 .LBB134_179
; %bb.178:
	s_mov_b64 s[36:37], 0
	global_store_dwordx2 v[8:9], v[0:1], off
.LBB134_179:
	s_andn2_b64 vcc, exec, s[36:37]
	s_cbranch_vccnz .LBB134_181
; %bb.180:
	v_mov_b32_e32 v2, s48
	global_store_dword v[8:9], v2, off
.LBB134_181:
	s_mov_b64 s[36:37], 0
.LBB134_182:
	s_andn2_b64 vcc, exec, s[36:37]
	s_cbranch_vccnz .LBB134_184
; %bb.183:
	global_store_short v[8:9], v11, off
.LBB134_184:
	s_mov_b64 s[36:37], 0
.LBB134_185:
	s_andn2_b64 vcc, exec, s[36:37]
	s_cbranch_vccnz .LBB134_201
; %bb.186:
	s_cmp_lt_i32 s40, 2
	s_mov_b64 s[36:37], -1
	s_cbranch_scc1 .LBB134_196
; %bb.187:
	s_cmp_lt_i32 s40, 3
	s_cbranch_scc1 .LBB134_193
; %bb.188:
	s_cmp_gt_i32 s40, 3
	s_cbranch_scc0 .LBB134_190
; %bb.189:
	s_mov_b64 s[36:37], 0
	global_store_dwordx2 v[8:9], v[4:5], off
.LBB134_190:
	s_andn2_b64 vcc, exec, s[36:37]
	s_cbranch_vccnz .LBB134_192
; %bb.191:
	global_store_dword v[8:9], v10, off
.LBB134_192:
	s_mov_b64 s[36:37], 0
.LBB134_193:
	s_andn2_b64 vcc, exec, s[36:37]
	s_cbranch_vccnz .LBB134_195
; %bb.194:
	global_store_short v[8:9], v10, off
.LBB134_195:
	s_mov_b64 s[36:37], 0
.LBB134_196:
	s_andn2_b64 vcc, exec, s[36:37]
	s_cbranch_vccnz .LBB134_201
; %bb.197:
	s_cmp_gt_i32 s40, 0
	s_mov_b64 s[36:37], -1
	s_cbranch_scc0 .LBB134_199
; %bb.198:
	s_mov_b64 s[36:37], 0
	global_store_byte v[8:9], v10, off
.LBB134_199:
	s_andn2_b64 vcc, exec, s[36:37]
	s_cbranch_vccnz .LBB134_201
; %bb.200:
	global_store_byte v[8:9], v4, off
.LBB134_201:
	s_branch .LBB134_114
.LBB134_202:
	s_mov_b64 s[36:37], 0
                                        ; implicit-def: $vgpr17
.LBB134_203:
	s_andn2_b64 s[38:39], s[26:27], exec
	s_and_b64 s[30:31], s[30:31], exec
	s_or_b64 s[30:31], s[38:39], s[30:31]
	s_orn2_b64 s[38:39], s[36:37], exec
.LBB134_204:
	s_or_b64 exec, exec, s[34:35]
	s_mov_b64 s[40:41], 0
	s_mov_b64 s[36:37], 0
                                        ; implicit-def: $vgpr8_vgpr9
	s_and_saveexec_b64 s[34:35], s[38:39]
	s_cbranch_execz .LBB134_363
; %bb.205:
	v_cmp_gt_i32_e32 vcc, s44, v17
	s_mov_b64 s[42:43], -1
	s_mov_b64 s[38:39], s[30:31]
	s_and_saveexec_b64 s[36:37], vcc
	s_cbranch_execz .LBB134_306
; %bb.206:
	v_mul_lo_u32 v2, v17, s10
	v_mov_b32_e32 v3, s9
	s_and_b32 s45, 0xffff, s33
	s_cmp_lt_i32 s45, 11
	v_ashrrev_i32_e32 v9, 31, v2
	v_add_co_u32_e32 v8, vcc, s8, v2
	v_addc_co_u32_e32 v9, vcc, v3, v9, vcc
	s_cbranch_scc1 .LBB134_213
; %bb.207:
	s_cmp_gt_i32 s45, 25
	s_cbranch_scc0 .LBB134_214
; %bb.208:
	s_cmp_gt_i32 s45, 28
	s_cbranch_scc0 .LBB134_215
	;; [unrolled: 3-line block ×4, first 2 shown]
; %bb.211:
	s_mov_b64 s[42:43], 0
	s_mov_b64 s[38:39], -1
	s_cmp_eq_u32 s45, 46
	s_cbranch_scc0 .LBB134_218
; %bb.212:
	v_mov_b32_e32 v2, s50
	global_store_dword v[8:9], v2, off
	s_mov_b64 s[40:41], -1
	s_mov_b64 s[38:39], 0
	s_branch .LBB134_218
.LBB134_213:
	s_mov_b64 s[38:39], s[30:31]
	s_branch .LBB134_263
.LBB134_214:
	s_mov_b64 s[38:39], s[30:31]
	s_branch .LBB134_240
.LBB134_215:
	s_mov_b64 s[38:39], s[30:31]
	s_branch .LBB134_226
.LBB134_216:
	s_mov_b64 s[38:39], s[30:31]
	s_branch .LBB134_222
.LBB134_217:
	s_mov_b64 s[38:39], s[30:31]
.LBB134_218:
	s_and_b64 vcc, exec, s[42:43]
	s_cbranch_vccz .LBB134_221
; %bb.219:
	s_cmp_eq_u32 s45, 44
	s_mov_b64 s[38:39], -1
	s_cbranch_scc0 .LBB134_221
; %bb.220:
	v_mov_b32_e32 v2, 0xffff
	v_cndmask_b32_e64 v2, v16, v2, s[4:5]
	s_mov_b64 s[40:41], -1
	s_mov_b64 s[38:39], 0
	global_store_byte v[8:9], v2, off
.LBB134_221:
	s_mov_b64 s[42:43], 0
.LBB134_222:
	s_and_b64 vcc, exec, s[42:43]
	s_cbranch_vccz .LBB134_225
; %bb.223:
	s_cmp_eq_u32 s45, 29
	s_mov_b64 s[38:39], -1
	s_cbranch_scc0 .LBB134_225
; %bb.224:
	global_store_dwordx2 v[8:9], v[6:7], off
	s_mov_b64 s[40:41], -1
	s_mov_b64 s[38:39], 0
.LBB134_225:
	s_mov_b64 s[42:43], 0
.LBB134_226:
	s_and_b64 vcc, exec, s[42:43]
	s_cbranch_vccz .LBB134_239
; %bb.227:
	s_cmp_lt_i32 s45, 27
	s_mov_b64 s[40:41], -1
	s_cbranch_scc1 .LBB134_233
; %bb.228:
	s_cmp_gt_i32 s45, 27
	s_cbranch_scc0 .LBB134_230
; %bb.229:
	s_mov_b64 s[40:41], 0
	global_store_dword v[8:9], v15, off
.LBB134_230:
	s_andn2_b64 vcc, exec, s[40:41]
	s_cbranch_vccnz .LBB134_232
; %bb.231:
	global_store_short v[8:9], v15, off
.LBB134_232:
	s_mov_b64 s[40:41], 0
.LBB134_233:
	s_andn2_b64 vcc, exec, s[40:41]
	s_cbranch_vccnz .LBB134_238
; %bb.234:
	s_andn2_b64 vcc, exec, s[22:23]
	v_mov_b32_e32 v2, 0x80
	s_cbranch_vccnz .LBB134_237
; %bb.235:
	s_or_b64 s[40:41], s[2:3], s[24:25]
	s_andn2_b64 vcc, exec, s[40:41]
	v_mov_b32_e32 v2, 0
	s_cbranch_vccnz .LBB134_237
; %bb.236:
	v_mov_b32_e32 v2, s55
	v_cndmask_b32_e64 v2, v14, v2, s[2:3]
	v_or_b32_e32 v2, s49, v2
.LBB134_237:
	global_store_byte v[8:9], v2, off
.LBB134_238:
	s_mov_b64 s[40:41], -1
.LBB134_239:
	s_mov_b64 s[42:43], 0
.LBB134_240:
	s_and_b64 vcc, exec, s[42:43]
	s_cbranch_vccz .LBB134_262
; %bb.241:
	s_cmp_gt_i32 s45, 22
	s_mov_b64 s[42:43], -1
	s_cbranch_scc0 .LBB134_254
; %bb.242:
	s_cmp_lt_i32 s45, 24
	s_mov_b64 s[40:41], -1
	s_cbranch_scc1 .LBB134_251
; %bb.243:
	s_cmp_gt_i32 s45, 24
	s_cbranch_scc0 .LBB134_248
; %bb.244:
	s_andn2_b64 vcc, exec, s[18:19]
	v_mov_b32_e32 v2, 0x80
	s_cbranch_vccnz .LBB134_247
; %bb.245:
	s_or_b64 s[40:41], s[0:1], s[20:21]
	s_andn2_b64 vcc, exec, s[40:41]
	v_mov_b32_e32 v2, 0
	s_cbranch_vccnz .LBB134_247
; %bb.246:
	v_mov_b32_e32 v2, s54
	v_cndmask_b32_e64 v2, v13, v2, s[0:1]
	v_or_b32_e32 v2, s49, v2
.LBB134_247:
	s_mov_b64 s[40:41], 0
	global_store_byte v[8:9], v2, off
.LBB134_248:
	s_and_b64 vcc, exec, s[40:41]
	s_cbranch_vccz .LBB134_250
; %bb.249:
	v_mov_b32_e32 v2, s11
	global_store_byte v[8:9], v2, off
.LBB134_250:
	s_mov_b64 s[40:41], 0
.LBB134_251:
	s_andn2_b64 vcc, exec, s[40:41]
	s_cbranch_vccnz .LBB134_253
; %bb.252:
	s_and_b64 s[40:41], s[16:17], exec
	s_cselect_b32 s42, s52, s51
	s_and_b64 s[40:41], s[14:15], exec
	s_cselect_b32 s40, s53, s42
	s_or_b32 s40, s40, s49
	v_mov_b32_e32 v2, s40
	global_store_byte v[8:9], v2, off
.LBB134_253:
	s_mov_b64 s[42:43], 0
	s_mov_b64 s[40:41], -1
.LBB134_254:
	s_andn2_b64 vcc, exec, s[42:43]
	s_cbranch_vccnz .LBB134_262
; %bb.255:
	s_cmp_gt_i32 s45, 14
	s_mov_b64 s[42:43], -1
	s_cbranch_scc0 .LBB134_259
; %bb.256:
	s_cmp_eq_u32 s45, 15
	s_mov_b64 s[38:39], -1
	s_cbranch_scc0 .LBB134_258
; %bb.257:
	v_mov_b32_e32 v2, s50
	global_store_short v[8:9], v2, off
	s_mov_b64 s[40:41], -1
	s_mov_b64 s[38:39], 0
.LBB134_258:
	s_mov_b64 s[42:43], 0
.LBB134_259:
	s_and_b64 vcc, exec, s[42:43]
	s_cbranch_vccz .LBB134_262
; %bb.260:
	s_cmp_eq_u32 s45, 11
	s_mov_b64 s[38:39], -1
	s_cbranch_scc0 .LBB134_262
; %bb.261:
	s_mov_b64 s[40:41], -1
	s_mov_b64 s[38:39], 0
	global_store_byte v[8:9], v12, off
.LBB134_262:
	s_mov_b64 s[42:43], 0
.LBB134_263:
	s_and_b64 vcc, exec, s[42:43]
	s_cbranch_vccz .LBB134_302
; %bb.264:
	s_cmp_lt_i32 s45, 5
	s_mov_b64 s[40:41], -1
	s_cbranch_scc1 .LBB134_285
; %bb.265:
	s_cmp_lt_i32 s45, 8
	s_cbranch_scc1 .LBB134_275
; %bb.266:
	s_cmp_lt_i32 s45, 9
	s_cbranch_scc1 .LBB134_272
; %bb.267:
	s_cmp_gt_i32 s45, 9
	s_cbranch_scc0 .LBB134_269
; %bb.268:
	v_mov_b32_e32 v2, 0
	v_mov_b32_e32 v3, v2
	s_mov_b64 s[40:41], 0
	global_store_dwordx4 v[8:9], v[0:3], off
.LBB134_269:
	s_andn2_b64 vcc, exec, s[40:41]
	s_cbranch_vccnz .LBB134_271
; %bb.270:
	v_mov_b32_e32 v2, s48
	v_mov_b32_e32 v3, 0
	global_store_dwordx2 v[8:9], v[2:3], off
.LBB134_271:
	s_mov_b64 s[40:41], 0
.LBB134_272:
	s_andn2_b64 vcc, exec, s[40:41]
	s_cbranch_vccnz .LBB134_274
; %bb.273:
	global_store_dword v[8:9], v11, off
.LBB134_274:
	s_mov_b64 s[40:41], 0
.LBB134_275:
	s_andn2_b64 vcc, exec, s[40:41]
	s_cbranch_vccnz .LBB134_284
; %bb.276:
	s_cmp_lt_i32 s45, 6
	s_mov_b64 s[40:41], -1
	s_cbranch_scc1 .LBB134_282
; %bb.277:
	s_cmp_gt_i32 s45, 6
	s_cbranch_scc0 .LBB134_279
; %bb.278:
	s_mov_b64 s[40:41], 0
	global_store_dwordx2 v[8:9], v[0:1], off
.LBB134_279:
	s_andn2_b64 vcc, exec, s[40:41]
	s_cbranch_vccnz .LBB134_281
; %bb.280:
	v_mov_b32_e32 v2, s48
	global_store_dword v[8:9], v2, off
.LBB134_281:
	s_mov_b64 s[40:41], 0
.LBB134_282:
	s_andn2_b64 vcc, exec, s[40:41]
	s_cbranch_vccnz .LBB134_284
; %bb.283:
	global_store_short v[8:9], v11, off
.LBB134_284:
	s_mov_b64 s[40:41], 0
.LBB134_285:
	s_andn2_b64 vcc, exec, s[40:41]
	s_cbranch_vccnz .LBB134_301
; %bb.286:
	s_cmp_lt_i32 s45, 2
	s_mov_b64 s[40:41], -1
	s_cbranch_scc1 .LBB134_296
; %bb.287:
	s_cmp_lt_i32 s45, 3
	s_cbranch_scc1 .LBB134_293
; %bb.288:
	s_cmp_gt_i32 s45, 3
	s_cbranch_scc0 .LBB134_290
; %bb.289:
	s_mov_b64 s[40:41], 0
	global_store_dwordx2 v[8:9], v[4:5], off
.LBB134_290:
	s_andn2_b64 vcc, exec, s[40:41]
	s_cbranch_vccnz .LBB134_292
; %bb.291:
	global_store_dword v[8:9], v10, off
.LBB134_292:
	s_mov_b64 s[40:41], 0
.LBB134_293:
	s_andn2_b64 vcc, exec, s[40:41]
	s_cbranch_vccnz .LBB134_295
; %bb.294:
	global_store_short v[8:9], v10, off
.LBB134_295:
	s_mov_b64 s[40:41], 0
.LBB134_296:
	s_andn2_b64 vcc, exec, s[40:41]
	s_cbranch_vccnz .LBB134_301
; %bb.297:
	s_cmp_gt_i32 s45, 0
	s_mov_b64 s[40:41], -1
	s_cbranch_scc0 .LBB134_299
; %bb.298:
	s_mov_b64 s[40:41], 0
	global_store_byte v[8:9], v10, off
.LBB134_299:
	s_andn2_b64 vcc, exec, s[40:41]
	s_cbranch_vccnz .LBB134_301
; %bb.300:
	global_store_byte v[8:9], v4, off
.LBB134_301:
	s_mov_b64 s[40:41], -1
.LBB134_302:
	s_andn2_b64 vcc, exec, s[40:41]
	s_cbranch_vccnz .LBB134_304
; %bb.303:
	v_add_u32_e32 v17, 0x80, v17
	s_mov_b64 s[40:41], -1
	s_branch .LBB134_305
.LBB134_304:
	s_mov_b64 s[40:41], 0
                                        ; implicit-def: $vgpr17
.LBB134_305:
	s_andn2_b64 s[42:43], s[30:31], exec
	s_and_b64 s[38:39], s[38:39], exec
	s_or_b64 s[38:39], s[42:43], s[38:39]
	s_orn2_b64 s[42:43], s[40:41], exec
.LBB134_306:
	s_or_b64 exec, exec, s[36:37]
	s_mov_b64 s[40:41], 0
	s_mov_b64 s[46:47], 0
                                        ; implicit-def: $vgpr8_vgpr9
	s_and_saveexec_b64 s[36:37], s[42:43]
	s_cbranch_execz .LBB134_362
; %bb.307:
	v_cmp_gt_i32_e32 vcc, s44, v17
	s_mov_b64 s[44:45], 0
	s_mov_b64 s[42:43], s[38:39]
                                        ; implicit-def: $vgpr8_vgpr9
	s_and_saveexec_b64 s[40:41], vcc
	s_cbranch_execz .LBB134_361
; %bb.308:
	v_mul_lo_u32 v2, v17, s10
	v_mov_b32_e32 v3, s9
	s_and_b32 s46, 0xffff, s33
	s_cmp_lt_i32 s46, 11
	v_ashrrev_i32_e32 v9, 31, v2
	v_add_co_u32_e32 v8, vcc, s8, v2
	v_addc_co_u32_e32 v9, vcc, v3, v9, vcc
	s_cbranch_scc1 .LBB134_358
; %bb.309:
	s_mov_b64 s[44:45], -1
	s_cmp_gt_i32 s46, 25
	s_mov_b64 s[42:43], s[38:39]
	s_cbranch_scc0 .LBB134_337
; %bb.310:
	s_cmp_gt_i32 s46, 28
	s_mov_b64 s[42:43], s[38:39]
	s_cbranch_scc0 .LBB134_324
; %bb.311:
	;; [unrolled: 4-line block ×4, first 2 shown]
	s_cmp_eq_u32 s46, 46
	s_mov_b64 s[42:43], -1
	s_cbranch_scc0 .LBB134_315
; %bb.314:
	v_mov_b32_e32 v2, s50
	global_store_dword v[8:9], v2, off
	s_mov_b64 s[42:43], 0
.LBB134_315:
	s_mov_b64 s[44:45], 0
.LBB134_316:
	s_and_b64 vcc, exec, s[44:45]
	s_cbranch_vccz .LBB134_319
; %bb.317:
	s_cmp_eq_u32 s46, 44
	s_mov_b64 s[42:43], -1
	s_cbranch_scc0 .LBB134_319
; %bb.318:
	v_mov_b32_e32 v2, 0xffff
	v_cndmask_b32_e64 v2, v16, v2, s[4:5]
	global_store_byte v[8:9], v2, off
	s_mov_b64 s[42:43], 0
.LBB134_319:
	s_mov_b64 s[44:45], 0
.LBB134_320:
	s_and_b64 vcc, exec, s[44:45]
	s_cbranch_vccz .LBB134_323
; %bb.321:
	s_cmp_eq_u32 s46, 29
	s_mov_b64 s[42:43], -1
	s_cbranch_scc0 .LBB134_323
; %bb.322:
	global_store_dwordx2 v[8:9], v[6:7], off
	s_mov_b64 s[42:43], 0
.LBB134_323:
	s_mov_b64 s[44:45], 0
.LBB134_324:
	s_and_b64 vcc, exec, s[44:45]
	s_cbranch_vccz .LBB134_336
; %bb.325:
	s_cmp_lt_i32 s46, 27
	s_mov_b64 s[4:5], -1
	s_cbranch_scc1 .LBB134_331
; %bb.326:
	s_cmp_gt_i32 s46, 27
	s_cbranch_scc0 .LBB134_328
; %bb.327:
	s_mov_b64 s[4:5], 0
	global_store_dword v[8:9], v15, off
.LBB134_328:
	s_andn2_b64 vcc, exec, s[4:5]
	s_cbranch_vccnz .LBB134_330
; %bb.329:
	global_store_short v[8:9], v15, off
.LBB134_330:
	s_mov_b64 s[4:5], 0
.LBB134_331:
	s_andn2_b64 vcc, exec, s[4:5]
	s_cbranch_vccnz .LBB134_336
; %bb.332:
	s_andn2_b64 vcc, exec, s[22:23]
	v_mov_b32_e32 v2, 0x80
	s_cbranch_vccnz .LBB134_335
; %bb.333:
	s_or_b64 s[4:5], s[2:3], s[24:25]
	s_andn2_b64 vcc, exec, s[4:5]
	v_mov_b32_e32 v2, 0
	s_cbranch_vccnz .LBB134_335
; %bb.334:
	v_mov_b32_e32 v2, s55
	v_cndmask_b32_e64 v2, v14, v2, s[2:3]
	v_or_b32_e32 v2, s49, v2
.LBB134_335:
	global_store_byte v[8:9], v2, off
.LBB134_336:
	s_mov_b64 s[44:45], 0
.LBB134_337:
	s_mov_b64 s[2:3], 0
	s_and_b64 vcc, exec, s[44:45]
	s_cbranch_vccz .LBB134_359
; %bb.338:
	s_cmp_gt_i32 s46, 22
	s_mov_b64 s[4:5], -1
	s_cbranch_scc0 .LBB134_351
; %bb.339:
	s_cmp_lt_i32 s46, 24
	s_cbranch_scc1 .LBB134_348
; %bb.340:
	s_cmp_gt_i32 s46, 24
	s_cbranch_scc0 .LBB134_345
; %bb.341:
	s_andn2_b64 vcc, exec, s[18:19]
	v_mov_b32_e32 v2, 0x80
	s_cbranch_vccnz .LBB134_344
; %bb.342:
	s_or_b64 s[4:5], s[0:1], s[20:21]
	s_andn2_b64 vcc, exec, s[4:5]
	v_mov_b32_e32 v2, 0
	s_cbranch_vccnz .LBB134_344
; %bb.343:
	v_mov_b32_e32 v2, s54
	v_cndmask_b32_e64 v2, v13, v2, s[0:1]
	v_or_b32_e32 v2, s49, v2
.LBB134_344:
	s_mov_b64 s[4:5], 0
	global_store_byte v[8:9], v2, off
.LBB134_345:
	s_and_b64 vcc, exec, s[4:5]
	s_cbranch_vccz .LBB134_347
; %bb.346:
	v_mov_b32_e32 v2, s11
	global_store_byte v[8:9], v2, off
.LBB134_347:
	s_mov_b64 s[4:5], 0
.LBB134_348:
	s_andn2_b64 vcc, exec, s[4:5]
	s_cbranch_vccnz .LBB134_350
; %bb.349:
	s_and_b64 s[0:1], s[16:17], exec
	s_cselect_b32 s4, s52, s51
	s_and_b64 s[0:1], s[14:15], exec
	s_cselect_b32 s0, s53, s4
	s_or_b32 s0, s0, s49
	v_mov_b32_e32 v2, s0
	global_store_byte v[8:9], v2, off
.LBB134_350:
	s_mov_b64 s[4:5], 0
.LBB134_351:
	s_andn2_b64 vcc, exec, s[4:5]
	s_mov_b64 s[0:1], 0
	s_cbranch_vccnz .LBB134_360
; %bb.352:
	s_cmp_gt_i32 s46, 14
	s_mov_b64 s[4:5], -1
	s_cbranch_scc0 .LBB134_356
; %bb.353:
	s_cmp_eq_u32 s46, 15
	s_mov_b64 s[42:43], -1
	s_cbranch_scc0 .LBB134_355
; %bb.354:
	v_mov_b32_e32 v2, s50
	global_store_short v[8:9], v2, off
	s_mov_b64 s[42:43], 0
.LBB134_355:
	s_mov_b64 s[4:5], 0
.LBB134_356:
	s_and_b64 vcc, exec, s[4:5]
	s_cbranch_vccz .LBB134_360
; %bb.357:
	s_cmp_lg_u32 s46, 11
	s_cselect_b64 s[4:5], -1, 0
	s_andn2_b64 s[14:15], s[42:43], exec
	s_and_b64 s[4:5], s[4:5], exec
	s_mov_b64 s[0:1], -1
	s_or_b64 s[42:43], s[14:15], s[4:5]
	s_branch .LBB134_360
.LBB134_358:
	s_mov_b64 s[0:1], 0
	s_mov_b64 s[2:3], -1
	s_mov_b64 s[42:43], s[38:39]
	s_branch .LBB134_360
.LBB134_359:
	s_mov_b64 s[0:1], 0
.LBB134_360:
	s_and_b64 s[46:47], s[2:3], exec
	s_and_b64 s[44:45], s[0:1], exec
	s_andn2_b64 s[0:1], s[38:39], exec
	s_and_b64 s[2:3], s[42:43], exec
	s_or_b64 s[42:43], s[0:1], s[2:3]
.LBB134_361:
	s_or_b64 exec, exec, s[40:41]
	s_andn2_b64 s[0:1], s[38:39], exec
	s_and_b64 s[2:3], s[42:43], exec
	s_and_b64 s[46:47], s[46:47], exec
	;; [unrolled: 1-line block ×3, first 2 shown]
	s_or_b64 s[38:39], s[0:1], s[2:3]
.LBB134_362:
	s_or_b64 exec, exec, s[36:37]
	s_andn2_b64 s[0:1], s[30:31], exec
	s_and_b64 s[2:3], s[38:39], exec
	s_and_b64 s[36:37], s[46:47], exec
	;; [unrolled: 1-line block ×3, first 2 shown]
	s_or_b64 s[30:31], s[0:1], s[2:3]
.LBB134_363:
	s_or_b64 exec, exec, s[34:35]
	s_andn2_b64 s[0:1], s[26:27], exec
	s_and_b64 s[2:3], s[30:31], exec
	s_and_b64 s[36:37], s[36:37], exec
	;; [unrolled: 1-line block ×3, first 2 shown]
	s_or_b64 s[26:27], s[0:1], s[2:3]
	s_or_b64 exec, exec, s[28:29]
	s_mov_b64 s[0:1], 0
	s_and_saveexec_b64 s[2:3], s[26:27]
	s_cbranch_execz .LBB134_110
.LBB134_364:
	s_mov_b64 s[0:1], exec
	s_andn2_b64 s[34:35], s[34:35], exec
	s_trap 2
	s_or_b64 exec, exec, s[2:3]
	s_and_saveexec_b64 s[2:3], s[34:35]
	s_xor_b64 s[2:3], exec, s[2:3]
	s_cbranch_execnz .LBB134_111
.LBB134_365:
	s_or_b64 exec, exec, s[2:3]
	s_and_saveexec_b64 s[2:3], s[36:37]
	s_xor_b64 s[2:3], exec, s[2:3]
	s_cbranch_execz .LBB134_403
.LBB134_366:
	s_sext_i32_i16 s14, s33
	s_cmp_lt_i32 s14, 5
	s_mov_b64 s[4:5], -1
	s_cbranch_scc1 .LBB134_387
; %bb.367:
	s_cmp_lt_i32 s14, 8
	s_cbranch_scc1 .LBB134_377
; %bb.368:
	s_cmp_lt_i32 s14, 9
	s_cbranch_scc1 .LBB134_374
; %bb.369:
	s_cmp_gt_i32 s14, 9
	s_cbranch_scc0 .LBB134_371
; %bb.370:
	v_mov_b32_e32 v2, 0
	v_mov_b32_e32 v3, v2
	s_mov_b64 s[4:5], 0
	global_store_dwordx4 v[8:9], v[0:3], off
.LBB134_371:
	s_andn2_b64 vcc, exec, s[4:5]
	s_cbranch_vccnz .LBB134_373
; %bb.372:
	v_mov_b32_e32 v2, s48
	v_mov_b32_e32 v3, 0
	global_store_dwordx2 v[8:9], v[2:3], off
.LBB134_373:
	s_mov_b64 s[4:5], 0
.LBB134_374:
	s_andn2_b64 vcc, exec, s[4:5]
	s_cbranch_vccnz .LBB134_376
; %bb.375:
	global_store_dword v[8:9], v11, off
.LBB134_376:
	s_mov_b64 s[4:5], 0
.LBB134_377:
	s_andn2_b64 vcc, exec, s[4:5]
	s_cbranch_vccnz .LBB134_386
; %bb.378:
	s_sext_i32_i16 s14, s33
	s_cmp_lt_i32 s14, 6
	s_mov_b64 s[4:5], -1
	s_cbranch_scc1 .LBB134_384
; %bb.379:
	s_cmp_gt_i32 s14, 6
	s_cbranch_scc0 .LBB134_381
; %bb.380:
	s_mov_b64 s[4:5], 0
	global_store_dwordx2 v[8:9], v[0:1], off
.LBB134_381:
	s_andn2_b64 vcc, exec, s[4:5]
	s_cbranch_vccnz .LBB134_383
; %bb.382:
	v_mov_b32_e32 v0, s48
	global_store_dword v[8:9], v0, off
.LBB134_383:
	s_mov_b64 s[4:5], 0
.LBB134_384:
	s_andn2_b64 vcc, exec, s[4:5]
	s_cbranch_vccnz .LBB134_386
; %bb.385:
	global_store_short v[8:9], v11, off
.LBB134_386:
	s_mov_b64 s[4:5], 0
.LBB134_387:
	s_andn2_b64 vcc, exec, s[4:5]
	s_cbranch_vccnz .LBB134_403
; %bb.388:
	s_sext_i32_i16 s14, s33
	s_cmp_lt_i32 s14, 2
	s_mov_b64 s[4:5], -1
	s_cbranch_scc1 .LBB134_398
; %bb.389:
	s_cmp_lt_i32 s14, 3
	s_cbranch_scc1 .LBB134_395
; %bb.390:
	s_cmp_gt_i32 s14, 3
	s_cbranch_scc0 .LBB134_392
; %bb.391:
	s_mov_b64 s[4:5], 0
	global_store_dwordx2 v[8:9], v[4:5], off
.LBB134_392:
	s_andn2_b64 vcc, exec, s[4:5]
	s_cbranch_vccnz .LBB134_394
; %bb.393:
	global_store_dword v[8:9], v10, off
.LBB134_394:
	s_mov_b64 s[4:5], 0
.LBB134_395:
	s_andn2_b64 vcc, exec, s[4:5]
	s_cbranch_vccnz .LBB134_397
; %bb.396:
	global_store_short v[8:9], v10, off
.LBB134_397:
	s_mov_b64 s[4:5], 0
.LBB134_398:
	s_andn2_b64 vcc, exec, s[4:5]
	s_cbranch_vccnz .LBB134_403
; %bb.399:
	s_sext_i32_i16 s4, s33
	s_cmp_gt_i32 s4, 0
	s_mov_b64 s[4:5], -1
	s_cbranch_scc0 .LBB134_401
; %bb.400:
	s_mov_b64 s[4:5], 0
	global_store_byte v[8:9], v10, off
.LBB134_401:
	s_andn2_b64 vcc, exec, s[4:5]
	s_cbranch_vccnz .LBB134_403
; %bb.402:
	global_store_byte v[8:9], v4, off
.LBB134_403:
	s_or_b64 exec, exec, s[2:3]
	s_and_b64 s[0:1], s[0:1], exec
                                        ; implicit-def: $vgpr17
.LBB134_404:
	s_or_saveexec_b64 s[2:3], s[12:13]
	s_mov_b64 s[12:13], 0
                                        ; implicit-def: $vgpr0_vgpr1
	s_xor_b64 exec, exec, s[2:3]
	s_cbranch_execz .LBB134_433
; %bb.405:
	v_mul_lo_u32 v2, s10, v17
	v_mov_b32_e32 v1, s9
	s_and_b32 s18, 0xffff, s33
	s_cmp_lt_i32 s18, 11
	v_ashrrev_i32_e32 v3, 31, v2
	v_add_co_u32_e32 v0, vcc, s8, v2
	v_addc_co_u32_e32 v1, vcc, v1, v3, vcc
	s_cbranch_scc1 .LBB134_436
; %bb.406:
	s_mov_b64 s[14:15], -1
	s_cmp_gt_i32 s18, 25
	s_mov_b64 s[4:5], 0
	s_cbranch_scc0 .LBB134_446
; %bb.407:
	s_cmp_gt_i32 s18, 28
	s_cbranch_scc0 .LBB134_422
; %bb.408:
	s_cmp_gt_i32 s18, 43
	s_cbranch_scc0 .LBB134_418
; %bb.409:
	s_cmp_gt_i32 s18, 45
	s_cbranch_scc0 .LBB134_412
; %bb.410:
	s_mov_b64 s[4:5], -1
	s_mov_b64 s[14:15], 0
	s_cmp_eq_u32 s18, 46
	s_cbranch_scc0 .LBB134_412
; %bb.411:
	s_lshl_b32 s4, s11, 24
	s_and_b32 s5, s4, 0x80000000
	s_and_b32 s4, s4, 0x7f000000
	s_flbit_i32_b32 s12, s4
	s_min_u32 s12, s12, 32
	v_sub_u32_e64 v3, s12, 4 clamp
	v_readfirstlane_b32 s13, v3
	s_lshl_b32 s16, s4, s13
	s_add_i32 s12, s4, 0x1000000
	s_lshr_b32 s16, s16, 4
	s_lshl_b32 s13, s13, 23
	s_ashr_i32 s12, s12, 8
	s_sub_i32 s13, s16, s13
	s_and_b32 s12, s12, 0x7f800000
	s_add_i32 s13, s13, 0x3c000000
	s_or_b32 s12, s13, s12
	s_cmp_lg_u32 s4, 0
	s_cselect_b32 s4, s12, 0
	s_or_b32 s5, s4, s5
	s_bfe_u32 s4, s4, 0x10010
	s_add_i32 s4, s5, s4
	s_addk_i32 s4, 0x7fff
	s_lshr_b32 s12, s4, 16
	v_cmp_o_f32_e64 s[4:5], s5, s5
	s_and_b64 s[4:5], s[4:5], exec
	s_cselect_b32 s4, s12, 0x7fc0
	v_mov_b32_e32 v3, s4
	global_store_dword v[0:1], v3, off
	s_mov_b64 s[4:5], 0
	s_mov_b64 s[12:13], -1
.LBB134_412:
	s_and_b64 vcc, exec, s[14:15]
	s_cbranch_vccz .LBB134_417
; %bb.413:
	s_cmp_eq_u32 s18, 44
	s_mov_b64 s[4:5], -1
	s_cbranch_scc0 .LBB134_417
; %bb.414:
	s_lshl_b32 s4, s11, 24
	s_and_b32 s4, s4, 0x7f000000
	s_flbit_i32_b32 s5, s4
	s_min_u32 s5, s5, 32
	v_sub_u32_e64 v3, s5, 4 clamp
	v_readfirstlane_b32 s12, v3
	s_lshl_b32 s13, s4, s12
	s_add_i32 s5, s4, 0x1000000
	s_lshr_b32 s13, s13, 4
	s_lshl_b32 s12, s12, 23
	s_ashr_i32 s5, s5, 8
	s_sub_i32 s12, s13, s12
	s_and_b32 s5, s5, 0x7f800000
	s_add_i32 s12, s12, 0x3c000000
	s_or_b32 s5, s12, s5
	s_cmp_lg_u32 s4, 0
	s_cselect_b32 s5, s5, 0
	s_lshr_b32 s4, s5, 23
	s_cmpk_eq_i32 s4, 0xff
	v_mov_b32_e32 v3, 0xff
	s_cbranch_scc1 .LBB134_416
; %bb.415:
	s_bitcmp1_b32 s5, 22
	s_cselect_b64 s[12:13], -1, 0
	s_and_b32 s5, s5, 0x3fffff
	s_or_b32 s5, s4, s5
	s_cmp_lg_u32 s5, 0
	s_cselect_b64 s[14:15], -1, 0
	s_and_b64 s[12:13], s[12:13], s[14:15]
	v_cndmask_b32_e64 v3, 0, 1, s[12:13]
	v_add_u32_e32 v3, s4, v3
.LBB134_416:
	s_mov_b64 s[4:5], 0
	s_mov_b64 s[12:13], -1
	global_store_byte v[0:1], v3, off
.LBB134_417:
	s_mov_b64 s[14:15], 0
.LBB134_418:
	s_and_b64 vcc, exec, s[14:15]
	s_cbranch_vccz .LBB134_421
; %bb.419:
	s_cmp_eq_u32 s18, 29
	s_mov_b64 s[4:5], -1
	s_cbranch_scc0 .LBB134_421
; %bb.420:
	s_lshl_b32 s4, s11, 24
	s_and_b32 s5, s4, 0x80000000
	s_and_b32 s4, s4, 0x7f000000
	s_flbit_i32_b32 s12, s4
	s_min_u32 s12, s12, 32
	v_sub_u32_e64 v3, s12, 4 clamp
	v_readfirstlane_b32 s13, v3
	s_lshl_b32 s14, s4, s13
	s_add_i32 s12, s4, 0x1000000
	s_lshr_b32 s14, s14, 4
	s_lshl_b32 s13, s13, 23
	s_ashr_i32 s12, s12, 8
	s_sub_i32 s13, s14, s13
	s_and_b32 s12, s12, 0x7f800000
	s_add_i32 s13, s13, 0x3c000000
	s_or_b32 s12, s13, s12
	s_cmp_lg_u32 s4, 0
	s_cselect_b32 s4, s12, 0
	s_or_b32 s4, s4, s5
	v_trunc_f32_e32 v3, s4
	v_mul_f32_e32 v4, 0x2f800000, v3
	v_floor_f32_e32 v4, v4
	v_fmac_f32_e32 v3, 0xcf800000, v4
	v_cvt_u32_f32_e32 v3, v3
	v_cvt_u32_f32_e32 v4, v4
	s_mov_b64 s[4:5], 0
	s_mov_b64 s[12:13], -1
	global_store_dwordx2 v[0:1], v[3:4], off
.LBB134_421:
	s_mov_b64 s[14:15], 0
.LBB134_422:
	s_and_b64 vcc, exec, s[14:15]
	s_cbranch_vccz .LBB134_445
; %bb.423:
	s_cmp_lt_i32 s18, 27
	s_mov_b64 s[12:13], -1
	s_cbranch_scc1 .LBB134_429
; %bb.424:
	s_cmp_gt_i32 s18, 27
	s_cbranch_scc0 .LBB134_426
; %bb.425:
	s_lshl_b32 s12, s11, 24
	s_and_b32 s13, s12, 0x80000000
	s_and_b32 s12, s12, 0x7f000000
	s_flbit_i32_b32 s14, s12
	s_min_u32 s14, s14, 32
	v_sub_u32_e64 v3, s14, 4 clamp
	v_readfirstlane_b32 s15, v3
	s_lshl_b32 s16, s12, s15
	s_add_i32 s14, s12, 0x1000000
	s_lshr_b32 s16, s16, 4
	s_lshl_b32 s15, s15, 23
	s_ashr_i32 s14, s14, 8
	s_sub_i32 s15, s16, s15
	s_and_b32 s14, s14, 0x7f800000
	s_add_i32 s15, s15, 0x3c000000
	s_or_b32 s14, s15, s14
	s_cmp_lg_u32 s12, 0
	s_cselect_b32 s12, s14, 0
	s_or_b32 s12, s12, s13
	v_cvt_u32_f32_e32 v3, s12
	s_mov_b64 s[12:13], 0
	global_store_dword v[0:1], v3, off
.LBB134_426:
	s_andn2_b64 vcc, exec, s[12:13]
	s_cbranch_vccnz .LBB134_428
; %bb.427:
	s_lshl_b32 s12, s11, 24
	s_and_b32 s13, s12, 0x80000000
	s_and_b32 s12, s12, 0x7f000000
	s_flbit_i32_b32 s14, s12
	s_min_u32 s14, s14, 32
	v_sub_u32_e64 v3, s14, 4 clamp
	v_readfirstlane_b32 s15, v3
	s_lshl_b32 s16, s12, s15
	s_add_i32 s14, s12, 0x1000000
	s_lshr_b32 s16, s16, 4
	s_lshl_b32 s15, s15, 23
	s_ashr_i32 s14, s14, 8
	s_sub_i32 s15, s16, s15
	s_and_b32 s14, s14, 0x7f800000
	s_add_i32 s15, s15, 0x3c000000
	s_or_b32 s14, s15, s14
	s_cmp_lg_u32 s12, 0
	s_cselect_b32 s12, s14, 0
	s_or_b32 s12, s12, s13
	v_cvt_u32_f32_e32 v3, s12
	global_store_short v[0:1], v3, off
.LBB134_428:
	s_mov_b64 s[12:13], 0
.LBB134_429:
	s_andn2_b64 vcc, exec, s[12:13]
	s_cbranch_vccnz .LBB134_444
; %bb.430:
	s_lshl_b32 s12, s11, 24
	s_and_b32 s13, s12, 0x80000000
	s_and_b32 s12, s12, 0x7f000000
	s_flbit_i32_b32 s14, s12
	s_min_u32 s14, s14, 32
	v_sub_u32_e64 v3, s14, 4 clamp
	v_readfirstlane_b32 s15, v3
	s_lshl_b32 s16, s12, s15
	s_add_i32 s14, s12, 0x1000000
	s_lshr_b32 s16, s16, 4
	s_lshl_b32 s15, s15, 23
	s_ashr_i32 s14, s14, 8
	s_sub_i32 s15, s16, s15
	s_and_b32 s14, s14, 0x7f800000
	s_add_i32 s15, s15, 0x3c000000
	s_or_b32 s14, s15, s14
	s_cmp_lg_u32 s12, 0
	s_cselect_b32 s12, s14, 0
	s_or_b32 s16, s12, s13
	s_and_b32 s13, s16, 0x7fffffff
	s_cmp_gt_u32 s13, 0x437fffff
	v_mov_b32_e32 v4, 0x80
	s_cbranch_scc1 .LBB134_443
; %bb.431:
	s_cmp_gt_u32 s13, 0x3bffffff
	s_cbranch_scc0 .LBB134_438
; %bb.432:
	s_bfe_u32 s12, s12, 0x10014
	s_add_i32 s12, s16, s12
	s_add_i32 s12, s12, 0x487ffff
	s_lshr_b32 s17, s12, 20
	s_mov_b64 s[14:15], 0
	s_mov_b64 s[12:13], -1
	s_branch .LBB134_439
.LBB134_433:
	s_or_b64 exec, exec, s[2:3]
	s_and_saveexec_b64 s[2:3], s[0:1]
	s_cbranch_execz .LBB134_804
.LBB134_434:
	; divergent unreachable
	s_or_b64 exec, exec, s[2:3]
	s_and_saveexec_b64 s[0:1], s[6:7]
	s_xor_b64 s[0:1], exec, s[0:1]
	s_cbranch_execnz .LBB134_805
.LBB134_435:
	s_or_b64 exec, exec, s[0:1]
	s_and_saveexec_b64 s[0:1], s[12:13]
	s_cbranch_execnz .LBB134_806
	s_branch .LBB134_843
.LBB134_436:
	s_mov_b64 s[4:5], s[0:1]
	s_cbranch_execnz .LBB134_486
.LBB134_437:
	s_andn2_b64 vcc, exec, s[12:13]
	s_cbranch_vccz .LBB134_524
	s_branch .LBB134_802
.LBB134_438:
	s_mov_b64 s[14:15], -1
	s_mov_b64 s[12:13], 0
                                        ; implicit-def: $sgpr17
.LBB134_439:
	s_andn2_b64 vcc, exec, s[14:15]
	v_mov_b32_e32 v3, s17
	s_cbranch_vccnz .LBB134_441
; %bb.440:
	v_mov_b32_e32 v3, 0x46000000
	v_add_f32_e64 v3, |s16|, v3
	v_and_b32_e32 v3, 0xff, v3
	v_cmp_ne_u32_e64 s[12:13], 0, v3
.LBB134_441:
	s_andn2_b64 vcc, exec, s[12:13]
	v_mov_b32_e32 v4, 0
	s_cbranch_vccnz .LBB134_443
; %bb.442:
	s_lshr_b32 s12, s16, 24
	s_and_b32 s12, s12, 0x80
	v_or_b32_e32 v4, s12, v3
.LBB134_443:
	global_store_byte v[0:1], v4, off
.LBB134_444:
	s_mov_b64 s[12:13], -1
.LBB134_445:
	s_mov_b64 s[14:15], 0
.LBB134_446:
	s_and_b64 vcc, exec, s[14:15]
	s_cbranch_vccz .LBB134_482
; %bb.447:
	s_cmp_gt_i32 s18, 22
	s_mov_b64 s[6:7], -1
	s_cbranch_scc0 .LBB134_475
; %bb.448:
	s_cmp_lt_i32 s18, 24
	s_cbranch_scc1 .LBB134_462
; %bb.449:
	s_cmp_gt_i32 s18, 24
	s_cbranch_scc0 .LBB134_459
; %bb.450:
	s_lshl_b32 s6, s11, 24
	s_and_b32 s7, s6, 0x80000000
	s_and_b32 s6, s6, 0x7f000000
	s_flbit_i32_b32 s12, s6
	s_min_u32 s12, s12, 32
	v_sub_u32_e64 v3, s12, 4 clamp
	v_readfirstlane_b32 s13, v3
	s_lshl_b32 s14, s6, s13
	s_add_i32 s12, s6, 0x1000000
	s_lshr_b32 s14, s14, 4
	s_lshl_b32 s13, s13, 23
	s_ashr_i32 s12, s12, 8
	s_sub_i32 s13, s14, s13
	s_and_b32 s12, s12, 0x7f800000
	s_add_i32 s13, s13, 0x3c000000
	s_or_b32 s12, s13, s12
	s_cmp_lg_u32 s6, 0
	s_cselect_b32 s6, s12, 0
	s_or_b32 s14, s6, s7
	s_and_b32 s7, s14, 0x7fffffff
	s_cmp_gt_u32 s7, 0x477fffff
	v_mov_b32_e32 v4, 0x80
	s_cbranch_scc1 .LBB134_458
; %bb.451:
	s_cmp_gt_u32 s7, 0x37ffffff
	s_cbranch_scc0 .LBB134_453
; %bb.452:
	s_bfe_u32 s6, s6, 0x10015
	s_add_i32 s6, s14, s6
	s_add_i32 s6, s6, 0x88fffff
	s_lshr_b32 s15, s6, 21
	s_mov_b64 s[12:13], 0
	s_mov_b64 s[6:7], -1
	s_branch .LBB134_454
.LBB134_453:
	s_mov_b64 s[12:13], -1
	s_mov_b64 s[6:7], 0
                                        ; implicit-def: $sgpr15
.LBB134_454:
	s_andn2_b64 vcc, exec, s[12:13]
	v_mov_b32_e32 v3, s15
	s_cbranch_vccnz .LBB134_456
; %bb.455:
	v_mov_b32_e32 v3, 0x42800000
	v_add_f32_e64 v3, |s14|, v3
	v_and_b32_e32 v3, 0xff, v3
	v_cmp_ne_u32_e64 s[6:7], 0, v3
.LBB134_456:
	s_andn2_b64 vcc, exec, s[6:7]
	v_mov_b32_e32 v4, 0
	s_cbranch_vccnz .LBB134_458
; %bb.457:
	s_lshr_b32 s6, s14, 24
	s_and_b32 s6, s6, 0x80
	v_or_b32_e32 v4, s6, v3
.LBB134_458:
	s_mov_b64 s[6:7], 0
	global_store_byte v[0:1], v4, off
.LBB134_459:
	s_and_b64 vcc, exec, s[6:7]
	s_cbranch_vccz .LBB134_461
; %bb.460:
	v_mov_b32_e32 v3, s11
	global_store_byte v[0:1], v3, off
.LBB134_461:
	s_mov_b64 s[6:7], 0
.LBB134_462:
	s_andn2_b64 vcc, exec, s[6:7]
	s_cbranch_vccnz .LBB134_474
; %bb.463:
	s_lshl_b32 s6, s11, 24
	s_and_b32 s7, s6, 0x80000000
	s_and_b32 s6, s6, 0x7f000000
	s_flbit_i32_b32 s12, s6
	s_min_u32 s12, s12, 32
	v_sub_u32_e64 v3, s12, 4 clamp
	v_readfirstlane_b32 s13, v3
	s_lshl_b32 s14, s6, s13
	s_add_i32 s12, s6, 0x1000000
	s_lshr_b32 s14, s14, 4
	s_lshl_b32 s13, s13, 23
	s_ashr_i32 s12, s12, 8
	s_sub_i32 s13, s14, s13
	s_and_b32 s12, s12, 0x7f800000
	s_add_i32 s13, s13, 0x3c000000
	s_or_b32 s12, s13, s12
	s_cmp_lg_u32 s6, 0
	s_cselect_b32 s6, s12, 0
	s_or_b32 s12, s6, s7
	s_and_b32 s13, s12, 0x7fffffff
	s_cmp_lt_u32 s13, 0x47800000
	s_cbranch_scc0 .LBB134_466
; %bb.464:
	s_cmp_gt_u32 s13, 0x387fffff
	s_cbranch_scc0 .LBB134_467
; %bb.465:
	s_bfe_u32 s6, s6, 0x10015
	s_add_i32 s6, s12, s6
	s_add_i32 s6, s6, 0x80fffff
	s_lshr_b32 s14, s6, 21
	s_mov_b64 s[6:7], 0
	s_branch .LBB134_468
.LBB134_466:
	s_mov_b64 s[6:7], -1
                                        ; implicit-def: $vgpr3
	s_branch .LBB134_471
.LBB134_467:
	s_mov_b64 s[6:7], -1
                                        ; implicit-def: $sgpr14
.LBB134_468:
	s_andn2_b64 vcc, exec, s[6:7]
	v_mov_b32_e32 v3, s14
	s_cbranch_vccnz .LBB134_470
; %bb.469:
	v_mov_b32_e32 v3, 0x43000000
	v_add_f32_e64 v3, |s12|, v3
.LBB134_470:
	s_mov_b64 s[6:7], 0
.LBB134_471:
	s_andn2_b64 vcc, exec, s[6:7]
	s_cbranch_vccnz .LBB134_473
; %bb.472:
	s_cmp_gt_u32 s13, 0x7f800000
	s_movk_i32 s6, 0x7f
	s_cselect_b32 s6, s6, 0x7c
	v_mov_b32_e32 v3, s6
.LBB134_473:
	s_lshr_b32 s6, s12, 24
	s_and_b32 s6, s6, 0x80
	v_or_b32_e32 v3, s6, v3
	global_store_byte v[0:1], v3, off
.LBB134_474:
	s_mov_b64 s[6:7], 0
	s_mov_b64 s[12:13], -1
.LBB134_475:
	s_andn2_b64 vcc, exec, s[6:7]
	s_mov_b64 s[6:7], 0
	s_cbranch_vccnz .LBB134_482
; %bb.476:
	s_cmp_gt_i32 s18, 14
	s_mov_b64 s[14:15], -1
	s_cbranch_scc0 .LBB134_480
; %bb.477:
	s_cmp_eq_u32 s18, 15
	s_mov_b64 s[4:5], -1
	s_cbranch_scc0 .LBB134_479
; %bb.478:
	s_lshl_b32 s4, s11, 24
	s_and_b32 s5, s4, 0x80000000
	s_and_b32 s4, s4, 0x7f000000
	s_flbit_i32_b32 s6, s4
	s_min_u32 s6, s6, 32
	v_sub_u32_e64 v3, s6, 4 clamp
	v_readfirstlane_b32 s7, v3
	s_lshl_b32 s12, s4, s7
	s_add_i32 s6, s4, 0x1000000
	s_lshr_b32 s12, s12, 4
	s_lshl_b32 s7, s7, 23
	s_ashr_i32 s6, s6, 8
	s_sub_i32 s7, s12, s7
	s_and_b32 s6, s6, 0x7f800000
	s_add_i32 s7, s7, 0x3c000000
	s_or_b32 s6, s7, s6
	s_cmp_lg_u32 s4, 0
	s_cselect_b32 s4, s6, 0
	s_or_b32 s5, s4, s5
	s_bfe_u32 s4, s4, 0x10010
	s_add_i32 s4, s5, s4
	s_addk_i32 s4, 0x7fff
	s_lshr_b32 s6, s4, 16
	v_cmp_o_f32_e64 s[4:5], s5, s5
	s_and_b64 s[4:5], s[4:5], exec
	s_cselect_b32 s4, s6, 0x7fc0
	v_mov_b32_e32 v3, s4
	global_store_short v[0:1], v3, off
	s_mov_b64 s[4:5], 0
	s_mov_b64 s[12:13], -1
.LBB134_479:
	s_mov_b64 s[14:15], 0
.LBB134_480:
	s_mov_b64 s[6:7], 0
	s_and_b64 vcc, exec, s[14:15]
	s_cbranch_vccz .LBB134_482
; %bb.481:
	s_cmp_lg_u32 s18, 11
	s_mov_b64 s[6:7], -1
	s_cselect_b64 s[4:5], -1, 0
.LBB134_482:
	s_and_b64 vcc, exec, s[4:5]
	s_mov_b64 s[4:5], s[0:1]
	s_cbranch_vccnz .LBB134_554
; %bb.483:
	s_andn2_b64 vcc, exec, s[6:7]
	s_cbranch_vccnz .LBB134_485
.LBB134_484:
	s_and_b32 s6, s11, 0x7f
	s_cmp_lg_u32 s6, 0
	s_cselect_b64 s[6:7], -1, 0
	v_cndmask_b32_e64 v3, 0, 1, s[6:7]
	s_mov_b64 s[12:13], -1
	global_store_byte v[0:1], v3, off
.LBB134_485:
	s_branch .LBB134_437
.LBB134_486:
	s_cmp_lt_i32 s18, 5
	s_mov_b64 s[6:7], -1
	s_cbranch_scc1 .LBB134_507
; %bb.487:
	s_cmp_lt_i32 s18, 8
	s_cbranch_scc1 .LBB134_497
; %bb.488:
	s_cmp_lt_i32 s18, 9
	s_cbranch_scc1 .LBB134_494
; %bb.489:
	s_cmp_gt_i32 s18, 9
	s_cbranch_scc0 .LBB134_491
; %bb.490:
	s_lshl_b32 s6, s11, 24
	s_and_b32 s7, s6, 0x80000000
	s_and_b32 s6, s6, 0x7f000000
	s_flbit_i32_b32 s12, s6
	s_min_u32 s12, s12, 32
	v_sub_u32_e64 v3, s12, 4 clamp
	v_readfirstlane_b32 s13, v3
	s_lshl_b32 s14, s6, s13
	s_add_i32 s12, s6, 0x1000000
	s_lshr_b32 s14, s14, 4
	s_lshl_b32 s13, s13, 23
	s_ashr_i32 s12, s12, 8
	s_sub_i32 s13, s14, s13
	s_and_b32 s12, s12, 0x7f800000
	s_add_i32 s13, s13, 0x3c000000
	s_or_b32 s12, s13, s12
	s_cmp_lg_u32 s6, 0
	s_cselect_b32 s6, s12, 0
	s_or_b32 s6, s6, s7
	v_cvt_f64_f32_e32 v[3:4], s6
	v_mov_b32_e32 v5, 0
	v_mov_b32_e32 v6, v5
	s_mov_b64 s[6:7], 0
	global_store_dwordx4 v[0:1], v[3:6], off
.LBB134_491:
	s_andn2_b64 vcc, exec, s[6:7]
	s_cbranch_vccnz .LBB134_493
; %bb.492:
	s_lshl_b32 s6, s11, 24
	s_and_b32 s7, s6, 0x80000000
	s_and_b32 s6, s6, 0x7f000000
	s_flbit_i32_b32 s12, s6
	s_min_u32 s12, s12, 32
	v_sub_u32_e64 v3, s12, 4 clamp
	v_readfirstlane_b32 s13, v3
	s_lshl_b32 s14, s6, s13
	s_add_i32 s12, s6, 0x1000000
	s_lshr_b32 s14, s14, 4
	s_lshl_b32 s13, s13, 23
	s_ashr_i32 s12, s12, 8
	s_sub_i32 s13, s14, s13
	s_and_b32 s12, s12, 0x7f800000
	s_add_i32 s13, s13, 0x3c000000
	s_or_b32 s12, s13, s12
	s_cmp_lg_u32 s6, 0
	s_cselect_b32 s6, s12, 0
	s_or_b32 s6, s6, s7
	v_mov_b32_e32 v3, s6
	v_mov_b32_e32 v4, 0
	global_store_dwordx2 v[0:1], v[3:4], off
.LBB134_493:
	s_mov_b64 s[6:7], 0
.LBB134_494:
	s_andn2_b64 vcc, exec, s[6:7]
	s_cbranch_vccnz .LBB134_496
; %bb.495:
	s_lshl_b32 s6, s11, 24
	s_and_b32 s7, s6, 0x80000000
	s_and_b32 s6, s6, 0x7f000000
	s_flbit_i32_b32 s12, s6
	s_min_u32 s12, s12, 32
	v_sub_u32_e64 v3, s12, 4 clamp
	v_readfirstlane_b32 s13, v3
	s_lshl_b32 s14, s6, s13
	s_add_i32 s12, s6, 0x1000000
	s_lshr_b32 s14, s14, 4
	s_lshl_b32 s13, s13, 23
	s_ashr_i32 s12, s12, 8
	s_sub_i32 s13, s14, s13
	s_and_b32 s12, s12, 0x7f800000
	s_add_i32 s13, s13, 0x3c000000
	s_or_b32 s12, s13, s12
	s_cmp_lg_u32 s6, 0
	s_cselect_b32 s6, s12, 0
	s_or_b32 s6, s6, s7
	v_cvt_f16_f32_e32 v3, s6
	global_store_dword v[0:1], v3, off
.LBB134_496:
	s_mov_b64 s[6:7], 0
.LBB134_497:
	s_andn2_b64 vcc, exec, s[6:7]
	s_cbranch_vccnz .LBB134_506
; %bb.498:
	s_cmp_lt_i32 s18, 6
	s_mov_b64 s[6:7], -1
	s_cbranch_scc1 .LBB134_504
; %bb.499:
	s_cmp_gt_i32 s18, 6
	s_cbranch_scc0 .LBB134_501
; %bb.500:
	s_lshl_b32 s6, s11, 24
	s_and_b32 s7, s6, 0x80000000
	s_and_b32 s6, s6, 0x7f000000
	s_flbit_i32_b32 s12, s6
	s_min_u32 s12, s12, 32
	v_sub_u32_e64 v3, s12, 4 clamp
	v_readfirstlane_b32 s13, v3
	s_lshl_b32 s14, s6, s13
	s_add_i32 s12, s6, 0x1000000
	s_lshr_b32 s14, s14, 4
	s_lshl_b32 s13, s13, 23
	s_ashr_i32 s12, s12, 8
	s_sub_i32 s13, s14, s13
	s_and_b32 s12, s12, 0x7f800000
	s_add_i32 s13, s13, 0x3c000000
	s_or_b32 s12, s13, s12
	s_cmp_lg_u32 s6, 0
	s_cselect_b32 s6, s12, 0
	s_or_b32 s6, s6, s7
	v_cvt_f64_f32_e32 v[3:4], s6
	s_mov_b64 s[6:7], 0
	global_store_dwordx2 v[0:1], v[3:4], off
.LBB134_501:
	s_andn2_b64 vcc, exec, s[6:7]
	s_cbranch_vccnz .LBB134_503
; %bb.502:
	s_lshl_b32 s6, s11, 24
	s_and_b32 s7, s6, 0x80000000
	s_and_b32 s6, s6, 0x7f000000
	s_flbit_i32_b32 s12, s6
	s_min_u32 s12, s12, 32
	v_sub_u32_e64 v3, s12, 4 clamp
	v_readfirstlane_b32 s13, v3
	s_lshl_b32 s14, s6, s13
	s_add_i32 s12, s6, 0x1000000
	s_lshr_b32 s14, s14, 4
	s_lshl_b32 s13, s13, 23
	s_ashr_i32 s12, s12, 8
	s_sub_i32 s13, s14, s13
	s_and_b32 s12, s12, 0x7f800000
	s_add_i32 s13, s13, 0x3c000000
	s_or_b32 s12, s13, s12
	s_cmp_lg_u32 s6, 0
	s_cselect_b32 s6, s12, 0
	s_or_b32 s6, s6, s7
	v_mov_b32_e32 v3, s6
	global_store_dword v[0:1], v3, off
.LBB134_503:
	s_mov_b64 s[6:7], 0
.LBB134_504:
	s_andn2_b64 vcc, exec, s[6:7]
	s_cbranch_vccnz .LBB134_506
; %bb.505:
	s_lshl_b32 s6, s11, 24
	s_and_b32 s7, s6, 0x80000000
	s_and_b32 s6, s6, 0x7f000000
	s_flbit_i32_b32 s12, s6
	s_min_u32 s12, s12, 32
	v_sub_u32_e64 v3, s12, 4 clamp
	v_readfirstlane_b32 s13, v3
	s_lshl_b32 s14, s6, s13
	s_add_i32 s12, s6, 0x1000000
	s_lshr_b32 s14, s14, 4
	s_lshl_b32 s13, s13, 23
	s_ashr_i32 s12, s12, 8
	s_sub_i32 s13, s14, s13
	s_and_b32 s12, s12, 0x7f800000
	s_add_i32 s13, s13, 0x3c000000
	s_or_b32 s12, s13, s12
	s_cmp_lg_u32 s6, 0
	s_cselect_b32 s6, s12, 0
	s_or_b32 s6, s6, s7
	v_cvt_f16_f32_e32 v3, s6
	global_store_short v[0:1], v3, off
.LBB134_506:
	s_mov_b64 s[6:7], 0
.LBB134_507:
	s_andn2_b64 vcc, exec, s[6:7]
	s_cbranch_vccnz .LBB134_523
; %bb.508:
	s_cmp_lt_i32 s18, 2
	s_mov_b64 s[6:7], -1
	s_cbranch_scc1 .LBB134_518
; %bb.509:
	s_cmp_lt_i32 s18, 3
	s_cbranch_scc1 .LBB134_515
; %bb.510:
	s_cmp_gt_i32 s18, 3
	s_cbranch_scc0 .LBB134_512
; %bb.511:
	s_lshl_b32 s6, s11, 24
	s_and_b32 s7, s6, 0x80000000
	s_and_b32 s6, s6, 0x7f000000
	s_flbit_i32_b32 s12, s6
	s_min_u32 s12, s12, 32
	v_sub_u32_e64 v3, s12, 4 clamp
	v_readfirstlane_b32 s13, v3
	s_lshl_b32 s14, s6, s13
	s_add_i32 s12, s6, 0x1000000
	s_lshr_b32 s14, s14, 4
	s_lshl_b32 s13, s13, 23
	s_ashr_i32 s12, s12, 8
	s_sub_i32 s13, s14, s13
	s_and_b32 s12, s12, 0x7f800000
	s_add_i32 s13, s13, 0x3c000000
	s_or_b32 s12, s13, s12
	s_cmp_lg_u32 s6, 0
	s_cselect_b32 s6, s12, 0
	s_or_b32 s6, s6, s7
	v_trunc_f32_e32 v3, s6
	s_mov_b32 s6, 0x2f800000
	v_mul_f32_e64 v4, |v3|, s6
	v_floor_f32_e32 v4, v4
	s_mov_b32 s6, 0xcf800000
	v_fma_f32 v5, v4, s6, |v3|
	v_cvt_u32_f32_e32 v5, v5
	v_cvt_u32_f32_e32 v4, v4
	v_ashrrev_i32_e32 v6, 31, v3
	s_mov_b64 s[6:7], 0
	v_xor_b32_e32 v3, v5, v6
	v_xor_b32_e32 v4, v4, v6
	v_sub_co_u32_e32 v3, vcc, v3, v6
	v_subb_co_u32_e32 v4, vcc, v4, v6, vcc
	global_store_dwordx2 v[0:1], v[3:4], off
.LBB134_512:
	s_andn2_b64 vcc, exec, s[6:7]
	s_cbranch_vccnz .LBB134_514
; %bb.513:
	s_lshl_b32 s6, s11, 24
	s_and_b32 s7, s6, 0x80000000
	s_and_b32 s6, s6, 0x7f000000
	s_flbit_i32_b32 s12, s6
	s_min_u32 s12, s12, 32
	v_sub_u32_e64 v3, s12, 4 clamp
	v_readfirstlane_b32 s13, v3
	s_lshl_b32 s14, s6, s13
	s_add_i32 s12, s6, 0x1000000
	s_lshr_b32 s14, s14, 4
	s_lshl_b32 s13, s13, 23
	s_ashr_i32 s12, s12, 8
	s_sub_i32 s13, s14, s13
	s_and_b32 s12, s12, 0x7f800000
	s_add_i32 s13, s13, 0x3c000000
	s_or_b32 s12, s13, s12
	s_cmp_lg_u32 s6, 0
	s_cselect_b32 s6, s12, 0
	s_or_b32 s6, s6, s7
	v_cvt_i32_f32_e32 v3, s6
	global_store_dword v[0:1], v3, off
.LBB134_514:
	s_mov_b64 s[6:7], 0
.LBB134_515:
	s_andn2_b64 vcc, exec, s[6:7]
	s_cbranch_vccnz .LBB134_517
; %bb.516:
	s_lshl_b32 s6, s11, 24
	s_and_b32 s7, s6, 0x80000000
	s_and_b32 s6, s6, 0x7f000000
	s_flbit_i32_b32 s12, s6
	s_min_u32 s12, s12, 32
	v_sub_u32_e64 v3, s12, 4 clamp
	v_readfirstlane_b32 s13, v3
	s_lshl_b32 s14, s6, s13
	s_add_i32 s12, s6, 0x1000000
	s_lshr_b32 s14, s14, 4
	s_lshl_b32 s13, s13, 23
	s_ashr_i32 s12, s12, 8
	s_sub_i32 s13, s14, s13
	s_and_b32 s12, s12, 0x7f800000
	s_add_i32 s13, s13, 0x3c000000
	s_or_b32 s12, s13, s12
	s_cmp_lg_u32 s6, 0
	s_cselect_b32 s6, s12, 0
	s_or_b32 s6, s6, s7
	v_cvt_i32_f32_e32 v3, s6
	global_store_short v[0:1], v3, off
.LBB134_517:
	s_mov_b64 s[6:7], 0
.LBB134_518:
	s_andn2_b64 vcc, exec, s[6:7]
	s_cbranch_vccnz .LBB134_523
; %bb.519:
	s_cmp_gt_i32 s18, 0
	s_mov_b64 s[6:7], -1
	s_cbranch_scc0 .LBB134_521
; %bb.520:
	s_lshl_b32 s6, s11, 24
	s_and_b32 s7, s6, 0x80000000
	s_and_b32 s6, s6, 0x7f000000
	s_flbit_i32_b32 s12, s6
	s_min_u32 s12, s12, 32
	v_sub_u32_e64 v3, s12, 4 clamp
	v_readfirstlane_b32 s13, v3
	s_lshl_b32 s14, s6, s13
	s_add_i32 s12, s6, 0x1000000
	s_lshr_b32 s14, s14, 4
	s_lshl_b32 s13, s13, 23
	s_ashr_i32 s12, s12, 8
	s_sub_i32 s13, s14, s13
	s_and_b32 s12, s12, 0x7f800000
	s_add_i32 s13, s13, 0x3c000000
	s_or_b32 s12, s13, s12
	s_cmp_lg_u32 s6, 0
	s_cselect_b32 s6, s12, 0
	s_or_b32 s6, s6, s7
	v_cvt_i32_f32_e32 v3, s6
	s_mov_b64 s[6:7], 0
	global_store_byte v[0:1], v3, off
.LBB134_521:
	s_andn2_b64 vcc, exec, s[6:7]
	s_cbranch_vccnz .LBB134_523
; %bb.522:
	s_lshl_b32 s6, s11, 24
	s_and_b32 s7, s6, 0x80000000
	s_and_b32 s6, s6, 0x7f000000
	s_flbit_i32_b32 s12, s6
	s_min_u32 s12, s12, 32
	v_sub_u32_e64 v3, s12, 4 clamp
	v_readfirstlane_b32 s13, v3
	s_lshl_b32 s14, s6, s13
	s_add_i32 s12, s6, 0x1000000
	s_lshr_b32 s14, s14, 4
	s_lshl_b32 s13, s13, 23
	s_ashr_i32 s12, s12, 8
	s_sub_i32 s13, s14, s13
	s_and_b32 s12, s12, 0x7f800000
	s_add_i32 s13, s13, 0x3c000000
	s_or_b32 s12, s13, s12
	s_cmp_lg_u32 s6, 0
	s_cselect_b32 s6, s12, 0
	s_or_b32 s6, s6, s7
	v_trunc_f32_e32 v3, s6
	s_mov_b32 s6, 0x2f800000
	v_mul_f32_e64 v4, |v3|, s6
	v_floor_f32_e32 v4, v4
	s_mov_b32 s6, 0xcf800000
	v_fma_f32 v4, v4, s6, |v3|
	v_cvt_u32_f32_e32 v4, v4
	v_ashrrev_i32_e32 v3, 31, v3
	v_xor_b32_e32 v4, v4, v3
	v_sub_u32_e32 v3, v4, v3
	global_store_byte v[0:1], v3, off
.LBB134_523:
.LBB134_524:
	s_lshl_b32 s10, s10, 7
	v_add_u32_e32 v2, s10, v2
	v_ashrrev_i32_e32 v1, 31, v2
	v_mov_b32_e32 v3, s9
	v_add_co_u32_e32 v0, vcc, s8, v2
	s_cmp_lt_i32 s18, 11
	v_addc_co_u32_e32 v1, vcc, v3, v1, vcc
	s_cbranch_scc1 .LBB134_552
; %bb.525:
	s_mov_b64 s[16:17], -1
	s_mov_b64 s[12:13], 0
	s_cmp_gt_i32 s18, 25
	s_mov_b64 s[14:15], 0
	s_mov_b64 s[6:7], 0
	s_cbranch_scc0 .LBB134_563
; %bb.526:
	s_cmp_gt_i32 s18, 28
	s_cbranch_scc0 .LBB134_541
; %bb.527:
	s_cmp_gt_i32 s18, 43
	;; [unrolled: 3-line block ×3, first 2 shown]
	s_cbranch_scc0 .LBB134_531
; %bb.529:
	s_mov_b64 s[6:7], -1
	s_mov_b64 s[16:17], 0
	s_cmp_eq_u32 s18, 46
	s_cbranch_scc0 .LBB134_531
; %bb.530:
	s_lshl_b32 s6, s11, 24
	s_and_b32 s7, s6, 0x80000000
	s_and_b32 s6, s6, 0x7f000000
	s_flbit_i32_b32 s14, s6
	s_min_u32 s14, s14, 32
	v_sub_u32_e64 v3, s14, 4 clamp
	v_readfirstlane_b32 s15, v3
	s_lshl_b32 s19, s6, s15
	s_add_i32 s14, s6, 0x1000000
	s_lshr_b32 s19, s19, 4
	s_lshl_b32 s15, s15, 23
	s_ashr_i32 s14, s14, 8
	s_sub_i32 s15, s19, s15
	s_and_b32 s14, s14, 0x7f800000
	s_add_i32 s15, s15, 0x3c000000
	s_or_b32 s14, s15, s14
	s_cmp_lg_u32 s6, 0
	s_cselect_b32 s6, s14, 0
	s_or_b32 s7, s6, s7
	s_bfe_u32 s6, s6, 0x10010
	s_add_i32 s6, s7, s6
	s_addk_i32 s6, 0x7fff
	s_lshr_b32 s14, s6, 16
	v_cmp_o_f32_e64 s[6:7], s7, s7
	s_and_b64 s[6:7], s[6:7], exec
	s_cselect_b32 s6, s14, 0x7fc0
	v_mov_b32_e32 v3, s6
	global_store_dword v[0:1], v3, off
	s_mov_b64 s[6:7], 0
	s_mov_b64 s[14:15], -1
.LBB134_531:
	s_and_b64 vcc, exec, s[16:17]
	s_cbranch_vccz .LBB134_536
; %bb.532:
	s_cmp_eq_u32 s18, 44
	s_mov_b64 s[6:7], -1
	s_cbranch_scc0 .LBB134_536
; %bb.533:
	s_lshl_b32 s6, s11, 24
	s_and_b32 s6, s6, 0x7f000000
	s_flbit_i32_b32 s7, s6
	s_min_u32 s7, s7, 32
	v_sub_u32_e64 v3, s7, 4 clamp
	v_readfirstlane_b32 s14, v3
	s_lshl_b32 s15, s6, s14
	s_add_i32 s7, s6, 0x1000000
	s_lshr_b32 s15, s15, 4
	s_lshl_b32 s14, s14, 23
	s_ashr_i32 s7, s7, 8
	s_sub_i32 s14, s15, s14
	s_and_b32 s7, s7, 0x7f800000
	s_add_i32 s14, s14, 0x3c000000
	s_or_b32 s7, s14, s7
	s_cmp_lg_u32 s6, 0
	s_cselect_b32 s7, s7, 0
	s_lshr_b32 s6, s7, 23
	s_cmpk_eq_i32 s6, 0xff
	v_mov_b32_e32 v3, 0xff
	s_cbranch_scc1 .LBB134_535
; %bb.534:
	s_bitcmp1_b32 s7, 22
	s_cselect_b64 s[14:15], -1, 0
	s_and_b32 s7, s7, 0x3fffff
	s_or_b32 s7, s6, s7
	s_cmp_lg_u32 s7, 0
	s_cselect_b64 s[16:17], -1, 0
	s_and_b64 s[14:15], s[14:15], s[16:17]
	v_cndmask_b32_e64 v3, 0, 1, s[14:15]
	v_add_u32_e32 v3, s6, v3
.LBB134_535:
	s_mov_b64 s[6:7], 0
	s_mov_b64 s[14:15], -1
	global_store_byte v[0:1], v3, off
.LBB134_536:
	s_mov_b64 s[16:17], 0
.LBB134_537:
	s_and_b64 vcc, exec, s[16:17]
	s_cbranch_vccz .LBB134_540
; %bb.538:
	s_cmp_eq_u32 s18, 29
	s_mov_b64 s[6:7], -1
	s_cbranch_scc0 .LBB134_540
; %bb.539:
	s_lshl_b32 s6, s11, 24
	s_and_b32 s7, s6, 0x80000000
	s_and_b32 s6, s6, 0x7f000000
	s_flbit_i32_b32 s14, s6
	s_min_u32 s14, s14, 32
	v_sub_u32_e64 v3, s14, 4 clamp
	v_readfirstlane_b32 s15, v3
	s_lshl_b32 s16, s6, s15
	s_add_i32 s14, s6, 0x1000000
	s_lshr_b32 s16, s16, 4
	s_lshl_b32 s15, s15, 23
	s_ashr_i32 s14, s14, 8
	s_sub_i32 s15, s16, s15
	s_and_b32 s14, s14, 0x7f800000
	s_add_i32 s15, s15, 0x3c000000
	s_or_b32 s14, s15, s14
	s_cmp_lg_u32 s6, 0
	s_cselect_b32 s6, s14, 0
	s_or_b32 s6, s6, s7
	v_trunc_f32_e32 v3, s6
	v_mul_f32_e32 v4, 0x2f800000, v3
	v_floor_f32_e32 v4, v4
	v_fmac_f32_e32 v3, 0xcf800000, v4
	v_cvt_u32_f32_e32 v3, v3
	v_cvt_u32_f32_e32 v4, v4
	s_mov_b64 s[6:7], 0
	s_mov_b64 s[14:15], -1
	global_store_dwordx2 v[0:1], v[3:4], off
.LBB134_540:
	s_mov_b64 s[16:17], 0
.LBB134_541:
	s_and_b64 vcc, exec, s[16:17]
	s_cbranch_vccz .LBB134_562
; %bb.542:
	s_cmp_lt_i32 s18, 27
	s_mov_b64 s[14:15], -1
	s_cbranch_scc1 .LBB134_548
; %bb.543:
	s_cmp_gt_i32 s18, 27
	s_cbranch_scc0 .LBB134_545
; %bb.544:
	s_lshl_b32 s14, s11, 24
	s_and_b32 s15, s14, 0x80000000
	s_and_b32 s14, s14, 0x7f000000
	s_flbit_i32_b32 s16, s14
	s_min_u32 s16, s16, 32
	v_sub_u32_e64 v3, s16, 4 clamp
	v_readfirstlane_b32 s17, v3
	s_lshl_b32 s19, s14, s17
	s_add_i32 s16, s14, 0x1000000
	s_lshr_b32 s19, s19, 4
	s_lshl_b32 s17, s17, 23
	s_ashr_i32 s16, s16, 8
	s_sub_i32 s17, s19, s17
	s_and_b32 s16, s16, 0x7f800000
	s_add_i32 s17, s17, 0x3c000000
	s_or_b32 s16, s17, s16
	s_cmp_lg_u32 s14, 0
	s_cselect_b32 s14, s16, 0
	s_or_b32 s14, s14, s15
	v_cvt_u32_f32_e32 v3, s14
	s_mov_b64 s[14:15], 0
	global_store_dword v[0:1], v3, off
.LBB134_545:
	s_andn2_b64 vcc, exec, s[14:15]
	s_cbranch_vccnz .LBB134_547
; %bb.546:
	s_lshl_b32 s14, s11, 24
	s_and_b32 s15, s14, 0x80000000
	s_and_b32 s14, s14, 0x7f000000
	s_flbit_i32_b32 s16, s14
	s_min_u32 s16, s16, 32
	v_sub_u32_e64 v3, s16, 4 clamp
	v_readfirstlane_b32 s17, v3
	s_lshl_b32 s19, s14, s17
	s_add_i32 s16, s14, 0x1000000
	s_lshr_b32 s19, s19, 4
	s_lshl_b32 s17, s17, 23
	s_ashr_i32 s16, s16, 8
	s_sub_i32 s17, s19, s17
	s_and_b32 s16, s16, 0x7f800000
	s_add_i32 s17, s17, 0x3c000000
	s_or_b32 s16, s17, s16
	s_cmp_lg_u32 s14, 0
	s_cselect_b32 s14, s16, 0
	s_or_b32 s14, s14, s15
	v_cvt_u32_f32_e32 v3, s14
	global_store_short v[0:1], v3, off
.LBB134_547:
	s_mov_b64 s[14:15], 0
.LBB134_548:
	s_andn2_b64 vcc, exec, s[14:15]
	s_cbranch_vccnz .LBB134_561
; %bb.549:
	s_lshl_b32 s14, s11, 24
	s_and_b32 s15, s14, 0x80000000
	s_and_b32 s14, s14, 0x7f000000
	s_flbit_i32_b32 s16, s14
	s_min_u32 s16, s16, 32
	v_sub_u32_e64 v3, s16, 4 clamp
	v_readfirstlane_b32 s17, v3
	s_lshl_b32 s19, s14, s17
	s_add_i32 s16, s14, 0x1000000
	s_lshr_b32 s19, s19, 4
	s_lshl_b32 s17, s17, 23
	s_ashr_i32 s16, s16, 8
	s_sub_i32 s17, s19, s17
	s_and_b32 s16, s16, 0x7f800000
	s_add_i32 s17, s17, 0x3c000000
	s_or_b32 s16, s17, s16
	s_cmp_lg_u32 s14, 0
	s_cselect_b32 s14, s16, 0
	s_or_b32 s19, s14, s15
	s_and_b32 s15, s19, 0x7fffffff
	s_cmp_gt_u32 s15, 0x437fffff
	v_mov_b32_e32 v4, 0x80
	s_cbranch_scc1 .LBB134_560
; %bb.550:
	s_cmp_gt_u32 s15, 0x3bffffff
	s_cbranch_scc0 .LBB134_555
; %bb.551:
	s_bfe_u32 s14, s14, 0x10014
	s_add_i32 s14, s19, s14
	s_add_i32 s14, s14, 0x487ffff
	s_lshr_b32 s20, s14, 20
	s_mov_b64 s[16:17], 0
	s_mov_b64 s[14:15], -1
	s_branch .LBB134_556
.LBB134_552:
	s_mov_b64 s[14:15], 0
	s_cbranch_execnz .LBB134_603
.LBB134_553:
	s_andn2_b64 vcc, exec, s[14:15]
	s_cbranch_vccz .LBB134_641
	s_branch .LBB134_802
.LBB134_554:
	s_or_b64 s[4:5], s[0:1], exec
	s_trap 2
	s_cbranch_execz .LBB134_484
	s_branch .LBB134_485
.LBB134_555:
	s_mov_b64 s[16:17], -1
	s_mov_b64 s[14:15], 0
                                        ; implicit-def: $sgpr20
.LBB134_556:
	s_andn2_b64 vcc, exec, s[16:17]
	v_mov_b32_e32 v3, s20
	s_cbranch_vccnz .LBB134_558
; %bb.557:
	v_mov_b32_e32 v3, 0x46000000
	v_add_f32_e64 v3, |s19|, v3
	v_and_b32_e32 v3, 0xff, v3
	v_cmp_ne_u32_e64 s[14:15], 0, v3
.LBB134_558:
	s_andn2_b64 vcc, exec, s[14:15]
	v_mov_b32_e32 v4, 0
	s_cbranch_vccnz .LBB134_560
; %bb.559:
	s_lshr_b32 s14, s19, 24
	s_and_b32 s14, s14, 0x80
	v_or_b32_e32 v4, s14, v3
.LBB134_560:
	global_store_byte v[0:1], v4, off
.LBB134_561:
	s_mov_b64 s[14:15], -1
.LBB134_562:
	s_mov_b64 s[16:17], 0
.LBB134_563:
	s_and_b64 vcc, exec, s[16:17]
	s_cbranch_vccz .LBB134_599
; %bb.564:
	s_cmp_gt_i32 s18, 22
	s_mov_b64 s[12:13], -1
	s_cbranch_scc0 .LBB134_592
; %bb.565:
	s_cmp_lt_i32 s18, 24
	s_cbranch_scc1 .LBB134_579
; %bb.566:
	s_cmp_gt_i32 s18, 24
	s_cbranch_scc0 .LBB134_576
; %bb.567:
	s_lshl_b32 s12, s11, 24
	s_and_b32 s13, s12, 0x80000000
	s_and_b32 s12, s12, 0x7f000000
	s_flbit_i32_b32 s14, s12
	s_min_u32 s14, s14, 32
	v_sub_u32_e64 v3, s14, 4 clamp
	v_readfirstlane_b32 s15, v3
	s_lshl_b32 s16, s12, s15
	s_add_i32 s14, s12, 0x1000000
	s_lshr_b32 s16, s16, 4
	s_lshl_b32 s15, s15, 23
	s_ashr_i32 s14, s14, 8
	s_sub_i32 s15, s16, s15
	s_and_b32 s14, s14, 0x7f800000
	s_add_i32 s15, s15, 0x3c000000
	s_or_b32 s14, s15, s14
	s_cmp_lg_u32 s12, 0
	s_cselect_b32 s12, s14, 0
	s_or_b32 s16, s12, s13
	s_and_b32 s13, s16, 0x7fffffff
	s_cmp_gt_u32 s13, 0x477fffff
	v_mov_b32_e32 v4, 0x80
	s_cbranch_scc1 .LBB134_575
; %bb.568:
	s_cmp_gt_u32 s13, 0x37ffffff
	s_cbranch_scc0 .LBB134_570
; %bb.569:
	s_bfe_u32 s12, s12, 0x10015
	s_add_i32 s12, s16, s12
	s_add_i32 s12, s12, 0x88fffff
	s_lshr_b32 s17, s12, 21
	s_mov_b64 s[14:15], 0
	s_mov_b64 s[12:13], -1
	s_branch .LBB134_571
.LBB134_570:
	s_mov_b64 s[14:15], -1
	s_mov_b64 s[12:13], 0
                                        ; implicit-def: $sgpr17
.LBB134_571:
	s_andn2_b64 vcc, exec, s[14:15]
	v_mov_b32_e32 v3, s17
	s_cbranch_vccnz .LBB134_573
; %bb.572:
	v_mov_b32_e32 v3, 0x42800000
	v_add_f32_e64 v3, |s16|, v3
	v_and_b32_e32 v3, 0xff, v3
	v_cmp_ne_u32_e64 s[12:13], 0, v3
.LBB134_573:
	s_andn2_b64 vcc, exec, s[12:13]
	v_mov_b32_e32 v4, 0
	s_cbranch_vccnz .LBB134_575
; %bb.574:
	s_lshr_b32 s12, s16, 24
	s_and_b32 s12, s12, 0x80
	v_or_b32_e32 v4, s12, v3
.LBB134_575:
	s_mov_b64 s[12:13], 0
	global_store_byte v[0:1], v4, off
.LBB134_576:
	s_and_b64 vcc, exec, s[12:13]
	s_cbranch_vccz .LBB134_578
; %bb.577:
	v_mov_b32_e32 v3, s11
	global_store_byte v[0:1], v3, off
.LBB134_578:
	s_mov_b64 s[12:13], 0
.LBB134_579:
	s_andn2_b64 vcc, exec, s[12:13]
	s_cbranch_vccnz .LBB134_591
; %bb.580:
	s_lshl_b32 s12, s11, 24
	s_and_b32 s13, s12, 0x80000000
	s_and_b32 s12, s12, 0x7f000000
	s_flbit_i32_b32 s14, s12
	s_min_u32 s14, s14, 32
	v_sub_u32_e64 v3, s14, 4 clamp
	v_readfirstlane_b32 s15, v3
	s_lshl_b32 s16, s12, s15
	s_add_i32 s14, s12, 0x1000000
	s_lshr_b32 s16, s16, 4
	s_lshl_b32 s15, s15, 23
	s_ashr_i32 s14, s14, 8
	s_sub_i32 s15, s16, s15
	s_and_b32 s14, s14, 0x7f800000
	s_add_i32 s15, s15, 0x3c000000
	s_or_b32 s14, s15, s14
	s_cmp_lg_u32 s12, 0
	s_cselect_b32 s12, s14, 0
	s_or_b32 s14, s12, s13
	s_and_b32 s15, s14, 0x7fffffff
	s_cmp_lt_u32 s15, 0x47800000
	s_cbranch_scc0 .LBB134_583
; %bb.581:
	s_cmp_gt_u32 s15, 0x387fffff
	s_cbranch_scc0 .LBB134_584
; %bb.582:
	s_bfe_u32 s12, s12, 0x10015
	s_add_i32 s12, s14, s12
	s_add_i32 s12, s12, 0x80fffff
	s_lshr_b32 s16, s12, 21
	s_mov_b64 s[12:13], 0
	s_branch .LBB134_585
.LBB134_583:
	s_mov_b64 s[12:13], -1
                                        ; implicit-def: $vgpr3
	s_branch .LBB134_588
.LBB134_584:
	s_mov_b64 s[12:13], -1
                                        ; implicit-def: $sgpr16
.LBB134_585:
	s_andn2_b64 vcc, exec, s[12:13]
	v_mov_b32_e32 v3, s16
	s_cbranch_vccnz .LBB134_587
; %bb.586:
	v_mov_b32_e32 v3, 0x43000000
	v_add_f32_e64 v3, |s14|, v3
.LBB134_587:
	s_mov_b64 s[12:13], 0
.LBB134_588:
	s_andn2_b64 vcc, exec, s[12:13]
	s_cbranch_vccnz .LBB134_590
; %bb.589:
	s_cmp_gt_u32 s15, 0x7f800000
	s_movk_i32 s12, 0x7f
	s_cselect_b32 s12, s12, 0x7c
	v_mov_b32_e32 v3, s12
.LBB134_590:
	s_lshr_b32 s12, s14, 24
	s_and_b32 s12, s12, 0x80
	v_or_b32_e32 v3, s12, v3
	global_store_byte v[0:1], v3, off
.LBB134_591:
	s_mov_b64 s[12:13], 0
	s_mov_b64 s[14:15], -1
.LBB134_592:
	s_andn2_b64 vcc, exec, s[12:13]
	s_mov_b64 s[12:13], 0
	s_cbranch_vccnz .LBB134_599
; %bb.593:
	s_cmp_gt_i32 s18, 14
	s_mov_b64 s[16:17], -1
	s_cbranch_scc0 .LBB134_597
; %bb.594:
	s_cmp_eq_u32 s18, 15
	s_mov_b64 s[6:7], -1
	s_cbranch_scc0 .LBB134_596
; %bb.595:
	s_lshl_b32 s6, s11, 24
	s_and_b32 s7, s6, 0x80000000
	s_and_b32 s6, s6, 0x7f000000
	s_flbit_i32_b32 s12, s6
	s_min_u32 s12, s12, 32
	v_sub_u32_e64 v3, s12, 4 clamp
	v_readfirstlane_b32 s13, v3
	s_lshl_b32 s14, s6, s13
	s_add_i32 s12, s6, 0x1000000
	s_lshr_b32 s14, s14, 4
	s_lshl_b32 s13, s13, 23
	s_ashr_i32 s12, s12, 8
	s_sub_i32 s13, s14, s13
	s_and_b32 s12, s12, 0x7f800000
	s_add_i32 s13, s13, 0x3c000000
	s_or_b32 s12, s13, s12
	s_cmp_lg_u32 s6, 0
	s_cselect_b32 s6, s12, 0
	s_or_b32 s7, s6, s7
	s_bfe_u32 s6, s6, 0x10010
	s_add_i32 s6, s7, s6
	s_addk_i32 s6, 0x7fff
	s_lshr_b32 s12, s6, 16
	v_cmp_o_f32_e64 s[6:7], s7, s7
	s_and_b64 s[6:7], s[6:7], exec
	s_cselect_b32 s6, s12, 0x7fc0
	v_mov_b32_e32 v3, s6
	global_store_short v[0:1], v3, off
	s_mov_b64 s[6:7], 0
	s_mov_b64 s[14:15], -1
.LBB134_596:
	s_mov_b64 s[16:17], 0
.LBB134_597:
	s_mov_b64 s[12:13], 0
	s_and_b64 vcc, exec, s[16:17]
	s_cbranch_vccz .LBB134_599
; %bb.598:
	s_cmp_lg_u32 s18, 11
	s_mov_b64 s[12:13], -1
	s_cselect_b64 s[6:7], -1, 0
.LBB134_599:
	s_and_b64 vcc, exec, s[6:7]
	s_cbranch_vccnz .LBB134_701
; %bb.600:
	s_andn2_b64 vcc, exec, s[12:13]
	s_cbranch_vccnz .LBB134_602
.LBB134_601:
	s_and_b32 s6, s11, 0x7f
	s_cmp_lg_u32 s6, 0
	s_cselect_b64 s[6:7], -1, 0
	v_cndmask_b32_e64 v3, 0, 1, s[6:7]
	s_mov_b64 s[14:15], -1
	global_store_byte v[0:1], v3, off
.LBB134_602:
	s_branch .LBB134_553
.LBB134_603:
	s_cmp_lt_i32 s18, 5
	s_mov_b64 s[6:7], -1
	s_cbranch_scc1 .LBB134_624
; %bb.604:
	s_cmp_lt_i32 s18, 8
	s_cbranch_scc1 .LBB134_614
; %bb.605:
	s_cmp_lt_i32 s18, 9
	s_cbranch_scc1 .LBB134_611
; %bb.606:
	s_cmp_gt_i32 s18, 9
	s_cbranch_scc0 .LBB134_608
; %bb.607:
	s_lshl_b32 s6, s11, 24
	s_and_b32 s7, s6, 0x80000000
	s_and_b32 s6, s6, 0x7f000000
	s_flbit_i32_b32 s12, s6
	s_min_u32 s12, s12, 32
	v_sub_u32_e64 v3, s12, 4 clamp
	v_readfirstlane_b32 s13, v3
	s_lshl_b32 s14, s6, s13
	s_add_i32 s12, s6, 0x1000000
	s_lshr_b32 s14, s14, 4
	s_lshl_b32 s13, s13, 23
	s_ashr_i32 s12, s12, 8
	s_sub_i32 s13, s14, s13
	s_and_b32 s12, s12, 0x7f800000
	s_add_i32 s13, s13, 0x3c000000
	s_or_b32 s12, s13, s12
	s_cmp_lg_u32 s6, 0
	s_cselect_b32 s6, s12, 0
	s_or_b32 s6, s6, s7
	v_cvt_f64_f32_e32 v[3:4], s6
	v_mov_b32_e32 v5, 0
	v_mov_b32_e32 v6, v5
	s_mov_b64 s[6:7], 0
	global_store_dwordx4 v[0:1], v[3:6], off
.LBB134_608:
	s_andn2_b64 vcc, exec, s[6:7]
	s_cbranch_vccnz .LBB134_610
; %bb.609:
	s_lshl_b32 s6, s11, 24
	s_and_b32 s7, s6, 0x80000000
	s_and_b32 s6, s6, 0x7f000000
	s_flbit_i32_b32 s12, s6
	s_min_u32 s12, s12, 32
	v_sub_u32_e64 v3, s12, 4 clamp
	v_readfirstlane_b32 s13, v3
	s_lshl_b32 s14, s6, s13
	s_add_i32 s12, s6, 0x1000000
	s_lshr_b32 s14, s14, 4
	s_lshl_b32 s13, s13, 23
	s_ashr_i32 s12, s12, 8
	s_sub_i32 s13, s14, s13
	s_and_b32 s12, s12, 0x7f800000
	s_add_i32 s13, s13, 0x3c000000
	s_or_b32 s12, s13, s12
	s_cmp_lg_u32 s6, 0
	s_cselect_b32 s6, s12, 0
	s_or_b32 s6, s6, s7
	v_mov_b32_e32 v3, s6
	v_mov_b32_e32 v4, 0
	global_store_dwordx2 v[0:1], v[3:4], off
.LBB134_610:
	s_mov_b64 s[6:7], 0
.LBB134_611:
	s_andn2_b64 vcc, exec, s[6:7]
	s_cbranch_vccnz .LBB134_613
; %bb.612:
	s_lshl_b32 s6, s11, 24
	s_and_b32 s7, s6, 0x80000000
	s_and_b32 s6, s6, 0x7f000000
	s_flbit_i32_b32 s12, s6
	s_min_u32 s12, s12, 32
	v_sub_u32_e64 v3, s12, 4 clamp
	v_readfirstlane_b32 s13, v3
	s_lshl_b32 s14, s6, s13
	s_add_i32 s12, s6, 0x1000000
	s_lshr_b32 s14, s14, 4
	s_lshl_b32 s13, s13, 23
	s_ashr_i32 s12, s12, 8
	s_sub_i32 s13, s14, s13
	s_and_b32 s12, s12, 0x7f800000
	s_add_i32 s13, s13, 0x3c000000
	s_or_b32 s12, s13, s12
	s_cmp_lg_u32 s6, 0
	s_cselect_b32 s6, s12, 0
	s_or_b32 s6, s6, s7
	v_cvt_f16_f32_e32 v3, s6
	global_store_dword v[0:1], v3, off
.LBB134_613:
	s_mov_b64 s[6:7], 0
.LBB134_614:
	s_andn2_b64 vcc, exec, s[6:7]
	s_cbranch_vccnz .LBB134_623
; %bb.615:
	s_cmp_lt_i32 s18, 6
	s_mov_b64 s[6:7], -1
	s_cbranch_scc1 .LBB134_621
; %bb.616:
	s_cmp_gt_i32 s18, 6
	s_cbranch_scc0 .LBB134_618
; %bb.617:
	s_lshl_b32 s6, s11, 24
	s_and_b32 s7, s6, 0x80000000
	s_and_b32 s6, s6, 0x7f000000
	s_flbit_i32_b32 s12, s6
	s_min_u32 s12, s12, 32
	v_sub_u32_e64 v3, s12, 4 clamp
	v_readfirstlane_b32 s13, v3
	s_lshl_b32 s14, s6, s13
	s_add_i32 s12, s6, 0x1000000
	s_lshr_b32 s14, s14, 4
	s_lshl_b32 s13, s13, 23
	s_ashr_i32 s12, s12, 8
	s_sub_i32 s13, s14, s13
	s_and_b32 s12, s12, 0x7f800000
	s_add_i32 s13, s13, 0x3c000000
	s_or_b32 s12, s13, s12
	s_cmp_lg_u32 s6, 0
	s_cselect_b32 s6, s12, 0
	s_or_b32 s6, s6, s7
	v_cvt_f64_f32_e32 v[3:4], s6
	s_mov_b64 s[6:7], 0
	global_store_dwordx2 v[0:1], v[3:4], off
.LBB134_618:
	s_andn2_b64 vcc, exec, s[6:7]
	s_cbranch_vccnz .LBB134_620
; %bb.619:
	s_lshl_b32 s6, s11, 24
	s_and_b32 s7, s6, 0x80000000
	s_and_b32 s6, s6, 0x7f000000
	s_flbit_i32_b32 s12, s6
	s_min_u32 s12, s12, 32
	v_sub_u32_e64 v3, s12, 4 clamp
	v_readfirstlane_b32 s13, v3
	s_lshl_b32 s14, s6, s13
	s_add_i32 s12, s6, 0x1000000
	s_lshr_b32 s14, s14, 4
	s_lshl_b32 s13, s13, 23
	s_ashr_i32 s12, s12, 8
	s_sub_i32 s13, s14, s13
	s_and_b32 s12, s12, 0x7f800000
	s_add_i32 s13, s13, 0x3c000000
	s_or_b32 s12, s13, s12
	s_cmp_lg_u32 s6, 0
	s_cselect_b32 s6, s12, 0
	s_or_b32 s6, s6, s7
	v_mov_b32_e32 v3, s6
	global_store_dword v[0:1], v3, off
.LBB134_620:
	s_mov_b64 s[6:7], 0
.LBB134_621:
	s_andn2_b64 vcc, exec, s[6:7]
	s_cbranch_vccnz .LBB134_623
; %bb.622:
	s_lshl_b32 s6, s11, 24
	s_and_b32 s7, s6, 0x80000000
	s_and_b32 s6, s6, 0x7f000000
	s_flbit_i32_b32 s12, s6
	s_min_u32 s12, s12, 32
	v_sub_u32_e64 v3, s12, 4 clamp
	v_readfirstlane_b32 s13, v3
	s_lshl_b32 s14, s6, s13
	s_add_i32 s12, s6, 0x1000000
	s_lshr_b32 s14, s14, 4
	s_lshl_b32 s13, s13, 23
	s_ashr_i32 s12, s12, 8
	s_sub_i32 s13, s14, s13
	s_and_b32 s12, s12, 0x7f800000
	s_add_i32 s13, s13, 0x3c000000
	s_or_b32 s12, s13, s12
	s_cmp_lg_u32 s6, 0
	s_cselect_b32 s6, s12, 0
	s_or_b32 s6, s6, s7
	v_cvt_f16_f32_e32 v3, s6
	global_store_short v[0:1], v3, off
.LBB134_623:
	s_mov_b64 s[6:7], 0
.LBB134_624:
	s_andn2_b64 vcc, exec, s[6:7]
	s_cbranch_vccnz .LBB134_640
; %bb.625:
	s_cmp_lt_i32 s18, 2
	s_mov_b64 s[6:7], -1
	s_cbranch_scc1 .LBB134_635
; %bb.626:
	s_cmp_lt_i32 s18, 3
	s_cbranch_scc1 .LBB134_632
; %bb.627:
	s_cmp_gt_i32 s18, 3
	s_cbranch_scc0 .LBB134_629
; %bb.628:
	s_lshl_b32 s6, s11, 24
	s_and_b32 s7, s6, 0x80000000
	s_and_b32 s6, s6, 0x7f000000
	s_flbit_i32_b32 s12, s6
	s_min_u32 s12, s12, 32
	v_sub_u32_e64 v3, s12, 4 clamp
	v_readfirstlane_b32 s13, v3
	s_lshl_b32 s14, s6, s13
	s_add_i32 s12, s6, 0x1000000
	s_lshr_b32 s14, s14, 4
	s_lshl_b32 s13, s13, 23
	s_ashr_i32 s12, s12, 8
	s_sub_i32 s13, s14, s13
	s_and_b32 s12, s12, 0x7f800000
	s_add_i32 s13, s13, 0x3c000000
	s_or_b32 s12, s13, s12
	s_cmp_lg_u32 s6, 0
	s_cselect_b32 s6, s12, 0
	s_or_b32 s6, s6, s7
	v_trunc_f32_e32 v3, s6
	s_mov_b32 s6, 0x2f800000
	v_mul_f32_e64 v4, |v3|, s6
	v_floor_f32_e32 v4, v4
	s_mov_b32 s6, 0xcf800000
	v_fma_f32 v5, v4, s6, |v3|
	v_cvt_u32_f32_e32 v5, v5
	v_cvt_u32_f32_e32 v4, v4
	v_ashrrev_i32_e32 v6, 31, v3
	s_mov_b64 s[6:7], 0
	v_xor_b32_e32 v3, v5, v6
	v_xor_b32_e32 v4, v4, v6
	v_sub_co_u32_e32 v3, vcc, v3, v6
	v_subb_co_u32_e32 v4, vcc, v4, v6, vcc
	global_store_dwordx2 v[0:1], v[3:4], off
.LBB134_629:
	s_andn2_b64 vcc, exec, s[6:7]
	s_cbranch_vccnz .LBB134_631
; %bb.630:
	s_lshl_b32 s6, s11, 24
	s_and_b32 s7, s6, 0x80000000
	s_and_b32 s6, s6, 0x7f000000
	s_flbit_i32_b32 s12, s6
	s_min_u32 s12, s12, 32
	v_sub_u32_e64 v3, s12, 4 clamp
	v_readfirstlane_b32 s13, v3
	s_lshl_b32 s14, s6, s13
	s_add_i32 s12, s6, 0x1000000
	s_lshr_b32 s14, s14, 4
	s_lshl_b32 s13, s13, 23
	s_ashr_i32 s12, s12, 8
	s_sub_i32 s13, s14, s13
	s_and_b32 s12, s12, 0x7f800000
	s_add_i32 s13, s13, 0x3c000000
	s_or_b32 s12, s13, s12
	s_cmp_lg_u32 s6, 0
	s_cselect_b32 s6, s12, 0
	s_or_b32 s6, s6, s7
	v_cvt_i32_f32_e32 v3, s6
	global_store_dword v[0:1], v3, off
.LBB134_631:
	s_mov_b64 s[6:7], 0
.LBB134_632:
	s_andn2_b64 vcc, exec, s[6:7]
	s_cbranch_vccnz .LBB134_634
; %bb.633:
	s_lshl_b32 s6, s11, 24
	s_and_b32 s7, s6, 0x80000000
	s_and_b32 s6, s6, 0x7f000000
	s_flbit_i32_b32 s12, s6
	s_min_u32 s12, s12, 32
	v_sub_u32_e64 v3, s12, 4 clamp
	v_readfirstlane_b32 s13, v3
	s_lshl_b32 s14, s6, s13
	s_add_i32 s12, s6, 0x1000000
	s_lshr_b32 s14, s14, 4
	s_lshl_b32 s13, s13, 23
	s_ashr_i32 s12, s12, 8
	s_sub_i32 s13, s14, s13
	s_and_b32 s12, s12, 0x7f800000
	s_add_i32 s13, s13, 0x3c000000
	s_or_b32 s12, s13, s12
	s_cmp_lg_u32 s6, 0
	s_cselect_b32 s6, s12, 0
	s_or_b32 s6, s6, s7
	v_cvt_i32_f32_e32 v3, s6
	global_store_short v[0:1], v3, off
.LBB134_634:
	s_mov_b64 s[6:7], 0
.LBB134_635:
	s_andn2_b64 vcc, exec, s[6:7]
	s_cbranch_vccnz .LBB134_640
; %bb.636:
	s_cmp_gt_i32 s18, 0
	s_mov_b64 s[6:7], -1
	s_cbranch_scc0 .LBB134_638
; %bb.637:
	s_lshl_b32 s6, s11, 24
	s_and_b32 s7, s6, 0x80000000
	s_and_b32 s6, s6, 0x7f000000
	s_flbit_i32_b32 s12, s6
	s_min_u32 s12, s12, 32
	v_sub_u32_e64 v3, s12, 4 clamp
	v_readfirstlane_b32 s13, v3
	s_lshl_b32 s14, s6, s13
	s_add_i32 s12, s6, 0x1000000
	s_lshr_b32 s14, s14, 4
	s_lshl_b32 s13, s13, 23
	s_ashr_i32 s12, s12, 8
	s_sub_i32 s13, s14, s13
	s_and_b32 s12, s12, 0x7f800000
	s_add_i32 s13, s13, 0x3c000000
	s_or_b32 s12, s13, s12
	s_cmp_lg_u32 s6, 0
	s_cselect_b32 s6, s12, 0
	s_or_b32 s6, s6, s7
	v_cvt_i32_f32_e32 v3, s6
	s_mov_b64 s[6:7], 0
	global_store_byte v[0:1], v3, off
.LBB134_638:
	s_andn2_b64 vcc, exec, s[6:7]
	s_cbranch_vccnz .LBB134_640
; %bb.639:
	s_lshl_b32 s6, s11, 24
	s_and_b32 s7, s6, 0x80000000
	s_and_b32 s6, s6, 0x7f000000
	s_flbit_i32_b32 s12, s6
	s_min_u32 s12, s12, 32
	v_sub_u32_e64 v3, s12, 4 clamp
	v_readfirstlane_b32 s13, v3
	s_lshl_b32 s14, s6, s13
	s_add_i32 s12, s6, 0x1000000
	s_lshr_b32 s14, s14, 4
	s_lshl_b32 s13, s13, 23
	s_ashr_i32 s12, s12, 8
	s_sub_i32 s13, s14, s13
	s_and_b32 s12, s12, 0x7f800000
	s_add_i32 s13, s13, 0x3c000000
	s_or_b32 s12, s13, s12
	s_cmp_lg_u32 s6, 0
	s_cselect_b32 s6, s12, 0
	s_or_b32 s6, s6, s7
	v_trunc_f32_e32 v3, s6
	s_mov_b32 s6, 0x2f800000
	v_mul_f32_e64 v4, |v3|, s6
	v_floor_f32_e32 v4, v4
	s_mov_b32 s6, 0xcf800000
	v_fma_f32 v4, v4, s6, |v3|
	v_cvt_u32_f32_e32 v4, v4
	v_ashrrev_i32_e32 v3, 31, v3
	v_xor_b32_e32 v4, v4, v3
	v_sub_u32_e32 v3, v4, v3
	global_store_byte v[0:1], v3, off
.LBB134_640:
.LBB134_641:
	v_add_u32_e32 v2, s10, v2
	v_ashrrev_i32_e32 v1, 31, v2
	v_mov_b32_e32 v3, s9
	v_add_co_u32_e32 v0, vcc, s8, v2
	s_cmp_lt_i32 s18, 11
	v_addc_co_u32_e32 v1, vcc, v3, v1, vcc
	s_cbranch_scc1 .LBB134_669
; %bb.642:
	s_mov_b64 s[16:17], -1
	s_mov_b64 s[12:13], 0
	s_cmp_gt_i32 s18, 25
	s_mov_b64 s[14:15], 0
	s_mov_b64 s[6:7], 0
	s_cbranch_scc0 .LBB134_710
; %bb.643:
	s_cmp_gt_i32 s18, 28
	s_cbranch_scc0 .LBB134_658
; %bb.644:
	s_cmp_gt_i32 s18, 43
	;; [unrolled: 3-line block ×3, first 2 shown]
	s_cbranch_scc0 .LBB134_648
; %bb.646:
	s_mov_b64 s[6:7], -1
	s_mov_b64 s[16:17], 0
	s_cmp_eq_u32 s18, 46
	s_cbranch_scc0 .LBB134_648
; %bb.647:
	s_lshl_b32 s6, s11, 24
	s_and_b32 s7, s6, 0x80000000
	s_and_b32 s6, s6, 0x7f000000
	s_flbit_i32_b32 s14, s6
	s_min_u32 s14, s14, 32
	v_sub_u32_e64 v3, s14, 4 clamp
	v_readfirstlane_b32 s15, v3
	s_lshl_b32 s19, s6, s15
	s_add_i32 s14, s6, 0x1000000
	s_lshr_b32 s19, s19, 4
	s_lshl_b32 s15, s15, 23
	s_ashr_i32 s14, s14, 8
	s_sub_i32 s15, s19, s15
	s_and_b32 s14, s14, 0x7f800000
	s_add_i32 s15, s15, 0x3c000000
	s_or_b32 s14, s15, s14
	s_cmp_lg_u32 s6, 0
	s_cselect_b32 s6, s14, 0
	s_or_b32 s7, s6, s7
	s_bfe_u32 s6, s6, 0x10010
	s_add_i32 s6, s7, s6
	s_addk_i32 s6, 0x7fff
	s_lshr_b32 s14, s6, 16
	v_cmp_o_f32_e64 s[6:7], s7, s7
	s_and_b64 s[6:7], s[6:7], exec
	s_cselect_b32 s6, s14, 0x7fc0
	v_mov_b32_e32 v3, s6
	global_store_dword v[0:1], v3, off
	s_mov_b64 s[6:7], 0
	s_mov_b64 s[14:15], -1
.LBB134_648:
	s_and_b64 vcc, exec, s[16:17]
	s_cbranch_vccz .LBB134_653
; %bb.649:
	s_cmp_eq_u32 s18, 44
	s_mov_b64 s[6:7], -1
	s_cbranch_scc0 .LBB134_653
; %bb.650:
	s_lshl_b32 s6, s11, 24
	s_and_b32 s6, s6, 0x7f000000
	s_flbit_i32_b32 s7, s6
	s_min_u32 s7, s7, 32
	v_sub_u32_e64 v3, s7, 4 clamp
	v_readfirstlane_b32 s14, v3
	s_lshl_b32 s15, s6, s14
	s_add_i32 s7, s6, 0x1000000
	s_lshr_b32 s15, s15, 4
	s_lshl_b32 s14, s14, 23
	s_ashr_i32 s7, s7, 8
	s_sub_i32 s14, s15, s14
	s_and_b32 s7, s7, 0x7f800000
	s_add_i32 s14, s14, 0x3c000000
	s_or_b32 s7, s14, s7
	s_cmp_lg_u32 s6, 0
	s_cselect_b32 s7, s7, 0
	s_lshr_b32 s6, s7, 23
	s_cmpk_eq_i32 s6, 0xff
	v_mov_b32_e32 v3, 0xff
	s_cbranch_scc1 .LBB134_652
; %bb.651:
	s_bitcmp1_b32 s7, 22
	s_cselect_b64 s[14:15], -1, 0
	s_and_b32 s7, s7, 0x3fffff
	s_or_b32 s7, s6, s7
	s_cmp_lg_u32 s7, 0
	s_cselect_b64 s[16:17], -1, 0
	s_and_b64 s[14:15], s[14:15], s[16:17]
	v_cndmask_b32_e64 v3, 0, 1, s[14:15]
	v_add_u32_e32 v3, s6, v3
.LBB134_652:
	s_mov_b64 s[6:7], 0
	s_mov_b64 s[14:15], -1
	global_store_byte v[0:1], v3, off
.LBB134_653:
	s_mov_b64 s[16:17], 0
.LBB134_654:
	s_and_b64 vcc, exec, s[16:17]
	s_cbranch_vccz .LBB134_657
; %bb.655:
	s_cmp_eq_u32 s18, 29
	s_mov_b64 s[6:7], -1
	s_cbranch_scc0 .LBB134_657
; %bb.656:
	s_lshl_b32 s6, s11, 24
	s_and_b32 s7, s6, 0x80000000
	s_and_b32 s6, s6, 0x7f000000
	s_flbit_i32_b32 s14, s6
	s_min_u32 s14, s14, 32
	v_sub_u32_e64 v3, s14, 4 clamp
	v_readfirstlane_b32 s15, v3
	s_lshl_b32 s16, s6, s15
	s_add_i32 s14, s6, 0x1000000
	s_lshr_b32 s16, s16, 4
	s_lshl_b32 s15, s15, 23
	s_ashr_i32 s14, s14, 8
	s_sub_i32 s15, s16, s15
	s_and_b32 s14, s14, 0x7f800000
	s_add_i32 s15, s15, 0x3c000000
	s_or_b32 s14, s15, s14
	s_cmp_lg_u32 s6, 0
	s_cselect_b32 s6, s14, 0
	s_or_b32 s6, s6, s7
	v_trunc_f32_e32 v3, s6
	v_mul_f32_e32 v4, 0x2f800000, v3
	v_floor_f32_e32 v4, v4
	v_fmac_f32_e32 v3, 0xcf800000, v4
	v_cvt_u32_f32_e32 v3, v3
	v_cvt_u32_f32_e32 v4, v4
	s_mov_b64 s[6:7], 0
	s_mov_b64 s[14:15], -1
	global_store_dwordx2 v[0:1], v[3:4], off
.LBB134_657:
	s_mov_b64 s[16:17], 0
.LBB134_658:
	s_and_b64 vcc, exec, s[16:17]
	s_cbranch_vccz .LBB134_709
; %bb.659:
	s_cmp_lt_i32 s18, 27
	s_mov_b64 s[14:15], -1
	s_cbranch_scc1 .LBB134_665
; %bb.660:
	s_cmp_gt_i32 s18, 27
	s_cbranch_scc0 .LBB134_662
; %bb.661:
	s_lshl_b32 s14, s11, 24
	s_and_b32 s15, s14, 0x80000000
	s_and_b32 s14, s14, 0x7f000000
	s_flbit_i32_b32 s16, s14
	s_min_u32 s16, s16, 32
	v_sub_u32_e64 v3, s16, 4 clamp
	v_readfirstlane_b32 s17, v3
	s_lshl_b32 s19, s14, s17
	s_add_i32 s16, s14, 0x1000000
	s_lshr_b32 s19, s19, 4
	s_lshl_b32 s17, s17, 23
	s_ashr_i32 s16, s16, 8
	s_sub_i32 s17, s19, s17
	s_and_b32 s16, s16, 0x7f800000
	s_add_i32 s17, s17, 0x3c000000
	s_or_b32 s16, s17, s16
	s_cmp_lg_u32 s14, 0
	s_cselect_b32 s14, s16, 0
	s_or_b32 s14, s14, s15
	v_cvt_u32_f32_e32 v3, s14
	s_mov_b64 s[14:15], 0
	global_store_dword v[0:1], v3, off
.LBB134_662:
	s_andn2_b64 vcc, exec, s[14:15]
	s_cbranch_vccnz .LBB134_664
; %bb.663:
	s_lshl_b32 s14, s11, 24
	s_and_b32 s15, s14, 0x80000000
	s_and_b32 s14, s14, 0x7f000000
	s_flbit_i32_b32 s16, s14
	s_min_u32 s16, s16, 32
	v_sub_u32_e64 v3, s16, 4 clamp
	v_readfirstlane_b32 s17, v3
	s_lshl_b32 s19, s14, s17
	s_add_i32 s16, s14, 0x1000000
	s_lshr_b32 s19, s19, 4
	s_lshl_b32 s17, s17, 23
	s_ashr_i32 s16, s16, 8
	s_sub_i32 s17, s19, s17
	s_and_b32 s16, s16, 0x7f800000
	s_add_i32 s17, s17, 0x3c000000
	s_or_b32 s16, s17, s16
	s_cmp_lg_u32 s14, 0
	s_cselect_b32 s14, s16, 0
	s_or_b32 s14, s14, s15
	v_cvt_u32_f32_e32 v3, s14
	global_store_short v[0:1], v3, off
.LBB134_664:
	s_mov_b64 s[14:15], 0
.LBB134_665:
	s_andn2_b64 vcc, exec, s[14:15]
	s_cbranch_vccnz .LBB134_708
; %bb.666:
	s_lshl_b32 s14, s11, 24
	s_and_b32 s15, s14, 0x80000000
	s_and_b32 s14, s14, 0x7f000000
	s_flbit_i32_b32 s16, s14
	s_min_u32 s16, s16, 32
	v_sub_u32_e64 v3, s16, 4 clamp
	v_readfirstlane_b32 s17, v3
	s_lshl_b32 s19, s14, s17
	s_add_i32 s16, s14, 0x1000000
	s_lshr_b32 s19, s19, 4
	s_lshl_b32 s17, s17, 23
	s_ashr_i32 s16, s16, 8
	s_sub_i32 s17, s19, s17
	s_and_b32 s16, s16, 0x7f800000
	s_add_i32 s17, s17, 0x3c000000
	s_or_b32 s16, s17, s16
	s_cmp_lg_u32 s14, 0
	s_cselect_b32 s14, s16, 0
	s_or_b32 s19, s14, s15
	s_and_b32 s15, s19, 0x7fffffff
	s_cmp_gt_u32 s15, 0x437fffff
	v_mov_b32_e32 v4, 0x80
	s_cbranch_scc1 .LBB134_707
; %bb.667:
	s_cmp_gt_u32 s15, 0x3bffffff
	s_cbranch_scc0 .LBB134_702
; %bb.668:
	s_bfe_u32 s14, s14, 0x10014
	s_add_i32 s14, s19, s14
	s_add_i32 s14, s14, 0x487ffff
	s_lshr_b32 s20, s14, 20
	s_mov_b64 s[16:17], 0
	s_mov_b64 s[14:15], -1
	s_branch .LBB134_703
.LBB134_669:
	s_mov_b64 s[14:15], 0
	s_cbranch_execnz .LBB134_764
.LBB134_670:
	s_andn2_b64 vcc, exec, s[14:15]
	s_cbranch_vccnz .LBB134_802
.LBB134_671:
	v_add_u32_e32 v0, s10, v2
	v_ashrrev_i32_e32 v1, 31, v0
	v_mov_b32_e32 v2, s9
	v_add_co_u32_e32 v0, vcc, s8, v0
	s_cmp_lt_i32 s18, 11
	v_addc_co_u32_e32 v1, vcc, v2, v1, vcc
	s_cbranch_scc1 .LBB134_700
; %bb.672:
	s_mov_b64 s[12:13], -1
	s_mov_b64 s[8:9], 0
	s_cmp_gt_i32 s18, 25
	s_mov_b64 s[6:7], 0
	s_cbranch_scc0 .LBB134_724
; %bb.673:
	s_cmp_gt_i32 s18, 28
	s_cbranch_scc0 .LBB134_689
; %bb.674:
	s_cmp_gt_i32 s18, 43
	;; [unrolled: 3-line block ×3, first 2 shown]
	s_cbranch_scc0 .LBB134_679
; %bb.676:
	s_cmp_eq_u32 s18, 46
	s_mov_b64 s[6:7], -1
	s_cbranch_scc0 .LBB134_678
; %bb.677:
	s_lshl_b32 s6, s11, 24
	s_and_b32 s7, s6, 0x80000000
	s_and_b32 s6, s6, 0x7f000000
	s_flbit_i32_b32 s10, s6
	s_min_u32 s10, s10, 32
	v_sub_u32_e64 v2, s10, 4 clamp
	v_readfirstlane_b32 s12, v2
	s_lshl_b32 s13, s6, s12
	s_add_i32 s10, s6, 0x1000000
	s_lshr_b32 s13, s13, 4
	s_lshl_b32 s12, s12, 23
	s_ashr_i32 s10, s10, 8
	s_sub_i32 s12, s13, s12
	s_and_b32 s10, s10, 0x7f800000
	s_add_i32 s12, s12, 0x3c000000
	s_or_b32 s10, s12, s10
	s_cmp_lg_u32 s6, 0
	s_cselect_b32 s6, s10, 0
	s_or_b32 s7, s6, s7
	s_bfe_u32 s6, s6, 0x10010
	s_add_i32 s6, s7, s6
	s_addk_i32 s6, 0x7fff
	s_lshr_b32 s10, s6, 16
	v_cmp_o_f32_e64 s[6:7], s7, s7
	s_and_b64 s[6:7], s[6:7], exec
	s_cselect_b32 s6, s10, 0x7fc0
	v_mov_b32_e32 v2, s6
	global_store_dword v[0:1], v2, off
	s_mov_b64 s[6:7], 0
.LBB134_678:
	s_mov_b64 s[12:13], 0
.LBB134_679:
	s_and_b64 vcc, exec, s[12:13]
	s_cbranch_vccz .LBB134_684
; %bb.680:
	s_cmp_eq_u32 s18, 44
	s_mov_b64 s[6:7], -1
	s_cbranch_scc0 .LBB134_684
; %bb.681:
	s_lshl_b32 s6, s11, 24
	s_and_b32 s6, s6, 0x7f000000
	s_flbit_i32_b32 s7, s6
	s_min_u32 s7, s7, 32
	v_sub_u32_e64 v2, s7, 4 clamp
	v_readfirstlane_b32 s10, v2
	s_lshl_b32 s12, s6, s10
	s_add_i32 s7, s6, 0x1000000
	s_lshr_b32 s12, s12, 4
	s_lshl_b32 s10, s10, 23
	s_ashr_i32 s7, s7, 8
	s_sub_i32 s10, s12, s10
	s_and_b32 s7, s7, 0x7f800000
	s_add_i32 s10, s10, 0x3c000000
	s_or_b32 s7, s10, s7
	s_cmp_lg_u32 s6, 0
	s_cselect_b32 s7, s7, 0
	s_lshr_b32 s6, s7, 23
	s_cmpk_eq_i32 s6, 0xff
	v_mov_b32_e32 v2, 0xff
	s_cbranch_scc1 .LBB134_683
; %bb.682:
	s_bitcmp1_b32 s7, 22
	s_cselect_b64 s[12:13], -1, 0
	s_and_b32 s7, s7, 0x3fffff
	s_or_b32 s7, s6, s7
	s_cmp_lg_u32 s7, 0
	s_cselect_b64 s[14:15], -1, 0
	s_and_b64 s[12:13], s[12:13], s[14:15]
	v_cndmask_b32_e64 v2, 0, 1, s[12:13]
	v_add_u32_e32 v2, s6, v2
.LBB134_683:
	s_mov_b64 s[6:7], 0
	global_store_byte v[0:1], v2, off
.LBB134_684:
	s_mov_b64 s[12:13], 0
.LBB134_685:
	s_and_b64 vcc, exec, s[12:13]
	s_cbranch_vccz .LBB134_688
; %bb.686:
	s_cmp_eq_u32 s18, 29
	s_mov_b64 s[6:7], -1
	s_cbranch_scc0 .LBB134_688
; %bb.687:
	s_lshl_b32 s6, s11, 24
	s_and_b32 s7, s6, 0x80000000
	s_and_b32 s6, s6, 0x7f000000
	s_flbit_i32_b32 s10, s6
	s_min_u32 s10, s10, 32
	v_sub_u32_e64 v2, s10, 4 clamp
	v_readfirstlane_b32 s12, v2
	s_lshl_b32 s13, s6, s12
	s_add_i32 s10, s6, 0x1000000
	s_lshr_b32 s13, s13, 4
	s_lshl_b32 s12, s12, 23
	s_ashr_i32 s10, s10, 8
	s_sub_i32 s12, s13, s12
	s_and_b32 s10, s10, 0x7f800000
	s_add_i32 s12, s12, 0x3c000000
	s_or_b32 s10, s12, s10
	s_cmp_lg_u32 s6, 0
	s_cselect_b32 s6, s10, 0
	s_or_b32 s6, s6, s7
	v_trunc_f32_e32 v2, s6
	v_mul_f32_e32 v3, 0x2f800000, v2
	v_floor_f32_e32 v3, v3
	v_fmac_f32_e32 v2, 0xcf800000, v3
	v_cvt_u32_f32_e32 v2, v2
	v_cvt_u32_f32_e32 v3, v3
	s_mov_b64 s[6:7], 0
	global_store_dwordx2 v[0:1], v[2:3], off
.LBB134_688:
	s_mov_b64 s[12:13], 0
.LBB134_689:
	s_and_b64 vcc, exec, s[12:13]
	s_cbranch_vccz .LBB134_723
; %bb.690:
	s_cmp_lt_i32 s18, 27
	s_mov_b64 s[12:13], -1
	s_cbranch_scc1 .LBB134_696
; %bb.691:
	s_cmp_gt_i32 s18, 27
	s_cbranch_scc0 .LBB134_693
; %bb.692:
	s_lshl_b32 s10, s11, 24
	s_and_b32 s12, s10, 0x80000000
	s_and_b32 s10, s10, 0x7f000000
	s_flbit_i32_b32 s13, s10
	s_min_u32 s13, s13, 32
	v_sub_u32_e64 v2, s13, 4 clamp
	v_readfirstlane_b32 s14, v2
	s_lshl_b32 s15, s10, s14
	s_add_i32 s13, s10, 0x1000000
	s_lshr_b32 s15, s15, 4
	s_lshl_b32 s14, s14, 23
	s_ashr_i32 s13, s13, 8
	s_sub_i32 s14, s15, s14
	s_and_b32 s13, s13, 0x7f800000
	s_add_i32 s14, s14, 0x3c000000
	s_or_b32 s13, s14, s13
	s_cmp_lg_u32 s10, 0
	s_cselect_b32 s10, s13, 0
	s_or_b32 s10, s10, s12
	v_cvt_u32_f32_e32 v2, s10
	s_mov_b64 s[12:13], 0
	global_store_dword v[0:1], v2, off
.LBB134_693:
	s_andn2_b64 vcc, exec, s[12:13]
	s_cbranch_vccnz .LBB134_695
; %bb.694:
	s_lshl_b32 s10, s11, 24
	s_and_b32 s12, s10, 0x80000000
	s_and_b32 s10, s10, 0x7f000000
	s_flbit_i32_b32 s13, s10
	s_min_u32 s13, s13, 32
	v_sub_u32_e64 v2, s13, 4 clamp
	v_readfirstlane_b32 s14, v2
	s_lshl_b32 s15, s10, s14
	s_add_i32 s13, s10, 0x1000000
	s_lshr_b32 s15, s15, 4
	s_lshl_b32 s14, s14, 23
	s_ashr_i32 s13, s13, 8
	s_sub_i32 s14, s15, s14
	s_and_b32 s13, s13, 0x7f800000
	s_add_i32 s14, s14, 0x3c000000
	s_or_b32 s13, s14, s13
	s_cmp_lg_u32 s10, 0
	s_cselect_b32 s10, s13, 0
	s_or_b32 s10, s10, s12
	v_cvt_u32_f32_e32 v2, s10
	global_store_short v[0:1], v2, off
.LBB134_695:
	s_mov_b64 s[12:13], 0
.LBB134_696:
	s_andn2_b64 vcc, exec, s[12:13]
	s_cbranch_vccnz .LBB134_723
; %bb.697:
	s_lshl_b32 s10, s11, 24
	s_and_b32 s13, s10, 0x80000000
	s_and_b32 s10, s10, 0x7f000000
	s_flbit_i32_b32 s12, s10
	s_min_u32 s12, s12, 32
	v_sub_u32_e64 v2, s12, 4 clamp
	v_readfirstlane_b32 s14, v2
	s_lshl_b32 s15, s10, s14
	s_add_i32 s12, s10, 0x1000000
	s_lshr_b32 s15, s15, 4
	s_lshl_b32 s14, s14, 23
	s_ashr_i32 s12, s12, 8
	s_sub_i32 s14, s15, s14
	s_and_b32 s12, s12, 0x7f800000
	s_add_i32 s14, s14, 0x3c000000
	s_or_b32 s12, s14, s12
	s_cmp_lg_u32 s10, 0
	s_cselect_b32 s12, s12, 0
	s_or_b32 s10, s12, s13
	s_and_b32 s13, s10, 0x7fffffff
	s_cmp_gt_u32 s13, 0x437fffff
	v_mov_b32_e32 v3, 0x80
	s_cbranch_scc1 .LBB134_722
; %bb.698:
	s_cmp_gt_u32 s13, 0x3bffffff
	s_cbranch_scc0 .LBB134_717
; %bb.699:
	s_bfe_u32 s12, s12, 0x10014
	s_add_i32 s12, s10, s12
	s_add_i32 s12, s12, 0x487ffff
	s_lshr_b32 s16, s12, 20
	s_mov_b64 s[14:15], 0
	s_mov_b64 s[12:13], -1
	s_branch .LBB134_718
.LBB134_700:
	s_mov_b64 s[8:9], 0
	s_mov_b64 s[6:7], -1
	s_branch .LBB134_803
.LBB134_701:
	s_trap 2
	s_or_b64 s[4:5], s[4:5], exec
	s_cbranch_execz .LBB134_601
	s_branch .LBB134_602
.LBB134_702:
	s_mov_b64 s[16:17], -1
	s_mov_b64 s[14:15], 0
                                        ; implicit-def: $sgpr20
.LBB134_703:
	s_andn2_b64 vcc, exec, s[16:17]
	v_mov_b32_e32 v3, s20
	s_cbranch_vccnz .LBB134_705
; %bb.704:
	v_mov_b32_e32 v3, 0x46000000
	v_add_f32_e64 v3, |s19|, v3
	v_and_b32_e32 v3, 0xff, v3
	v_cmp_ne_u32_e64 s[14:15], 0, v3
.LBB134_705:
	s_andn2_b64 vcc, exec, s[14:15]
	v_mov_b32_e32 v4, 0
	s_cbranch_vccnz .LBB134_707
; %bb.706:
	s_lshr_b32 s14, s19, 24
	s_and_b32 s14, s14, 0x80
	v_or_b32_e32 v4, s14, v3
.LBB134_707:
	global_store_byte v[0:1], v4, off
.LBB134_708:
	s_mov_b64 s[14:15], -1
.LBB134_709:
	s_mov_b64 s[16:17], 0
.LBB134_710:
	s_and_b64 vcc, exec, s[16:17]
	s_cbranch_vccz .LBB134_760
; %bb.711:
	s_cmp_gt_i32 s18, 22
	s_mov_b64 s[12:13], -1
	s_cbranch_scc0 .LBB134_753
; %bb.712:
	s_cmp_lt_i32 s18, 24
	s_cbranch_scc1 .LBB134_740
; %bb.713:
	s_cmp_gt_i32 s18, 24
	s_cbranch_scc0 .LBB134_737
; %bb.714:
	s_lshl_b32 s12, s11, 24
	s_and_b32 s13, s12, 0x80000000
	s_and_b32 s12, s12, 0x7f000000
	s_flbit_i32_b32 s14, s12
	s_min_u32 s14, s14, 32
	v_sub_u32_e64 v3, s14, 4 clamp
	v_readfirstlane_b32 s15, v3
	s_lshl_b32 s16, s12, s15
	s_add_i32 s14, s12, 0x1000000
	s_lshr_b32 s16, s16, 4
	s_lshl_b32 s15, s15, 23
	s_ashr_i32 s14, s14, 8
	s_sub_i32 s15, s16, s15
	s_and_b32 s14, s14, 0x7f800000
	s_add_i32 s15, s15, 0x3c000000
	s_or_b32 s14, s15, s14
	s_cmp_lg_u32 s12, 0
	s_cselect_b32 s12, s14, 0
	s_or_b32 s16, s12, s13
	s_and_b32 s13, s16, 0x7fffffff
	s_cmp_gt_u32 s13, 0x477fffff
	v_mov_b32_e32 v4, 0x80
	s_cbranch_scc1 .LBB134_736
; %bb.715:
	s_cmp_gt_u32 s13, 0x37ffffff
	s_cbranch_scc0 .LBB134_731
; %bb.716:
	s_bfe_u32 s12, s12, 0x10015
	s_add_i32 s12, s16, s12
	s_add_i32 s12, s12, 0x88fffff
	s_lshr_b32 s17, s12, 21
	s_mov_b64 s[14:15], 0
	s_mov_b64 s[12:13], -1
	s_branch .LBB134_732
.LBB134_717:
	s_mov_b64 s[14:15], -1
	s_mov_b64 s[12:13], 0
                                        ; implicit-def: $sgpr16
.LBB134_718:
	s_andn2_b64 vcc, exec, s[14:15]
	v_mov_b32_e32 v2, s16
	s_cbranch_vccnz .LBB134_720
; %bb.719:
	v_mov_b32_e32 v2, 0x46000000
	v_add_f32_e64 v2, |s10|, v2
	v_and_b32_e32 v2, 0xff, v2
	v_cmp_ne_u32_e64 s[12:13], 0, v2
.LBB134_720:
	s_andn2_b64 vcc, exec, s[12:13]
	v_mov_b32_e32 v3, 0
	s_cbranch_vccnz .LBB134_722
; %bb.721:
	s_lshr_b32 s10, s10, 24
	s_and_b32 s10, s10, 0x80
	v_or_b32_e32 v3, s10, v2
.LBB134_722:
	global_store_byte v[0:1], v3, off
.LBB134_723:
	s_mov_b64 s[12:13], 0
.LBB134_724:
	s_and_b64 vcc, exec, s[12:13]
	s_cbranch_vccz .LBB134_874
; %bb.725:
	s_cmp_gt_i32 s18, 22
	s_mov_b64 s[8:9], -1
	s_cbranch_scc0 .LBB134_867
; %bb.726:
	s_cmp_lt_i32 s18, 24
	s_cbranch_scc1 .LBB134_854
; %bb.727:
	s_cmp_gt_i32 s18, 24
	s_cbranch_scc0 .LBB134_851
; %bb.728:
	s_lshl_b32 s8, s11, 24
	s_and_b32 s9, s8, 0x80000000
	s_and_b32 s8, s8, 0x7f000000
	s_flbit_i32_b32 s10, s8
	s_min_u32 s10, s10, 32
	v_sub_u32_e64 v2, s10, 4 clamp
	v_readfirstlane_b32 s12, v2
	s_lshl_b32 s13, s8, s12
	s_add_i32 s10, s8, 0x1000000
	s_lshr_b32 s13, s13, 4
	s_lshl_b32 s12, s12, 23
	s_ashr_i32 s10, s10, 8
	s_sub_i32 s12, s13, s12
	s_and_b32 s10, s10, 0x7f800000
	s_add_i32 s12, s12, 0x3c000000
	s_or_b32 s10, s12, s10
	s_cmp_lg_u32 s8, 0
	s_cselect_b32 s8, s10, 0
	s_or_b32 s10, s8, s9
	s_and_b32 s9, s10, 0x7fffffff
	s_cmp_gt_u32 s9, 0x477fffff
	v_mov_b32_e32 v3, 0x80
	s_cbranch_scc1 .LBB134_850
; %bb.729:
	s_cmp_gt_u32 s9, 0x37ffffff
	s_cbranch_scc0 .LBB134_845
; %bb.730:
	s_bfe_u32 s8, s8, 0x10015
	s_add_i32 s8, s10, s8
	s_add_i32 s8, s8, 0x88fffff
	s_lshr_b32 s14, s8, 21
	s_mov_b64 s[12:13], 0
	s_mov_b64 s[8:9], -1
	s_branch .LBB134_846
.LBB134_731:
	s_mov_b64 s[14:15], -1
	s_mov_b64 s[12:13], 0
                                        ; implicit-def: $sgpr17
.LBB134_732:
	s_andn2_b64 vcc, exec, s[14:15]
	v_mov_b32_e32 v3, s17
	s_cbranch_vccnz .LBB134_734
; %bb.733:
	v_mov_b32_e32 v3, 0x42800000
	v_add_f32_e64 v3, |s16|, v3
	v_and_b32_e32 v3, 0xff, v3
	v_cmp_ne_u32_e64 s[12:13], 0, v3
.LBB134_734:
	s_andn2_b64 vcc, exec, s[12:13]
	v_mov_b32_e32 v4, 0
	s_cbranch_vccnz .LBB134_736
; %bb.735:
	s_lshr_b32 s12, s16, 24
	s_and_b32 s12, s12, 0x80
	v_or_b32_e32 v4, s12, v3
.LBB134_736:
	s_mov_b64 s[12:13], 0
	global_store_byte v[0:1], v4, off
.LBB134_737:
	s_and_b64 vcc, exec, s[12:13]
	s_cbranch_vccz .LBB134_739
; %bb.738:
	v_mov_b32_e32 v3, s11
	global_store_byte v[0:1], v3, off
.LBB134_739:
	s_mov_b64 s[12:13], 0
.LBB134_740:
	s_andn2_b64 vcc, exec, s[12:13]
	s_cbranch_vccnz .LBB134_752
; %bb.741:
	s_lshl_b32 s12, s11, 24
	s_and_b32 s13, s12, 0x80000000
	s_and_b32 s12, s12, 0x7f000000
	s_flbit_i32_b32 s14, s12
	s_min_u32 s14, s14, 32
	v_sub_u32_e64 v3, s14, 4 clamp
	v_readfirstlane_b32 s15, v3
	s_lshl_b32 s16, s12, s15
	s_add_i32 s14, s12, 0x1000000
	s_lshr_b32 s16, s16, 4
	s_lshl_b32 s15, s15, 23
	s_ashr_i32 s14, s14, 8
	s_sub_i32 s15, s16, s15
	s_and_b32 s14, s14, 0x7f800000
	s_add_i32 s15, s15, 0x3c000000
	s_or_b32 s14, s15, s14
	s_cmp_lg_u32 s12, 0
	s_cselect_b32 s12, s14, 0
	s_or_b32 s14, s12, s13
	s_and_b32 s15, s14, 0x7fffffff
	s_cmp_lt_u32 s15, 0x47800000
	s_cbranch_scc0 .LBB134_744
; %bb.742:
	s_cmp_gt_u32 s15, 0x387fffff
	s_cbranch_scc0 .LBB134_745
; %bb.743:
	s_bfe_u32 s12, s12, 0x10015
	s_add_i32 s12, s14, s12
	s_add_i32 s12, s12, 0x80fffff
	s_lshr_b32 s16, s12, 21
	s_mov_b64 s[12:13], 0
	s_branch .LBB134_746
.LBB134_744:
	s_mov_b64 s[12:13], -1
                                        ; implicit-def: $vgpr3
	s_branch .LBB134_749
.LBB134_745:
	s_mov_b64 s[12:13], -1
                                        ; implicit-def: $sgpr16
.LBB134_746:
	s_andn2_b64 vcc, exec, s[12:13]
	v_mov_b32_e32 v3, s16
	s_cbranch_vccnz .LBB134_748
; %bb.747:
	v_mov_b32_e32 v3, 0x43000000
	v_add_f32_e64 v3, |s14|, v3
.LBB134_748:
	s_mov_b64 s[12:13], 0
.LBB134_749:
	s_andn2_b64 vcc, exec, s[12:13]
	s_cbranch_vccnz .LBB134_751
; %bb.750:
	s_cmp_gt_u32 s15, 0x7f800000
	s_movk_i32 s12, 0x7f
	s_cselect_b32 s12, s12, 0x7c
	v_mov_b32_e32 v3, s12
.LBB134_751:
	s_lshr_b32 s12, s14, 24
	s_and_b32 s12, s12, 0x80
	v_or_b32_e32 v3, s12, v3
	global_store_byte v[0:1], v3, off
.LBB134_752:
	s_mov_b64 s[12:13], 0
	s_mov_b64 s[14:15], -1
.LBB134_753:
	s_andn2_b64 vcc, exec, s[12:13]
	s_mov_b64 s[12:13], 0
	s_cbranch_vccnz .LBB134_760
; %bb.754:
	s_cmp_gt_i32 s18, 14
	s_mov_b64 s[16:17], -1
	s_cbranch_scc0 .LBB134_758
; %bb.755:
	s_cmp_eq_u32 s18, 15
	s_mov_b64 s[6:7], -1
	s_cbranch_scc0 .LBB134_757
; %bb.756:
	s_lshl_b32 s6, s11, 24
	s_and_b32 s7, s6, 0x80000000
	s_and_b32 s6, s6, 0x7f000000
	s_flbit_i32_b32 s12, s6
	s_min_u32 s12, s12, 32
	v_sub_u32_e64 v3, s12, 4 clamp
	v_readfirstlane_b32 s13, v3
	s_lshl_b32 s14, s6, s13
	s_add_i32 s12, s6, 0x1000000
	s_lshr_b32 s14, s14, 4
	s_lshl_b32 s13, s13, 23
	s_ashr_i32 s12, s12, 8
	s_sub_i32 s13, s14, s13
	s_and_b32 s12, s12, 0x7f800000
	s_add_i32 s13, s13, 0x3c000000
	s_or_b32 s12, s13, s12
	s_cmp_lg_u32 s6, 0
	s_cselect_b32 s6, s12, 0
	s_or_b32 s7, s6, s7
	s_bfe_u32 s6, s6, 0x10010
	s_add_i32 s6, s7, s6
	s_addk_i32 s6, 0x7fff
	s_lshr_b32 s12, s6, 16
	v_cmp_o_f32_e64 s[6:7], s7, s7
	s_and_b64 s[6:7], s[6:7], exec
	s_cselect_b32 s6, s12, 0x7fc0
	v_mov_b32_e32 v3, s6
	global_store_short v[0:1], v3, off
	s_mov_b64 s[6:7], 0
	s_mov_b64 s[14:15], -1
.LBB134_757:
	s_mov_b64 s[16:17], 0
.LBB134_758:
	s_mov_b64 s[12:13], 0
	s_and_b64 vcc, exec, s[16:17]
	s_cbranch_vccz .LBB134_760
; %bb.759:
	s_cmp_lg_u32 s18, 11
	s_mov_b64 s[12:13], -1
	s_cselect_b64 s[6:7], -1, 0
.LBB134_760:
	s_and_b64 vcc, exec, s[6:7]
	s_cbranch_vccnz .LBB134_844
; %bb.761:
	s_andn2_b64 vcc, exec, s[12:13]
	s_cbranch_vccnz .LBB134_763
.LBB134_762:
	s_and_b32 s6, s11, 0x7f
	s_cmp_lg_u32 s6, 0
	s_cselect_b64 s[6:7], -1, 0
	v_cndmask_b32_e64 v3, 0, 1, s[6:7]
	s_mov_b64 s[14:15], -1
	global_store_byte v[0:1], v3, off
.LBB134_763:
	s_branch .LBB134_670
.LBB134_764:
	s_cmp_lt_i32 s18, 5
	s_mov_b64 s[6:7], -1
	s_cbranch_scc1 .LBB134_785
; %bb.765:
	s_cmp_lt_i32 s18, 8
	s_cbranch_scc1 .LBB134_775
; %bb.766:
	s_cmp_lt_i32 s18, 9
	s_cbranch_scc1 .LBB134_772
; %bb.767:
	s_cmp_gt_i32 s18, 9
	s_cbranch_scc0 .LBB134_769
; %bb.768:
	s_lshl_b32 s6, s11, 24
	s_and_b32 s7, s6, 0x80000000
	s_and_b32 s6, s6, 0x7f000000
	s_flbit_i32_b32 s12, s6
	s_min_u32 s12, s12, 32
	v_sub_u32_e64 v3, s12, 4 clamp
	v_readfirstlane_b32 s13, v3
	s_lshl_b32 s14, s6, s13
	s_add_i32 s12, s6, 0x1000000
	s_lshr_b32 s14, s14, 4
	s_lshl_b32 s13, s13, 23
	s_ashr_i32 s12, s12, 8
	s_sub_i32 s13, s14, s13
	s_and_b32 s12, s12, 0x7f800000
	s_add_i32 s13, s13, 0x3c000000
	s_or_b32 s12, s13, s12
	s_cmp_lg_u32 s6, 0
	s_cselect_b32 s6, s12, 0
	s_or_b32 s6, s6, s7
	v_cvt_f64_f32_e32 v[3:4], s6
	v_mov_b32_e32 v5, 0
	v_mov_b32_e32 v6, v5
	s_mov_b64 s[6:7], 0
	global_store_dwordx4 v[0:1], v[3:6], off
.LBB134_769:
	s_andn2_b64 vcc, exec, s[6:7]
	s_cbranch_vccnz .LBB134_771
; %bb.770:
	s_lshl_b32 s6, s11, 24
	s_and_b32 s7, s6, 0x80000000
	s_and_b32 s6, s6, 0x7f000000
	s_flbit_i32_b32 s12, s6
	s_min_u32 s12, s12, 32
	v_sub_u32_e64 v3, s12, 4 clamp
	v_readfirstlane_b32 s13, v3
	s_lshl_b32 s14, s6, s13
	s_add_i32 s12, s6, 0x1000000
	s_lshr_b32 s14, s14, 4
	s_lshl_b32 s13, s13, 23
	s_ashr_i32 s12, s12, 8
	s_sub_i32 s13, s14, s13
	s_and_b32 s12, s12, 0x7f800000
	s_add_i32 s13, s13, 0x3c000000
	s_or_b32 s12, s13, s12
	s_cmp_lg_u32 s6, 0
	s_cselect_b32 s6, s12, 0
	s_or_b32 s6, s6, s7
	v_mov_b32_e32 v3, s6
	v_mov_b32_e32 v4, 0
	global_store_dwordx2 v[0:1], v[3:4], off
.LBB134_771:
	s_mov_b64 s[6:7], 0
.LBB134_772:
	s_andn2_b64 vcc, exec, s[6:7]
	s_cbranch_vccnz .LBB134_774
; %bb.773:
	s_lshl_b32 s6, s11, 24
	s_and_b32 s7, s6, 0x80000000
	s_and_b32 s6, s6, 0x7f000000
	s_flbit_i32_b32 s12, s6
	s_min_u32 s12, s12, 32
	v_sub_u32_e64 v3, s12, 4 clamp
	v_readfirstlane_b32 s13, v3
	s_lshl_b32 s14, s6, s13
	s_add_i32 s12, s6, 0x1000000
	s_lshr_b32 s14, s14, 4
	s_lshl_b32 s13, s13, 23
	s_ashr_i32 s12, s12, 8
	s_sub_i32 s13, s14, s13
	s_and_b32 s12, s12, 0x7f800000
	s_add_i32 s13, s13, 0x3c000000
	s_or_b32 s12, s13, s12
	s_cmp_lg_u32 s6, 0
	s_cselect_b32 s6, s12, 0
	s_or_b32 s6, s6, s7
	v_cvt_f16_f32_e32 v3, s6
	global_store_dword v[0:1], v3, off
.LBB134_774:
	s_mov_b64 s[6:7], 0
.LBB134_775:
	s_andn2_b64 vcc, exec, s[6:7]
	s_cbranch_vccnz .LBB134_784
; %bb.776:
	s_cmp_lt_i32 s18, 6
	s_mov_b64 s[6:7], -1
	s_cbranch_scc1 .LBB134_782
; %bb.777:
	s_cmp_gt_i32 s18, 6
	s_cbranch_scc0 .LBB134_779
; %bb.778:
	s_lshl_b32 s6, s11, 24
	s_and_b32 s7, s6, 0x80000000
	s_and_b32 s6, s6, 0x7f000000
	s_flbit_i32_b32 s12, s6
	s_min_u32 s12, s12, 32
	v_sub_u32_e64 v3, s12, 4 clamp
	v_readfirstlane_b32 s13, v3
	s_lshl_b32 s14, s6, s13
	s_add_i32 s12, s6, 0x1000000
	s_lshr_b32 s14, s14, 4
	s_lshl_b32 s13, s13, 23
	s_ashr_i32 s12, s12, 8
	s_sub_i32 s13, s14, s13
	s_and_b32 s12, s12, 0x7f800000
	s_add_i32 s13, s13, 0x3c000000
	s_or_b32 s12, s13, s12
	s_cmp_lg_u32 s6, 0
	s_cselect_b32 s6, s12, 0
	s_or_b32 s6, s6, s7
	v_cvt_f64_f32_e32 v[3:4], s6
	s_mov_b64 s[6:7], 0
	global_store_dwordx2 v[0:1], v[3:4], off
.LBB134_779:
	s_andn2_b64 vcc, exec, s[6:7]
	s_cbranch_vccnz .LBB134_781
; %bb.780:
	s_lshl_b32 s6, s11, 24
	s_and_b32 s7, s6, 0x80000000
	s_and_b32 s6, s6, 0x7f000000
	s_flbit_i32_b32 s12, s6
	s_min_u32 s12, s12, 32
	v_sub_u32_e64 v3, s12, 4 clamp
	v_readfirstlane_b32 s13, v3
	s_lshl_b32 s14, s6, s13
	s_add_i32 s12, s6, 0x1000000
	s_lshr_b32 s14, s14, 4
	s_lshl_b32 s13, s13, 23
	s_ashr_i32 s12, s12, 8
	s_sub_i32 s13, s14, s13
	s_and_b32 s12, s12, 0x7f800000
	s_add_i32 s13, s13, 0x3c000000
	s_or_b32 s12, s13, s12
	s_cmp_lg_u32 s6, 0
	s_cselect_b32 s6, s12, 0
	s_or_b32 s6, s6, s7
	v_mov_b32_e32 v3, s6
	global_store_dword v[0:1], v3, off
.LBB134_781:
	s_mov_b64 s[6:7], 0
.LBB134_782:
	s_andn2_b64 vcc, exec, s[6:7]
	s_cbranch_vccnz .LBB134_784
; %bb.783:
	s_lshl_b32 s6, s11, 24
	s_and_b32 s7, s6, 0x80000000
	s_and_b32 s6, s6, 0x7f000000
	s_flbit_i32_b32 s12, s6
	s_min_u32 s12, s12, 32
	v_sub_u32_e64 v3, s12, 4 clamp
	v_readfirstlane_b32 s13, v3
	s_lshl_b32 s14, s6, s13
	s_add_i32 s12, s6, 0x1000000
	s_lshr_b32 s14, s14, 4
	s_lshl_b32 s13, s13, 23
	s_ashr_i32 s12, s12, 8
	s_sub_i32 s13, s14, s13
	s_and_b32 s12, s12, 0x7f800000
	s_add_i32 s13, s13, 0x3c000000
	s_or_b32 s12, s13, s12
	s_cmp_lg_u32 s6, 0
	s_cselect_b32 s6, s12, 0
	s_or_b32 s6, s6, s7
	v_cvt_f16_f32_e32 v3, s6
	global_store_short v[0:1], v3, off
.LBB134_784:
	s_mov_b64 s[6:7], 0
.LBB134_785:
	s_andn2_b64 vcc, exec, s[6:7]
	s_cbranch_vccnz .LBB134_801
; %bb.786:
	s_cmp_lt_i32 s18, 2
	s_mov_b64 s[6:7], -1
	s_cbranch_scc1 .LBB134_796
; %bb.787:
	s_cmp_lt_i32 s18, 3
	s_cbranch_scc1 .LBB134_793
; %bb.788:
	s_cmp_gt_i32 s18, 3
	s_cbranch_scc0 .LBB134_790
; %bb.789:
	s_lshl_b32 s6, s11, 24
	s_and_b32 s7, s6, 0x80000000
	s_and_b32 s6, s6, 0x7f000000
	s_flbit_i32_b32 s12, s6
	s_min_u32 s12, s12, 32
	v_sub_u32_e64 v3, s12, 4 clamp
	v_readfirstlane_b32 s13, v3
	s_lshl_b32 s14, s6, s13
	s_add_i32 s12, s6, 0x1000000
	s_lshr_b32 s14, s14, 4
	s_lshl_b32 s13, s13, 23
	s_ashr_i32 s12, s12, 8
	s_sub_i32 s13, s14, s13
	s_and_b32 s12, s12, 0x7f800000
	s_add_i32 s13, s13, 0x3c000000
	s_or_b32 s12, s13, s12
	s_cmp_lg_u32 s6, 0
	s_cselect_b32 s6, s12, 0
	s_or_b32 s6, s6, s7
	v_trunc_f32_e32 v3, s6
	s_mov_b32 s6, 0x2f800000
	v_mul_f32_e64 v4, |v3|, s6
	v_floor_f32_e32 v4, v4
	s_mov_b32 s6, 0xcf800000
	v_fma_f32 v5, v4, s6, |v3|
	v_cvt_u32_f32_e32 v5, v5
	v_cvt_u32_f32_e32 v4, v4
	v_ashrrev_i32_e32 v6, 31, v3
	s_mov_b64 s[6:7], 0
	v_xor_b32_e32 v3, v5, v6
	v_xor_b32_e32 v4, v4, v6
	v_sub_co_u32_e32 v3, vcc, v3, v6
	v_subb_co_u32_e32 v4, vcc, v4, v6, vcc
	global_store_dwordx2 v[0:1], v[3:4], off
.LBB134_790:
	s_andn2_b64 vcc, exec, s[6:7]
	s_cbranch_vccnz .LBB134_792
; %bb.791:
	s_lshl_b32 s6, s11, 24
	s_and_b32 s7, s6, 0x80000000
	s_and_b32 s6, s6, 0x7f000000
	s_flbit_i32_b32 s12, s6
	s_min_u32 s12, s12, 32
	v_sub_u32_e64 v3, s12, 4 clamp
	v_readfirstlane_b32 s13, v3
	s_lshl_b32 s14, s6, s13
	s_add_i32 s12, s6, 0x1000000
	s_lshr_b32 s14, s14, 4
	s_lshl_b32 s13, s13, 23
	s_ashr_i32 s12, s12, 8
	s_sub_i32 s13, s14, s13
	s_and_b32 s12, s12, 0x7f800000
	s_add_i32 s13, s13, 0x3c000000
	s_or_b32 s12, s13, s12
	s_cmp_lg_u32 s6, 0
	s_cselect_b32 s6, s12, 0
	s_or_b32 s6, s6, s7
	v_cvt_i32_f32_e32 v3, s6
	global_store_dword v[0:1], v3, off
.LBB134_792:
	s_mov_b64 s[6:7], 0
.LBB134_793:
	s_andn2_b64 vcc, exec, s[6:7]
	s_cbranch_vccnz .LBB134_795
; %bb.794:
	s_lshl_b32 s6, s11, 24
	s_and_b32 s7, s6, 0x80000000
	s_and_b32 s6, s6, 0x7f000000
	s_flbit_i32_b32 s12, s6
	s_min_u32 s12, s12, 32
	v_sub_u32_e64 v3, s12, 4 clamp
	v_readfirstlane_b32 s13, v3
	s_lshl_b32 s14, s6, s13
	s_add_i32 s12, s6, 0x1000000
	s_lshr_b32 s14, s14, 4
	s_lshl_b32 s13, s13, 23
	s_ashr_i32 s12, s12, 8
	s_sub_i32 s13, s14, s13
	s_and_b32 s12, s12, 0x7f800000
	s_add_i32 s13, s13, 0x3c000000
	s_or_b32 s12, s13, s12
	s_cmp_lg_u32 s6, 0
	s_cselect_b32 s6, s12, 0
	s_or_b32 s6, s6, s7
	v_cvt_i32_f32_e32 v3, s6
	global_store_short v[0:1], v3, off
.LBB134_795:
	s_mov_b64 s[6:7], 0
.LBB134_796:
	s_andn2_b64 vcc, exec, s[6:7]
	s_cbranch_vccnz .LBB134_801
; %bb.797:
	s_cmp_gt_i32 s18, 0
	s_mov_b64 s[6:7], -1
	s_cbranch_scc0 .LBB134_799
; %bb.798:
	s_lshl_b32 s6, s11, 24
	s_and_b32 s7, s6, 0x80000000
	s_and_b32 s6, s6, 0x7f000000
	s_flbit_i32_b32 s12, s6
	s_min_u32 s12, s12, 32
	v_sub_u32_e64 v3, s12, 4 clamp
	v_readfirstlane_b32 s13, v3
	s_lshl_b32 s14, s6, s13
	s_add_i32 s12, s6, 0x1000000
	s_lshr_b32 s14, s14, 4
	s_lshl_b32 s13, s13, 23
	s_ashr_i32 s12, s12, 8
	s_sub_i32 s13, s14, s13
	s_and_b32 s12, s12, 0x7f800000
	s_add_i32 s13, s13, 0x3c000000
	s_or_b32 s12, s13, s12
	s_cmp_lg_u32 s6, 0
	s_cselect_b32 s6, s12, 0
	s_or_b32 s6, s6, s7
	v_cvt_i32_f32_e32 v3, s6
	s_mov_b64 s[6:7], 0
	global_store_byte v[0:1], v3, off
.LBB134_799:
	s_andn2_b64 vcc, exec, s[6:7]
	s_cbranch_vccnz .LBB134_801
; %bb.800:
	s_lshl_b32 s6, s11, 24
	s_and_b32 s7, s6, 0x80000000
	s_and_b32 s6, s6, 0x7f000000
	s_flbit_i32_b32 s12, s6
	s_min_u32 s12, s12, 32
	v_sub_u32_e64 v3, s12, 4 clamp
	v_readfirstlane_b32 s13, v3
	s_lshl_b32 s14, s6, s13
	s_add_i32 s12, s6, 0x1000000
	s_lshr_b32 s14, s14, 4
	s_lshl_b32 s13, s13, 23
	s_ashr_i32 s12, s12, 8
	s_sub_i32 s13, s14, s13
	s_and_b32 s12, s12, 0x7f800000
	s_add_i32 s13, s13, 0x3c000000
	s_or_b32 s12, s13, s12
	s_cmp_lg_u32 s6, 0
	s_cselect_b32 s6, s12, 0
	s_or_b32 s6, s6, s7
	v_trunc_f32_e32 v3, s6
	s_mov_b32 s6, 0x2f800000
	v_mul_f32_e64 v4, |v3|, s6
	v_floor_f32_e32 v4, v4
	s_mov_b32 s6, 0xcf800000
	v_fma_f32 v4, v4, s6, |v3|
	v_cvt_u32_f32_e32 v4, v4
	v_ashrrev_i32_e32 v3, 31, v3
	v_xor_b32_e32 v4, v4, v3
	v_sub_u32_e32 v3, v4, v3
	global_store_byte v[0:1], v3, off
.LBB134_801:
	s_branch .LBB134_671
.LBB134_802:
	s_mov_b64 s[6:7], 0
	s_mov_b64 s[8:9], 0
                                        ; implicit-def: $sgpr33
                                        ; implicit-def: $vgpr0_vgpr1
.LBB134_803:
	s_andn2_b64 s[0:1], s[0:1], exec
	s_and_b64 s[4:5], s[4:5], exec
	s_and_b64 s[12:13], s[6:7], exec
	;; [unrolled: 1-line block ×3, first 2 shown]
	s_or_b64 s[0:1], s[0:1], s[4:5]
	s_or_b64 exec, exec, s[2:3]
	s_and_saveexec_b64 s[2:3], s[0:1]
	s_cbranch_execnz .LBB134_434
.LBB134_804:
	s_or_b64 exec, exec, s[2:3]
	s_and_saveexec_b64 s[0:1], s[6:7]
	s_xor_b64 s[0:1], exec, s[0:1]
	s_cbranch_execz .LBB134_435
.LBB134_805:
	s_and_b32 s2, s11, 0x7f
	s_cmp_lg_u32 s2, 0
	s_cselect_b64 s[2:3], -1, 0
	v_cndmask_b32_e64 v2, 0, 1, s[2:3]
	global_store_byte v[0:1], v2, off
	s_or_b64 exec, exec, s[0:1]
	s_and_saveexec_b64 s[0:1], s[12:13]
	s_cbranch_execz .LBB134_843
.LBB134_806:
	s_sext_i32_i16 s2, s33
	s_cmp_lt_i32 s2, 5
	s_mov_b64 s[0:1], -1
	s_cbranch_scc1 .LBB134_827
; %bb.807:
	s_cmp_lt_i32 s2, 8
	s_cbranch_scc1 .LBB134_817
; %bb.808:
	s_cmp_lt_i32 s2, 9
	s_cbranch_scc1 .LBB134_814
; %bb.809:
	s_cmp_gt_i32 s2, 9
	s_cbranch_scc0 .LBB134_811
; %bb.810:
	s_lshl_b32 s0, s11, 24
	s_and_b32 s1, s0, 0x80000000
	s_and_b32 s0, s0, 0x7f000000
	s_flbit_i32_b32 s2, s0
	s_min_u32 s2, s2, 32
	v_sub_u32_e64 v2, s2, 4 clamp
	v_readfirstlane_b32 s3, v2
	s_lshl_b32 s4, s0, s3
	s_add_i32 s2, s0, 0x1000000
	s_lshr_b32 s4, s4, 4
	s_lshl_b32 s3, s3, 23
	s_ashr_i32 s2, s2, 8
	s_sub_i32 s3, s4, s3
	s_and_b32 s2, s2, 0x7f800000
	s_add_i32 s3, s3, 0x3c000000
	s_or_b32 s2, s3, s2
	s_cmp_lg_u32 s0, 0
	s_cselect_b32 s0, s2, 0
	s_or_b32 s0, s0, s1
	v_cvt_f64_f32_e32 v[2:3], s0
	v_mov_b32_e32 v4, 0
	v_mov_b32_e32 v5, v4
	s_mov_b64 s[0:1], 0
	global_store_dwordx4 v[0:1], v[2:5], off
.LBB134_811:
	s_andn2_b64 vcc, exec, s[0:1]
	s_cbranch_vccnz .LBB134_813
; %bb.812:
	s_lshl_b32 s0, s11, 24
	s_and_b32 s1, s0, 0x80000000
	s_and_b32 s0, s0, 0x7f000000
	s_flbit_i32_b32 s2, s0
	s_min_u32 s2, s2, 32
	v_sub_u32_e64 v2, s2, 4 clamp
	v_readfirstlane_b32 s3, v2
	s_lshl_b32 s4, s0, s3
	s_add_i32 s2, s0, 0x1000000
	s_lshr_b32 s4, s4, 4
	s_lshl_b32 s3, s3, 23
	s_ashr_i32 s2, s2, 8
	s_sub_i32 s3, s4, s3
	s_and_b32 s2, s2, 0x7f800000
	s_add_i32 s3, s3, 0x3c000000
	s_or_b32 s2, s3, s2
	s_cmp_lg_u32 s0, 0
	s_cselect_b32 s0, s2, 0
	s_or_b32 s0, s0, s1
	v_mov_b32_e32 v2, s0
	v_mov_b32_e32 v3, 0
	global_store_dwordx2 v[0:1], v[2:3], off
.LBB134_813:
	s_mov_b64 s[0:1], 0
.LBB134_814:
	s_andn2_b64 vcc, exec, s[0:1]
	s_cbranch_vccnz .LBB134_816
; %bb.815:
	s_lshl_b32 s0, s11, 24
	s_and_b32 s1, s0, 0x80000000
	s_and_b32 s0, s0, 0x7f000000
	s_flbit_i32_b32 s2, s0
	s_min_u32 s2, s2, 32
	v_sub_u32_e64 v2, s2, 4 clamp
	v_readfirstlane_b32 s3, v2
	s_lshl_b32 s4, s0, s3
	s_add_i32 s2, s0, 0x1000000
	s_lshr_b32 s4, s4, 4
	s_lshl_b32 s3, s3, 23
	s_ashr_i32 s2, s2, 8
	s_sub_i32 s3, s4, s3
	s_and_b32 s2, s2, 0x7f800000
	s_add_i32 s3, s3, 0x3c000000
	s_or_b32 s2, s3, s2
	s_cmp_lg_u32 s0, 0
	s_cselect_b32 s0, s2, 0
	s_or_b32 s0, s0, s1
	v_cvt_f16_f32_e32 v2, s0
	global_store_dword v[0:1], v2, off
.LBB134_816:
	s_mov_b64 s[0:1], 0
.LBB134_817:
	s_andn2_b64 vcc, exec, s[0:1]
	s_cbranch_vccnz .LBB134_826
; %bb.818:
	s_sext_i32_i16 s2, s33
	s_cmp_lt_i32 s2, 6
	s_mov_b64 s[0:1], -1
	s_cbranch_scc1 .LBB134_824
; %bb.819:
	s_cmp_gt_i32 s2, 6
	s_cbranch_scc0 .LBB134_821
; %bb.820:
	s_lshl_b32 s0, s11, 24
	s_and_b32 s1, s0, 0x80000000
	s_and_b32 s0, s0, 0x7f000000
	s_flbit_i32_b32 s2, s0
	s_min_u32 s2, s2, 32
	v_sub_u32_e64 v2, s2, 4 clamp
	v_readfirstlane_b32 s3, v2
	s_lshl_b32 s4, s0, s3
	s_add_i32 s2, s0, 0x1000000
	s_lshr_b32 s4, s4, 4
	s_lshl_b32 s3, s3, 23
	s_ashr_i32 s2, s2, 8
	s_sub_i32 s3, s4, s3
	s_and_b32 s2, s2, 0x7f800000
	s_add_i32 s3, s3, 0x3c000000
	s_or_b32 s2, s3, s2
	s_cmp_lg_u32 s0, 0
	s_cselect_b32 s0, s2, 0
	s_or_b32 s0, s0, s1
	v_cvt_f64_f32_e32 v[2:3], s0
	s_mov_b64 s[0:1], 0
	global_store_dwordx2 v[0:1], v[2:3], off
.LBB134_821:
	s_andn2_b64 vcc, exec, s[0:1]
	s_cbranch_vccnz .LBB134_823
; %bb.822:
	s_lshl_b32 s0, s11, 24
	s_and_b32 s1, s0, 0x80000000
	s_and_b32 s0, s0, 0x7f000000
	s_flbit_i32_b32 s2, s0
	s_min_u32 s2, s2, 32
	v_sub_u32_e64 v2, s2, 4 clamp
	v_readfirstlane_b32 s3, v2
	s_lshl_b32 s4, s0, s3
	s_add_i32 s2, s0, 0x1000000
	s_lshr_b32 s4, s4, 4
	s_lshl_b32 s3, s3, 23
	s_ashr_i32 s2, s2, 8
	s_sub_i32 s3, s4, s3
	s_and_b32 s2, s2, 0x7f800000
	s_add_i32 s3, s3, 0x3c000000
	s_or_b32 s2, s3, s2
	s_cmp_lg_u32 s0, 0
	s_cselect_b32 s0, s2, 0
	s_or_b32 s0, s0, s1
	v_mov_b32_e32 v2, s0
	global_store_dword v[0:1], v2, off
.LBB134_823:
	s_mov_b64 s[0:1], 0
.LBB134_824:
	s_andn2_b64 vcc, exec, s[0:1]
	s_cbranch_vccnz .LBB134_826
; %bb.825:
	s_lshl_b32 s0, s11, 24
	s_and_b32 s1, s0, 0x80000000
	s_and_b32 s0, s0, 0x7f000000
	s_flbit_i32_b32 s2, s0
	s_min_u32 s2, s2, 32
	v_sub_u32_e64 v2, s2, 4 clamp
	v_readfirstlane_b32 s3, v2
	s_lshl_b32 s4, s0, s3
	s_add_i32 s2, s0, 0x1000000
	s_lshr_b32 s4, s4, 4
	s_lshl_b32 s3, s3, 23
	s_ashr_i32 s2, s2, 8
	s_sub_i32 s3, s4, s3
	s_and_b32 s2, s2, 0x7f800000
	s_add_i32 s3, s3, 0x3c000000
	s_or_b32 s2, s3, s2
	s_cmp_lg_u32 s0, 0
	s_cselect_b32 s0, s2, 0
	s_or_b32 s0, s0, s1
	v_cvt_f16_f32_e32 v2, s0
	global_store_short v[0:1], v2, off
.LBB134_826:
	s_mov_b64 s[0:1], 0
.LBB134_827:
	s_andn2_b64 vcc, exec, s[0:1]
	s_cbranch_vccnz .LBB134_843
; %bb.828:
	s_sext_i32_i16 s2, s33
	s_cmp_lt_i32 s2, 2
	s_mov_b64 s[0:1], -1
	s_cbranch_scc1 .LBB134_838
; %bb.829:
	s_cmp_lt_i32 s2, 3
	s_cbranch_scc1 .LBB134_835
; %bb.830:
	s_cmp_gt_i32 s2, 3
	s_cbranch_scc0 .LBB134_832
; %bb.831:
	s_lshl_b32 s0, s11, 24
	s_and_b32 s1, s0, 0x80000000
	s_and_b32 s0, s0, 0x7f000000
	s_flbit_i32_b32 s2, s0
	s_min_u32 s2, s2, 32
	v_sub_u32_e64 v2, s2, 4 clamp
	v_readfirstlane_b32 s3, v2
	s_lshl_b32 s4, s0, s3
	s_add_i32 s2, s0, 0x1000000
	s_lshr_b32 s4, s4, 4
	s_lshl_b32 s3, s3, 23
	s_ashr_i32 s2, s2, 8
	s_sub_i32 s3, s4, s3
	s_and_b32 s2, s2, 0x7f800000
	s_add_i32 s3, s3, 0x3c000000
	s_or_b32 s2, s3, s2
	s_cmp_lg_u32 s0, 0
	s_cselect_b32 s0, s2, 0
	s_or_b32 s0, s0, s1
	v_trunc_f32_e32 v2, s0
	s_mov_b32 s0, 0x2f800000
	v_mul_f32_e64 v3, |v2|, s0
	v_floor_f32_e32 v3, v3
	s_mov_b32 s0, 0xcf800000
	v_fma_f32 v4, v3, s0, |v2|
	v_cvt_u32_f32_e32 v4, v4
	v_cvt_u32_f32_e32 v3, v3
	v_ashrrev_i32_e32 v5, 31, v2
	s_mov_b64 s[0:1], 0
	v_xor_b32_e32 v2, v4, v5
	v_xor_b32_e32 v3, v3, v5
	v_sub_co_u32_e32 v2, vcc, v2, v5
	v_subb_co_u32_e32 v3, vcc, v3, v5, vcc
	global_store_dwordx2 v[0:1], v[2:3], off
.LBB134_832:
	s_andn2_b64 vcc, exec, s[0:1]
	s_cbranch_vccnz .LBB134_834
; %bb.833:
	s_lshl_b32 s0, s11, 24
	s_and_b32 s1, s0, 0x80000000
	s_and_b32 s0, s0, 0x7f000000
	s_flbit_i32_b32 s2, s0
	s_min_u32 s2, s2, 32
	v_sub_u32_e64 v2, s2, 4 clamp
	v_readfirstlane_b32 s3, v2
	s_lshl_b32 s4, s0, s3
	s_add_i32 s2, s0, 0x1000000
	s_lshr_b32 s4, s4, 4
	s_lshl_b32 s3, s3, 23
	s_ashr_i32 s2, s2, 8
	s_sub_i32 s3, s4, s3
	s_and_b32 s2, s2, 0x7f800000
	s_add_i32 s3, s3, 0x3c000000
	s_or_b32 s2, s3, s2
	s_cmp_lg_u32 s0, 0
	s_cselect_b32 s0, s2, 0
	s_or_b32 s0, s0, s1
	v_cvt_i32_f32_e32 v2, s0
	global_store_dword v[0:1], v2, off
.LBB134_834:
	s_mov_b64 s[0:1], 0
.LBB134_835:
	s_andn2_b64 vcc, exec, s[0:1]
	s_cbranch_vccnz .LBB134_837
; %bb.836:
	s_lshl_b32 s0, s11, 24
	s_and_b32 s1, s0, 0x80000000
	s_and_b32 s0, s0, 0x7f000000
	s_flbit_i32_b32 s2, s0
	s_min_u32 s2, s2, 32
	v_sub_u32_e64 v2, s2, 4 clamp
	v_readfirstlane_b32 s3, v2
	s_lshl_b32 s4, s0, s3
	s_add_i32 s2, s0, 0x1000000
	s_lshr_b32 s4, s4, 4
	s_lshl_b32 s3, s3, 23
	s_ashr_i32 s2, s2, 8
	s_sub_i32 s3, s4, s3
	s_and_b32 s2, s2, 0x7f800000
	s_add_i32 s3, s3, 0x3c000000
	s_or_b32 s2, s3, s2
	s_cmp_lg_u32 s0, 0
	s_cselect_b32 s0, s2, 0
	s_or_b32 s0, s0, s1
	v_cvt_i32_f32_e32 v2, s0
	global_store_short v[0:1], v2, off
.LBB134_837:
	s_mov_b64 s[0:1], 0
.LBB134_838:
	s_andn2_b64 vcc, exec, s[0:1]
	s_cbranch_vccnz .LBB134_843
; %bb.839:
	s_sext_i32_i16 s0, s33
	s_cmp_gt_i32 s0, 0
	s_mov_b64 s[0:1], -1
	s_cbranch_scc0 .LBB134_841
; %bb.840:
	s_lshl_b32 s0, s11, 24
	s_and_b32 s1, s0, 0x80000000
	s_and_b32 s0, s0, 0x7f000000
	s_flbit_i32_b32 s2, s0
	s_min_u32 s2, s2, 32
	v_sub_u32_e64 v2, s2, 4 clamp
	v_readfirstlane_b32 s3, v2
	s_lshl_b32 s4, s0, s3
	s_add_i32 s2, s0, 0x1000000
	s_lshr_b32 s4, s4, 4
	s_lshl_b32 s3, s3, 23
	s_ashr_i32 s2, s2, 8
	s_sub_i32 s3, s4, s3
	s_and_b32 s2, s2, 0x7f800000
	s_add_i32 s3, s3, 0x3c000000
	s_or_b32 s2, s3, s2
	s_cmp_lg_u32 s0, 0
	s_cselect_b32 s0, s2, 0
	s_or_b32 s0, s0, s1
	v_cvt_i32_f32_e32 v2, s0
	s_mov_b64 s[0:1], 0
	global_store_byte v[0:1], v2, off
.LBB134_841:
	s_andn2_b64 vcc, exec, s[0:1]
	s_cbranch_vccnz .LBB134_843
; %bb.842:
	s_lshl_b32 s0, s11, 24
	s_and_b32 s1, s0, 0x80000000
	s_and_b32 s0, s0, 0x7f000000
	s_flbit_i32_b32 s2, s0
	s_min_u32 s2, s2, 32
	v_sub_u32_e64 v2, s2, 4 clamp
	v_readfirstlane_b32 s3, v2
	s_lshl_b32 s4, s0, s3
	s_add_i32 s2, s0, 0x1000000
	s_lshr_b32 s4, s4, 4
	s_lshl_b32 s3, s3, 23
	s_ashr_i32 s2, s2, 8
	s_sub_i32 s3, s4, s3
	s_and_b32 s2, s2, 0x7f800000
	s_add_i32 s3, s3, 0x3c000000
	s_or_b32 s2, s3, s2
	s_cmp_lg_u32 s0, 0
	s_cselect_b32 s0, s2, 0
	s_or_b32 s0, s0, s1
	v_trunc_f32_e32 v2, s0
	s_mov_b32 s0, 0x2f800000
	v_mul_f32_e64 v3, |v2|, s0
	v_floor_f32_e32 v3, v3
	s_mov_b32 s0, 0xcf800000
	v_fma_f32 v3, v3, s0, |v2|
	v_cvt_u32_f32_e32 v3, v3
	v_ashrrev_i32_e32 v2, 31, v2
	v_xor_b32_e32 v3, v3, v2
	v_sub_u32_e32 v2, v3, v2
	global_store_byte v[0:1], v2, off
	s_endpgm
.LBB134_843:
	s_endpgm
.LBB134_844:
	s_trap 2
	s_or_b64 s[4:5], s[4:5], exec
	s_cbranch_execz .LBB134_762
	s_branch .LBB134_763
.LBB134_845:
	s_mov_b64 s[12:13], -1
	s_mov_b64 s[8:9], 0
                                        ; implicit-def: $sgpr14
.LBB134_846:
	s_andn2_b64 vcc, exec, s[12:13]
	v_mov_b32_e32 v2, s14
	s_cbranch_vccnz .LBB134_848
; %bb.847:
	v_mov_b32_e32 v2, 0x42800000
	v_add_f32_e64 v2, |s10|, v2
	v_and_b32_e32 v2, 0xff, v2
	v_cmp_ne_u32_e64 s[8:9], 0, v2
.LBB134_848:
	s_andn2_b64 vcc, exec, s[8:9]
	v_mov_b32_e32 v3, 0
	s_cbranch_vccnz .LBB134_850
; %bb.849:
	s_lshr_b32 s8, s10, 24
	s_and_b32 s8, s8, 0x80
	v_or_b32_e32 v3, s8, v2
.LBB134_850:
	s_mov_b64 s[8:9], 0
	global_store_byte v[0:1], v3, off
.LBB134_851:
	s_and_b64 vcc, exec, s[8:9]
	s_cbranch_vccz .LBB134_853
; %bb.852:
	v_mov_b32_e32 v2, s11
	global_store_byte v[0:1], v2, off
.LBB134_853:
	s_mov_b64 s[8:9], 0
.LBB134_854:
	s_andn2_b64 vcc, exec, s[8:9]
	s_cbranch_vccnz .LBB134_866
; %bb.855:
	s_lshl_b32 s8, s11, 24
	s_and_b32 s9, s8, 0x80000000
	s_and_b32 s8, s8, 0x7f000000
	s_flbit_i32_b32 s10, s8
	s_min_u32 s10, s10, 32
	v_sub_u32_e64 v2, s10, 4 clamp
	v_readfirstlane_b32 s12, v2
	s_lshl_b32 s13, s8, s12
	s_add_i32 s10, s8, 0x1000000
	s_lshr_b32 s13, s13, 4
	s_lshl_b32 s12, s12, 23
	s_ashr_i32 s10, s10, 8
	s_sub_i32 s12, s13, s12
	s_and_b32 s10, s10, 0x7f800000
	s_add_i32 s12, s12, 0x3c000000
	s_or_b32 s10, s12, s10
	s_cmp_lg_u32 s8, 0
	s_cselect_b32 s8, s10, 0
	s_or_b32 s10, s8, s9
	s_and_b32 s12, s10, 0x7fffffff
	s_cmp_lt_u32 s12, 0x47800000
	s_cbranch_scc0 .LBB134_858
; %bb.856:
	s_cmp_gt_u32 s12, 0x387fffff
	s_cbranch_scc0 .LBB134_859
; %bb.857:
	s_bfe_u32 s8, s8, 0x10015
	s_add_i32 s8, s10, s8
	s_add_i32 s8, s8, 0x80fffff
	s_lshr_b32 s13, s8, 21
	s_mov_b64 s[8:9], 0
	s_branch .LBB134_860
.LBB134_858:
	s_mov_b64 s[8:9], -1
                                        ; implicit-def: $vgpr2
	s_branch .LBB134_863
.LBB134_859:
	s_mov_b64 s[8:9], -1
                                        ; implicit-def: $sgpr13
.LBB134_860:
	s_andn2_b64 vcc, exec, s[8:9]
	v_mov_b32_e32 v2, s13
	s_cbranch_vccnz .LBB134_862
; %bb.861:
	v_mov_b32_e32 v2, 0x43000000
	v_add_f32_e64 v2, |s10|, v2
.LBB134_862:
	s_mov_b64 s[8:9], 0
.LBB134_863:
	s_andn2_b64 vcc, exec, s[8:9]
	s_cbranch_vccnz .LBB134_865
; %bb.864:
	s_cmp_gt_u32 s12, 0x7f800000
	s_movk_i32 s8, 0x7f
	s_cselect_b32 s8, s8, 0x7c
	v_mov_b32_e32 v2, s8
.LBB134_865:
	s_lshr_b32 s8, s10, 24
	s_and_b32 s8, s8, 0x80
	v_or_b32_e32 v2, s8, v2
	global_store_byte v[0:1], v2, off
.LBB134_866:
	s_mov_b64 s[8:9], 0
.LBB134_867:
	s_andn2_b64 vcc, exec, s[8:9]
	s_mov_b64 s[8:9], 0
	s_cbranch_vccnz .LBB134_874
; %bb.868:
	s_cmp_gt_i32 s18, 14
	s_mov_b64 s[12:13], -1
	s_cbranch_scc0 .LBB134_872
; %bb.869:
	s_cmp_eq_u32 s18, 15
	s_mov_b64 s[6:7], -1
	s_cbranch_scc0 .LBB134_871
; %bb.870:
	s_lshl_b32 s6, s11, 24
	s_and_b32 s7, s6, 0x80000000
	s_and_b32 s6, s6, 0x7f000000
	s_flbit_i32_b32 s8, s6
	s_min_u32 s8, s8, 32
	v_sub_u32_e64 v2, s8, 4 clamp
	v_readfirstlane_b32 s9, v2
	s_lshl_b32 s10, s6, s9
	s_add_i32 s8, s6, 0x1000000
	s_lshr_b32 s10, s10, 4
	s_lshl_b32 s9, s9, 23
	s_ashr_i32 s8, s8, 8
	s_sub_i32 s9, s10, s9
	s_and_b32 s8, s8, 0x7f800000
	s_add_i32 s9, s9, 0x3c000000
	s_or_b32 s8, s9, s8
	s_cmp_lg_u32 s6, 0
	s_cselect_b32 s6, s8, 0
	s_or_b32 s7, s6, s7
	s_bfe_u32 s6, s6, 0x10010
	s_add_i32 s6, s7, s6
	s_addk_i32 s6, 0x7fff
	s_lshr_b32 s8, s6, 16
	v_cmp_o_f32_e64 s[6:7], s7, s7
	s_and_b64 s[6:7], s[6:7], exec
	s_cselect_b32 s6, s8, 0x7fc0
	v_mov_b32_e32 v2, s6
	global_store_short v[0:1], v2, off
	s_mov_b64 s[6:7], 0
.LBB134_871:
	s_mov_b64 s[12:13], 0
.LBB134_872:
	s_mov_b64 s[8:9], 0
	s_and_b64 vcc, exec, s[12:13]
	s_cbranch_vccz .LBB134_874
; %bb.873:
	s_cmp_lg_u32 s18, 11
	s_mov_b64 s[8:9], -1
	s_cselect_b64 s[6:7], -1, 0
.LBB134_874:
	s_and_b64 vcc, exec, s[6:7]
	s_cbranch_vccnz .LBB134_876
.LBB134_875:
	s_mov_b64 s[6:7], 0
	s_branch .LBB134_803
.LBB134_876:
	s_mov_b64 s[8:9], 0
	s_or_b64 s[4:5], s[4:5], exec
	s_trap 2
	s_branch .LBB134_875
	.section	.rodata,"a",@progbits
	.p2align	6, 0x0
	.amdhsa_kernel _ZN2at6native32elementwise_kernel_manual_unrollILi128ELi4EZNS0_15gpu_kernel_implINS0_11FillFunctorIN3c1013Float8_e4m3fnEEEEEvRNS_18TensorIteratorBaseERKT_EUlibE_EEviT1_
		.amdhsa_group_segment_fixed_size 0
		.amdhsa_private_segment_fixed_size 0
		.amdhsa_kernarg_size 24
		.amdhsa_user_sgpr_count 6
		.amdhsa_user_sgpr_private_segment_buffer 1
		.amdhsa_user_sgpr_dispatch_ptr 0
		.amdhsa_user_sgpr_queue_ptr 0
		.amdhsa_user_sgpr_kernarg_segment_ptr 1
		.amdhsa_user_sgpr_dispatch_id 0
		.amdhsa_user_sgpr_flat_scratch_init 0
		.amdhsa_user_sgpr_private_segment_size 0
		.amdhsa_uses_dynamic_stack 0
		.amdhsa_system_sgpr_private_segment_wavefront_offset 0
		.amdhsa_system_sgpr_workgroup_id_x 1
		.amdhsa_system_sgpr_workgroup_id_y 0
		.amdhsa_system_sgpr_workgroup_id_z 0
		.amdhsa_system_sgpr_workgroup_info 0
		.amdhsa_system_vgpr_workitem_id 0
		.amdhsa_next_free_vgpr 18
		.amdhsa_next_free_sgpr 56
		.amdhsa_reserve_vcc 1
		.amdhsa_reserve_flat_scratch 0
		.amdhsa_float_round_mode_32 0
		.amdhsa_float_round_mode_16_64 0
		.amdhsa_float_denorm_mode_32 3
		.amdhsa_float_denorm_mode_16_64 3
		.amdhsa_dx10_clamp 1
		.amdhsa_ieee_mode 1
		.amdhsa_fp16_overflow 0
		.amdhsa_exception_fp_ieee_invalid_op 0
		.amdhsa_exception_fp_denorm_src 0
		.amdhsa_exception_fp_ieee_div_zero 0
		.amdhsa_exception_fp_ieee_overflow 0
		.amdhsa_exception_fp_ieee_underflow 0
		.amdhsa_exception_fp_ieee_inexact 0
		.amdhsa_exception_int_div_zero 0
	.end_amdhsa_kernel
	.section	.text._ZN2at6native32elementwise_kernel_manual_unrollILi128ELi4EZNS0_15gpu_kernel_implINS0_11FillFunctorIN3c1013Float8_e4m3fnEEEEEvRNS_18TensorIteratorBaseERKT_EUlibE_EEviT1_,"axG",@progbits,_ZN2at6native32elementwise_kernel_manual_unrollILi128ELi4EZNS0_15gpu_kernel_implINS0_11FillFunctorIN3c1013Float8_e4m3fnEEEEEvRNS_18TensorIteratorBaseERKT_EUlibE_EEviT1_,comdat
.Lfunc_end134:
	.size	_ZN2at6native32elementwise_kernel_manual_unrollILi128ELi4EZNS0_15gpu_kernel_implINS0_11FillFunctorIN3c1013Float8_e4m3fnEEEEEvRNS_18TensorIteratorBaseERKT_EUlibE_EEviT1_, .Lfunc_end134-_ZN2at6native32elementwise_kernel_manual_unrollILi128ELi4EZNS0_15gpu_kernel_implINS0_11FillFunctorIN3c1013Float8_e4m3fnEEEEEvRNS_18TensorIteratorBaseERKT_EUlibE_EEviT1_
                                        ; -- End function
	.set _ZN2at6native32elementwise_kernel_manual_unrollILi128ELi4EZNS0_15gpu_kernel_implINS0_11FillFunctorIN3c1013Float8_e4m3fnEEEEEvRNS_18TensorIteratorBaseERKT_EUlibE_EEviT1_.num_vgpr, 18
	.set _ZN2at6native32elementwise_kernel_manual_unrollILi128ELi4EZNS0_15gpu_kernel_implINS0_11FillFunctorIN3c1013Float8_e4m3fnEEEEEvRNS_18TensorIteratorBaseERKT_EUlibE_EEviT1_.num_agpr, 0
	.set _ZN2at6native32elementwise_kernel_manual_unrollILi128ELi4EZNS0_15gpu_kernel_implINS0_11FillFunctorIN3c1013Float8_e4m3fnEEEEEvRNS_18TensorIteratorBaseERKT_EUlibE_EEviT1_.numbered_sgpr, 56
	.set _ZN2at6native32elementwise_kernel_manual_unrollILi128ELi4EZNS0_15gpu_kernel_implINS0_11FillFunctorIN3c1013Float8_e4m3fnEEEEEvRNS_18TensorIteratorBaseERKT_EUlibE_EEviT1_.num_named_barrier, 0
	.set _ZN2at6native32elementwise_kernel_manual_unrollILi128ELi4EZNS0_15gpu_kernel_implINS0_11FillFunctorIN3c1013Float8_e4m3fnEEEEEvRNS_18TensorIteratorBaseERKT_EUlibE_EEviT1_.private_seg_size, 0
	.set _ZN2at6native32elementwise_kernel_manual_unrollILi128ELi4EZNS0_15gpu_kernel_implINS0_11FillFunctorIN3c1013Float8_e4m3fnEEEEEvRNS_18TensorIteratorBaseERKT_EUlibE_EEviT1_.uses_vcc, 1
	.set _ZN2at6native32elementwise_kernel_manual_unrollILi128ELi4EZNS0_15gpu_kernel_implINS0_11FillFunctorIN3c1013Float8_e4m3fnEEEEEvRNS_18TensorIteratorBaseERKT_EUlibE_EEviT1_.uses_flat_scratch, 0
	.set _ZN2at6native32elementwise_kernel_manual_unrollILi128ELi4EZNS0_15gpu_kernel_implINS0_11FillFunctorIN3c1013Float8_e4m3fnEEEEEvRNS_18TensorIteratorBaseERKT_EUlibE_EEviT1_.has_dyn_sized_stack, 0
	.set _ZN2at6native32elementwise_kernel_manual_unrollILi128ELi4EZNS0_15gpu_kernel_implINS0_11FillFunctorIN3c1013Float8_e4m3fnEEEEEvRNS_18TensorIteratorBaseERKT_EUlibE_EEviT1_.has_recursion, 0
	.set _ZN2at6native32elementwise_kernel_manual_unrollILi128ELi4EZNS0_15gpu_kernel_implINS0_11FillFunctorIN3c1013Float8_e4m3fnEEEEEvRNS_18TensorIteratorBaseERKT_EUlibE_EEviT1_.has_indirect_call, 0
	.section	.AMDGPU.csdata,"",@progbits
; Kernel info:
; codeLenInByte = 19828
; TotalNumSgprs: 60
; NumVgprs: 18
; ScratchSize: 0
; MemoryBound: 0
; FloatMode: 240
; IeeeMode: 1
; LDSByteSize: 0 bytes/workgroup (compile time only)
; SGPRBlocks: 7
; VGPRBlocks: 4
; NumSGPRsForWavesPerEU: 60
; NumVGPRsForWavesPerEU: 18
; Occupancy: 10
; WaveLimiterHint : 0
; COMPUTE_PGM_RSRC2:SCRATCH_EN: 0
; COMPUTE_PGM_RSRC2:USER_SGPR: 6
; COMPUTE_PGM_RSRC2:TRAP_HANDLER: 0
; COMPUTE_PGM_RSRC2:TGID_X_EN: 1
; COMPUTE_PGM_RSRC2:TGID_Y_EN: 0
; COMPUTE_PGM_RSRC2:TGID_Z_EN: 0
; COMPUTE_PGM_RSRC2:TIDIG_COMP_CNT: 0
	.section	.text._ZN2at6native32elementwise_kernel_manual_unrollILi128ELi4EZNS0_15gpu_kernel_implINS0_11FillFunctorIN3c1013Float8_e4m3fnEEEEEvRNS_18TensorIteratorBaseERKT_EUlibE0_EEviT1_,"axG",@progbits,_ZN2at6native32elementwise_kernel_manual_unrollILi128ELi4EZNS0_15gpu_kernel_implINS0_11FillFunctorIN3c1013Float8_e4m3fnEEEEEvRNS_18TensorIteratorBaseERKT_EUlibE0_EEviT1_,comdat
	.protected	_ZN2at6native32elementwise_kernel_manual_unrollILi128ELi4EZNS0_15gpu_kernel_implINS0_11FillFunctorIN3c1013Float8_e4m3fnEEEEEvRNS_18TensorIteratorBaseERKT_EUlibE0_EEviT1_ ; -- Begin function _ZN2at6native32elementwise_kernel_manual_unrollILi128ELi4EZNS0_15gpu_kernel_implINS0_11FillFunctorIN3c1013Float8_e4m3fnEEEEEvRNS_18TensorIteratorBaseERKT_EUlibE0_EEviT1_
	.globl	_ZN2at6native32elementwise_kernel_manual_unrollILi128ELi4EZNS0_15gpu_kernel_implINS0_11FillFunctorIN3c1013Float8_e4m3fnEEEEEvRNS_18TensorIteratorBaseERKT_EUlibE0_EEviT1_
	.p2align	8
	.type	_ZN2at6native32elementwise_kernel_manual_unrollILi128ELi4EZNS0_15gpu_kernel_implINS0_11FillFunctorIN3c1013Float8_e4m3fnEEEEEvRNS_18TensorIteratorBaseERKT_EUlibE0_EEviT1_,@function
_ZN2at6native32elementwise_kernel_manual_unrollILi128ELi4EZNS0_15gpu_kernel_implINS0_11FillFunctorIN3c1013Float8_e4m3fnEEEEEvRNS_18TensorIteratorBaseERKT_EUlibE0_EEviT1_: ; @_ZN2at6native32elementwise_kernel_manual_unrollILi128ELi4EZNS0_15gpu_kernel_implINS0_11FillFunctorIN3c1013Float8_e4m3fnEEEEEvRNS_18TensorIteratorBaseERKT_EUlibE0_EEviT1_
; %bb.0:
	s_load_dword s85, s[4:5], 0x0
	s_load_dword s33, s[4:5], 0x8
	s_add_u32 s28, s4, 8
	s_addc_u32 s29, s5, 0
	v_lshl_or_b32 v11, s6, 9, v0
	v_or_b32_e32 v8, 0x180, v11
	s_waitcnt lgkmcnt(0)
	s_add_i32 s74, s33, -1
	s_cmp_gt_u32 s74, 1
	v_cmp_le_i32_e32 vcc, s85, v8
	s_cselect_b64 s[30:31], -1, 0
	s_mov_b64 s[6:7], 0
	s_mov_b64 s[20:21], 0
	s_and_saveexec_b64 s[0:1], vcc
	s_xor_b64 s[34:35], exec, s[0:1]
	s_cbranch_execz .LBB135_462
; %bb.1:
	s_cmp_lg_u32 s33, 0
	s_cselect_b64 s[58:59], -1, 0
	s_add_u32 s56, s28, 0xc4
	s_load_dwordx2 s[50:51], s[28:29], 0xc4
	s_load_dwordx2 s[48:49], s[28:29], 0x108
	s_load_dword s77, s[28:29], 0x110
	s_load_dwordx4 s[16:19], s[28:29], 0x4
	s_load_dwordx2 s[52:53], s[28:29], 0x14
	s_addc_u32 s57, s29, 0
	s_min_u32 s86, s74, 15
	s_cmp_gt_u32 s33, 1
	s_cselect_b64 s[54:55], -1, 0
	s_waitcnt lgkmcnt(0)
	s_lshl_b32 s0, s77, 24
	s_and_b32 s1, s0, 0x80000000
	s_and_b32 s0, s0, 0x7f000000
	s_flbit_i32_b32 s2, s0
	s_min_u32 s2, s2, 32
	v_sub_u32_e64 v0, s2, 4 clamp
	v_readfirstlane_b32 s3, v0
	s_lshl_b32 s4, s0, s3
	s_add_i32 s2, s0, 0x1000000
	s_lshr_b32 s4, s4, 4
	s_lshl_b32 s3, s3, 23
	s_ashr_i32 s2, s2, 8
	s_sub_i32 s3, s4, s3
	s_and_b32 s2, s2, 0x7f800000
	s_add_i32 s3, s3, 0x3c000000
	s_bfe_u32 s75, s77, 0x80008
	s_or_b32 s2, s3, s2
	s_cmp_lg_u32 s0, 0
	s_cselect_b32 s8, s2, 0
	s_or_b32 s76, s8, s1
	s_lshr_b32 s9, s8, 23
	s_cmpk_eq_i32 s9, 0xff
	s_cselect_b64 s[4:5], -1, 0
	s_bitcmp1_b32 s8, 22
	s_cselect_b64 s[0:1], -1, 0
	s_and_b32 s2, s8, 0x3fffff
	s_or_b32 s2, s9, s2
	v_trunc_f32_e32 v2, s76
	s_cmp_lg_u32 s2, 0
	v_mul_f32_e32 v0, 0x2f800000, v2
	s_cselect_b64 s[2:3], -1, 0
	v_floor_f32_e32 v0, v0
	v_mov_b32_e32 v1, v2
	s_and_b64 s[0:1], s[0:1], s[2:3]
	v_fmac_f32_e32 v1, 0xcf800000, v0
	v_cvt_u32_f32_e32 v7, v0
	v_cndmask_b32_e64 v0, 0, 1, s[0:1]
	v_add_u32_e32 v17, s9, v0
	s_and_b32 s9, s76, 0x7fffffff
	s_cmp_lt_u32 s9, 0x43800000
	s_cselect_b64 s[44:45], -1, 0
	s_cmp_gt_u32 s9, 0x3bffffff
	s_cselect_b64 s[2:3], -1, 0
	s_bfe_u32 s0, s8, 0x10014
	s_add_i32 s0, s76, s0
	v_mov_b32_e32 v0, 0x46000000
	s_add_i32 s0, s0, 0x487ffff
	v_add_f32_e64 v15, |s76|, v0
	s_lshr_b32 s84, s0, 20
	v_readfirstlane_b32 s0, v15
	s_and_b32 s0, s0, 0xff
	s_cmp_lg_u32 s0, 0
	s_cselect_b64 s[46:47], -1, 0
	s_lshr_b32 s0, s76, 24
	s_and_b32 s78, s0, 0x80
	s_cmp_gt_u32 s9, 0x477fffff
	s_cselect_b64 s[36:37], -1, 0
	s_cmp_lt_u32 s9, 0x47800000
	s_cselect_b64 s[40:41], -1, 0
	s_cmp_gt_u32 s9, 0x37ffffff
	s_cselect_b64 s[0:1], -1, 0
	s_bfe_u32 s12, s8, 0x10015
	s_add_i32 s12, s76, s12
	v_mov_b32_e32 v0, 0x42800000
	s_add_i32 s13, s12, 0x88fffff
	v_add_f32_e64 v14, |s76|, v0
	s_lshr_b32 s83, s13, 21
	v_readfirstlane_b32 s13, v14
	s_and_b32 s13, s13, 0xff
	s_cmp_lg_u32 s13, 0
	s_cselect_b64 s[42:43], -1, 0
	s_cmp_lt_u32 s9, 0x38800000
	s_mov_b32 s10, 0x2f800000
	s_cselect_b64 s[38:39], -1, 0
	s_add_i32 s12, s12, 0x80fffff
	s_lshr_b32 s80, s12, 21
	v_mul_f32_e64 v3, |v2|, s10
	s_mov_b32 s11, 0xcf800000
	s_cmp_gt_u32 s9, 0x7f800000
	s_movk_i32 s9, 0x7f
	v_floor_f32_e32 v3, v3
	s_cselect_b32 s82, s9, 0x7c
	s_bfe_u32 s8, s8, 0x10010
	v_fma_f32 v4, v3, s11, |v2|
	s_add_i32 s8, s76, s8
	v_cvt_u32_f32_e32 v4, v4
	s_addk_i32 s8, 0x7fff
	v_cvt_u32_f32_e32 v3, v3
	v_mov_b32_e32 v0, 0x43000000
	s_lshr_b32 s12, s8, 16
	v_cmp_o_f32_e64 s[8:9], s76, s76
	v_add_f32_e64 v0, |s76|, v0
	s_and_b64 s[8:9], s[8:9], exec
	v_ashrrev_i32_e32 v2, 31, v2
	v_cvt_u32_f32_e32 v6, v1
	v_cvt_u32_f32_e32 v16, s76
	v_readfirstlane_b32 s81, v0
	s_cselect_b32 s79, s12, 0x7fc0
	s_and_b32 s8, s77, 0x7f
	v_cvt_f64_f32_e32 v[0:1], s76
	v_cvt_f16_f32_e32 v12, s76
	v_xor_b32_e32 v4, v4, v2
	v_cvt_i32_f32_e32 v10, s76
	s_cmp_lg_u32 s8, 0
	v_xor_b32_e32 v3, v3, v2
	v_sub_co_u32_e32 v4, vcc, v4, v2
	s_cselect_b64 s[8:9], -1, 0
	v_subb_co_u32_e32 v5, vcc, v3, v2, vcc
	v_cndmask_b32_e64 v13, 0, 1, s[8:9]
	v_cmp_gt_i32_e32 vcc, s85, v11
	s_mov_b64 s[10:11], -1
	s_mov_b64 s[66:67], 0
	s_mov_b64 s[60:61], 0
	s_and_saveexec_b64 s[62:63], vcc
	s_cbranch_execz .LBB135_114
; %bb.2:
	s_andn2_b64 vcc, exec, s[30:31]
	s_cbranch_vccnz .LBB135_7
; %bb.3:
	s_andn2_b64 vcc, exec, s[58:59]
	s_cbranch_vccnz .LBB135_8
; %bb.4:
	s_add_i32 s69, s86, 1
	s_cmp_eq_u32 s74, 2
	s_cbranch_scc1 .LBB135_9
; %bb.5:
	s_and_b32 s68, s69, 28
	s_mov_b32 s70, 0
	v_mov_b32_e32 v2, 0
	s_mov_b64 s[60:61], s[28:29]
	s_mov_b64 s[64:65], s[56:57]
	v_mov_b32_e32 v3, v11
.LBB135_6:                              ; =>This Inner Loop Header: Depth=1
	s_load_dwordx8 s[8:15], s[60:61], 0x4
	s_load_dwordx4 s[20:23], s[60:61], 0x24
	s_load_dwordx4 s[24:27], s[64:65], 0x0
	s_add_u32 s60, s60, 48
	s_addc_u32 s61, s61, 0
	s_waitcnt lgkmcnt(0)
	v_mul_hi_u32 v8, s9, v3
	s_add_i32 s70, s70, 4
	s_add_u32 s64, s64, 16
	s_addc_u32 s65, s65, 0
	v_add_u32_e32 v8, v3, v8
	v_lshrrev_b32_e32 v8, s10, v8
	v_mul_lo_u32 v9, v8, s8
	v_mul_hi_u32 v18, s12, v8
	s_cmp_lg_u32 s68, s70
	v_sub_u32_e32 v3, v3, v9
	v_add_u32_e32 v9, v8, v18
	v_lshrrev_b32_e32 v9, s13, v9
	v_mul_lo_u32 v18, v3, s24
	v_mul_hi_u32 v3, s15, v9
	v_mul_lo_u32 v20, v9, s11
	v_add_u32_e32 v3, v9, v3
	v_lshrrev_b32_e32 v19, s20, v3
	v_mul_hi_u32 v3, s22, v19
	v_sub_u32_e32 v8, v8, v20
	v_mul_lo_u32 v20, v19, s14
	v_mul_lo_u32 v8, v8, s25
	v_add_u32_e32 v3, v19, v3
	v_lshrrev_b32_e32 v3, s23, v3
	v_mul_lo_u32 v21, v3, s21
	v_sub_u32_e32 v9, v9, v20
	v_mul_lo_u32 v9, v9, s26
	v_add3_u32 v2, v18, v2, v8
	v_sub_u32_e32 v19, v19, v21
	v_mul_lo_u32 v19, v19, s27
	v_add3_u32 v2, v9, v2, v19
	s_cbranch_scc1 .LBB135_6
	s_branch .LBB135_10
.LBB135_7:
                                        ; implicit-def: $vgpr2
	s_branch .LBB135_14
.LBB135_8:
	v_mov_b32_e32 v2, 0
	s_branch .LBB135_13
.LBB135_9:
	v_mov_b32_e32 v2, 0
	s_mov_b32 s68, 0
	v_mov_b32_e32 v3, v11
.LBB135_10:
	s_and_b32 s12, s69, 3
	s_cmp_eq_u32 s12, 0
	s_cbranch_scc1 .LBB135_13
; %bb.11:
	s_lshl_b32 s8, s68, 2
	s_add_u32 s8, s28, s8
	s_addc_u32 s9, s29, 0
	s_add_u32 s8, s8, 0xc4
	s_addc_u32 s9, s9, 0
	s_mul_i32 s10, s68, 12
	s_add_u32 s10, s28, s10
	s_addc_u32 s11, s29, 0
.LBB135_12:                             ; =>This Inner Loop Header: Depth=1
	s_load_dwordx2 s[14:15], s[10:11], 0x4
	s_load_dword s13, s[10:11], 0xc
	s_add_u32 s10, s10, 12
	s_addc_u32 s11, s11, 0
	s_waitcnt lgkmcnt(0)
	v_mul_hi_u32 v8, s15, v3
	s_load_dword s15, s[8:9], 0x0
	s_add_u32 s8, s8, 4
	s_addc_u32 s9, s9, 0
	v_add_u32_e32 v8, v3, v8
	v_lshrrev_b32_e32 v8, s13, v8
	v_mul_lo_u32 v9, v8, s14
	s_add_i32 s12, s12, -1
	s_cmp_lg_u32 s12, 0
	v_sub_u32_e32 v3, v3, v9
	s_waitcnt lgkmcnt(0)
	v_mad_u64_u32 v[2:3], s[14:15], v3, s15, v[2:3]
	v_mov_b32_e32 v3, v8
	s_cbranch_scc1 .LBB135_12
.LBB135_13:
	s_cbranch_execnz .LBB135_16
.LBB135_14:
	v_mul_hi_u32 v2, s17, v11
	s_andn2_b64 vcc, exec, s[54:55]
	v_add_u32_e32 v2, v11, v2
	v_lshrrev_b32_e32 v3, s18, v2
	v_mul_lo_u32 v2, v3, s16
	v_sub_u32_e32 v2, v11, v2
	v_mul_lo_u32 v2, v2, s50
	s_cbranch_vccnz .LBB135_16
; %bb.15:
	v_mul_hi_u32 v8, s52, v3
	v_add_u32_e32 v8, v3, v8
	v_lshrrev_b32_e32 v8, s53, v8
	v_mul_lo_u32 v8, v8, s19
	v_sub_u32_e32 v3, v3, v8
	v_mad_u64_u32 v[2:3], s[8:9], v3, s51, v[2:3]
.LBB135_16:
	v_mov_b32_e32 v3, s49
	s_and_b32 s14, 0xffff, s75
	v_add_co_u32_e32 v8, vcc, s48, v2
	s_cmp_lt_i32 s14, 11
	v_addc_co_u32_e32 v9, vcc, 0, v3, vcc
	s_cbranch_scc1 .LBB135_23
; %bb.17:
	s_cmp_gt_i32 s14, 25
	s_cbranch_scc0 .LBB135_26
; %bb.18:
	s_cmp_gt_i32 s14, 28
	s_cbranch_scc0 .LBB135_27
	;; [unrolled: 3-line block ×4, first 2 shown]
; %bb.21:
	s_mov_b64 s[12:13], 0
	s_mov_b64 s[8:9], -1
	s_cmp_eq_u32 s14, 46
	s_mov_b64 s[10:11], 0
	s_cbranch_scc0 .LBB135_30
; %bb.22:
	v_mov_b32_e32 v2, s79
	global_store_dword v[8:9], v2, off
	s_mov_b64 s[10:11], -1
	s_mov_b64 s[8:9], 0
	s_branch .LBB135_30
.LBB135_23:
	s_mov_b64 s[8:9], 0
	s_mov_b64 s[10:11], 0
	s_cbranch_execnz .LBB135_74
.LBB135_24:
	s_andn2_b64 vcc, exec, s[10:11]
	s_cbranch_vccnz .LBB135_112
.LBB135_25:
	v_add_u32_e32 v11, 0x80, v11
	s_mov_b64 s[10:11], -1
	s_branch .LBB135_113
.LBB135_26:
	s_mov_b64 s[8:9], 0
	s_mov_b64 s[10:11], 0
	s_cbranch_execnz .LBB135_52
	s_branch .LBB135_73
.LBB135_27:
	s_mov_b64 s[12:13], -1
	s_mov_b64 s[8:9], 0
	s_mov_b64 s[10:11], 0
	s_branch .LBB135_38
.LBB135_28:
	s_mov_b64 s[12:13], -1
	s_mov_b64 s[8:9], 0
	s_mov_b64 s[10:11], 0
	s_branch .LBB135_34
.LBB135_29:
	s_mov_b64 s[12:13], -1
	s_mov_b64 s[8:9], 0
	s_mov_b64 s[10:11], 0
.LBB135_30:
	s_and_b64 vcc, exec, s[12:13]
	s_cbranch_vccz .LBB135_33
; %bb.31:
	s_cmp_eq_u32 s14, 44
	s_mov_b64 s[8:9], -1
	s_cbranch_scc0 .LBB135_33
; %bb.32:
	v_mov_b32_e32 v2, 0xffff
	v_cndmask_b32_e64 v2, v17, v2, s[4:5]
	global_store_byte v[8:9], v2, off
	s_mov_b64 s[10:11], -1
	s_mov_b64 s[8:9], 0
.LBB135_33:
	s_mov_b64 s[12:13], 0
.LBB135_34:
	s_and_b64 vcc, exec, s[12:13]
	s_cbranch_vccz .LBB135_37
; %bb.35:
	s_cmp_eq_u32 s14, 29
	s_mov_b64 s[8:9], -1
	s_cbranch_scc0 .LBB135_37
; %bb.36:
	global_store_dwordx2 v[8:9], v[6:7], off
	s_mov_b64 s[10:11], -1
	s_mov_b64 s[8:9], 0
.LBB135_37:
	s_mov_b64 s[12:13], 0
.LBB135_38:
	s_and_b64 vcc, exec, s[12:13]
	s_cbranch_vccz .LBB135_51
; %bb.39:
	s_cmp_lt_i32 s14, 27
	s_mov_b64 s[10:11], -1
	s_cbranch_scc1 .LBB135_45
; %bb.40:
	s_cmp_gt_i32 s14, 27
	s_cbranch_scc0 .LBB135_42
; %bb.41:
	s_mov_b64 s[10:11], 0
	global_store_dword v[8:9], v16, off
.LBB135_42:
	s_andn2_b64 vcc, exec, s[10:11]
	s_cbranch_vccnz .LBB135_44
; %bb.43:
	global_store_short v[8:9], v16, off
.LBB135_44:
	s_mov_b64 s[10:11], 0
.LBB135_45:
	s_andn2_b64 vcc, exec, s[10:11]
	s_cbranch_vccnz .LBB135_50
; %bb.46:
	s_andn2_b64 vcc, exec, s[44:45]
	v_mov_b32_e32 v2, 0x80
	s_cbranch_vccnz .LBB135_49
; %bb.47:
	s_or_b64 s[10:11], s[2:3], s[46:47]
	s_andn2_b64 vcc, exec, s[10:11]
	v_mov_b32_e32 v2, 0
	s_cbranch_vccnz .LBB135_49
; %bb.48:
	v_mov_b32_e32 v2, s84
	v_cndmask_b32_e64 v2, v15, v2, s[2:3]
	v_or_b32_e32 v2, s78, v2
.LBB135_49:
	global_store_byte v[8:9], v2, off
.LBB135_50:
	s_mov_b64 s[10:11], -1
.LBB135_51:
	s_branch .LBB135_73
.LBB135_52:
	s_cmp_gt_i32 s14, 22
	s_mov_b64 s[12:13], -1
	s_cbranch_scc0 .LBB135_65
; %bb.53:
	s_cmp_lt_i32 s14, 24
	s_mov_b64 s[10:11], -1
	s_cbranch_scc1 .LBB135_62
; %bb.54:
	s_cmp_gt_i32 s14, 24
	s_cbranch_scc0 .LBB135_59
; %bb.55:
	s_andn2_b64 vcc, exec, s[40:41]
	v_mov_b32_e32 v2, 0x80
	s_cbranch_vccnz .LBB135_58
; %bb.56:
	s_or_b64 s[10:11], s[0:1], s[42:43]
	s_andn2_b64 vcc, exec, s[10:11]
	v_mov_b32_e32 v2, 0
	s_cbranch_vccnz .LBB135_58
; %bb.57:
	v_mov_b32_e32 v2, s83
	v_cndmask_b32_e64 v2, v14, v2, s[0:1]
	v_or_b32_e32 v2, s78, v2
.LBB135_58:
	s_mov_b64 s[10:11], 0
	global_store_byte v[8:9], v2, off
.LBB135_59:
	s_and_b64 vcc, exec, s[10:11]
	s_cbranch_vccz .LBB135_61
; %bb.60:
	v_mov_b32_e32 v2, s77
	global_store_byte v[8:9], v2, off
.LBB135_61:
	s_mov_b64 s[10:11], 0
.LBB135_62:
	s_andn2_b64 vcc, exec, s[10:11]
	s_cbranch_vccnz .LBB135_64
; %bb.63:
	s_and_b64 s[10:11], s[38:39], exec
	s_cselect_b32 s12, s81, s80
	s_and_b64 s[10:11], s[36:37], exec
	s_cselect_b32 s10, s82, s12
	s_or_b32 s10, s10, s78
	v_mov_b32_e32 v2, s10
	global_store_byte v[8:9], v2, off
.LBB135_64:
	s_mov_b64 s[12:13], 0
	s_mov_b64 s[10:11], -1
.LBB135_65:
	s_andn2_b64 vcc, exec, s[12:13]
	s_cbranch_vccnz .LBB135_73
; %bb.66:
	s_cmp_gt_i32 s14, 14
	s_mov_b64 s[12:13], -1
	s_cbranch_scc0 .LBB135_70
; %bb.67:
	s_cmp_eq_u32 s14, 15
	s_mov_b64 s[8:9], -1
	s_cbranch_scc0 .LBB135_69
; %bb.68:
	v_mov_b32_e32 v2, s79
	global_store_short v[8:9], v2, off
	s_mov_b64 s[10:11], -1
	s_mov_b64 s[8:9], 0
.LBB135_69:
	s_mov_b64 s[12:13], 0
.LBB135_70:
	s_and_b64 vcc, exec, s[12:13]
	s_cbranch_vccz .LBB135_73
; %bb.71:
	s_cmp_eq_u32 s14, 11
	s_mov_b64 s[8:9], -1
	s_cbranch_scc0 .LBB135_73
; %bb.72:
	s_mov_b64 s[10:11], -1
	s_mov_b64 s[8:9], 0
	global_store_byte v[8:9], v13, off
.LBB135_73:
	s_branch .LBB135_24
.LBB135_74:
	s_cmp_lt_i32 s14, 5
	s_mov_b64 s[10:11], -1
	s_cbranch_scc1 .LBB135_95
; %bb.75:
	s_cmp_lt_i32 s14, 8
	s_cbranch_scc1 .LBB135_85
; %bb.76:
	s_cmp_lt_i32 s14, 9
	s_cbranch_scc1 .LBB135_82
; %bb.77:
	s_cmp_gt_i32 s14, 9
	s_cbranch_scc0 .LBB135_79
; %bb.78:
	v_mov_b32_e32 v2, 0
	v_mov_b32_e32 v3, v2
	global_store_dwordx4 v[8:9], v[0:3], off
	s_mov_b64 s[10:11], 0
.LBB135_79:
	s_andn2_b64 vcc, exec, s[10:11]
	s_cbranch_vccnz .LBB135_81
; %bb.80:
	v_mov_b32_e32 v2, s76
	v_mov_b32_e32 v3, 0
	global_store_dwordx2 v[8:9], v[2:3], off
.LBB135_81:
	s_mov_b64 s[10:11], 0
.LBB135_82:
	s_andn2_b64 vcc, exec, s[10:11]
	s_cbranch_vccnz .LBB135_84
; %bb.83:
	global_store_dword v[8:9], v12, off
.LBB135_84:
	s_mov_b64 s[10:11], 0
.LBB135_85:
	s_andn2_b64 vcc, exec, s[10:11]
	s_cbranch_vccnz .LBB135_94
; %bb.86:
	s_cmp_lt_i32 s14, 6
	s_mov_b64 s[10:11], -1
	s_cbranch_scc1 .LBB135_92
; %bb.87:
	s_cmp_gt_i32 s14, 6
	s_cbranch_scc0 .LBB135_89
; %bb.88:
	global_store_dwordx2 v[8:9], v[0:1], off
	s_mov_b64 s[10:11], 0
.LBB135_89:
	s_andn2_b64 vcc, exec, s[10:11]
	s_cbranch_vccnz .LBB135_91
; %bb.90:
	v_mov_b32_e32 v2, s76
	global_store_dword v[8:9], v2, off
.LBB135_91:
	s_mov_b64 s[10:11], 0
.LBB135_92:
	s_andn2_b64 vcc, exec, s[10:11]
	s_cbranch_vccnz .LBB135_94
; %bb.93:
	global_store_short v[8:9], v12, off
.LBB135_94:
	s_mov_b64 s[10:11], 0
.LBB135_95:
	s_andn2_b64 vcc, exec, s[10:11]
	s_cbranch_vccnz .LBB135_111
; %bb.96:
	s_cmp_lt_i32 s14, 2
	s_mov_b64 s[10:11], -1
	s_cbranch_scc1 .LBB135_106
; %bb.97:
	s_cmp_lt_i32 s14, 3
	s_cbranch_scc1 .LBB135_103
; %bb.98:
	s_cmp_gt_i32 s14, 3
	s_cbranch_scc0 .LBB135_100
; %bb.99:
	global_store_dwordx2 v[8:9], v[4:5], off
	s_mov_b64 s[10:11], 0
.LBB135_100:
	s_andn2_b64 vcc, exec, s[10:11]
	s_cbranch_vccnz .LBB135_102
; %bb.101:
	global_store_dword v[8:9], v10, off
.LBB135_102:
	s_mov_b64 s[10:11], 0
.LBB135_103:
	s_andn2_b64 vcc, exec, s[10:11]
	s_cbranch_vccnz .LBB135_105
; %bb.104:
	global_store_short v[8:9], v10, off
.LBB135_105:
	s_mov_b64 s[10:11], 0
.LBB135_106:
	s_andn2_b64 vcc, exec, s[10:11]
	s_cbranch_vccnz .LBB135_111
; %bb.107:
	s_cmp_gt_i32 s14, 0
	s_mov_b64 s[10:11], -1
	s_cbranch_scc0 .LBB135_109
; %bb.108:
	global_store_byte v[8:9], v10, off
	s_mov_b64 s[10:11], 0
.LBB135_109:
	s_andn2_b64 vcc, exec, s[10:11]
	s_cbranch_vccnz .LBB135_111
; %bb.110:
	global_store_byte v[8:9], v4, off
.LBB135_111:
	s_branch .LBB135_25
.LBB135_112:
	s_mov_b64 s[10:11], 0
                                        ; implicit-def: $vgpr11
.LBB135_113:
	s_and_b64 s[60:61], s[8:9], exec
	s_orn2_b64 s[10:11], s[10:11], exec
.LBB135_114:
	s_or_b64 exec, exec, s[62:63]
	s_mov_b64 s[8:9], 0
                                        ; implicit-def: $vgpr8_vgpr9
	s_and_saveexec_b64 s[62:63], s[10:11]
	s_cbranch_execz .LBB135_121
; %bb.115:
	v_cmp_gt_i32_e32 vcc, s85, v11
	s_mov_b64 s[8:9], -1
	s_mov_b64 s[64:65], s[60:61]
	s_and_saveexec_b64 s[66:67], vcc
	s_cbranch_execz .LBB135_232
; %bb.116:
	s_andn2_b64 vcc, exec, s[30:31]
	s_cbranch_vccnz .LBB135_124
; %bb.117:
	s_andn2_b64 vcc, exec, s[58:59]
	s_cbranch_vccnz .LBB135_125
; %bb.118:
	s_add_i32 s71, s86, 1
	s_cmp_eq_u32 s74, 2
	s_cbranch_scc1 .LBB135_126
; %bb.119:
	s_and_b32 s70, s71, 28
	s_mov_b32 s72, 0
	v_mov_b32_e32 v2, 0
	s_mov_b64 s[64:65], s[28:29]
	s_mov_b64 s[68:69], s[56:57]
	v_mov_b32_e32 v3, v11
.LBB135_120:                            ; =>This Inner Loop Header: Depth=1
	s_load_dwordx8 s[8:15], s[64:65], 0x4
	s_load_dwordx4 s[20:23], s[64:65], 0x24
	s_load_dwordx4 s[24:27], s[68:69], 0x0
	s_add_u32 s64, s64, 48
	s_addc_u32 s65, s65, 0
	s_waitcnt lgkmcnt(0)
	v_mul_hi_u32 v8, s9, v3
	s_add_i32 s72, s72, 4
	s_add_u32 s68, s68, 16
	s_addc_u32 s69, s69, 0
	v_add_u32_e32 v8, v3, v8
	v_lshrrev_b32_e32 v8, s10, v8
	v_mul_lo_u32 v9, v8, s8
	v_mul_hi_u32 v18, s12, v8
	s_cmp_eq_u32 s70, s72
	v_sub_u32_e32 v3, v3, v9
	v_add_u32_e32 v9, v8, v18
	v_lshrrev_b32_e32 v9, s13, v9
	v_mul_lo_u32 v18, v3, s24
	v_mul_hi_u32 v3, s15, v9
	v_mul_lo_u32 v20, v9, s11
	v_add_u32_e32 v3, v9, v3
	v_lshrrev_b32_e32 v19, s20, v3
	v_mul_hi_u32 v3, s22, v19
	v_sub_u32_e32 v8, v8, v20
	v_mul_lo_u32 v20, v19, s14
	v_mul_lo_u32 v8, v8, s25
	v_add_u32_e32 v3, v19, v3
	v_lshrrev_b32_e32 v3, s23, v3
	v_mul_lo_u32 v21, v3, s21
	v_sub_u32_e32 v9, v9, v20
	v_mul_lo_u32 v9, v9, s26
	v_add3_u32 v2, v18, v2, v8
	v_sub_u32_e32 v19, v19, v21
	v_mul_lo_u32 v19, v19, s27
	v_add3_u32 v2, v9, v2, v19
	s_cbranch_scc0 .LBB135_120
	s_branch .LBB135_127
.LBB135_121:
	s_or_b64 exec, exec, s[62:63]
	s_mov_b64 s[0:1], 0
	s_and_saveexec_b64 s[2:3], s[60:61]
	s_cbranch_execnz .LBB135_422
.LBB135_122:
	s_or_b64 exec, exec, s[2:3]
	s_and_saveexec_b64 s[2:3], s[66:67]
	s_xor_b64 s[2:3], exec, s[2:3]
	s_cbranch_execz .LBB135_423
.LBB135_123:
	global_store_byte v[8:9], v13, off
	s_or_b64 exec, exec, s[2:3]
	s_and_saveexec_b64 s[2:3], s[8:9]
	s_xor_b64 s[2:3], exec, s[2:3]
	s_cbranch_execz .LBB135_461
	s_branch .LBB135_424
.LBB135_124:
                                        ; implicit-def: $vgpr2
	s_andn2_b64 vcc, exec, s[8:9]
	s_cbranch_vccz .LBB135_131
	s_branch .LBB135_133
.LBB135_125:
	v_mov_b32_e32 v2, 0
	s_branch .LBB135_130
.LBB135_126:
	v_mov_b32_e32 v2, 0
	s_mov_b32 s70, 0
	v_mov_b32_e32 v3, v11
.LBB135_127:
	s_and_b32 s12, s71, 3
	s_cmp_eq_u32 s12, 0
	s_cbranch_scc1 .LBB135_130
; %bb.128:
	s_lshl_b32 s8, s70, 2
	s_add_u32 s8, s28, s8
	s_addc_u32 s9, s29, 0
	s_add_u32 s8, s8, 0xc4
	s_addc_u32 s9, s9, 0
	s_mul_i32 s10, s70, 12
	s_add_u32 s10, s28, s10
	s_addc_u32 s11, s29, 0
.LBB135_129:                            ; =>This Inner Loop Header: Depth=1
	s_load_dwordx2 s[14:15], s[10:11], 0x4
	s_load_dword s13, s[10:11], 0xc
	s_add_u32 s10, s10, 12
	s_addc_u32 s11, s11, 0
	s_waitcnt lgkmcnt(0)
	v_mul_hi_u32 v8, s15, v3
	s_load_dword s15, s[8:9], 0x0
	s_add_u32 s8, s8, 4
	s_addc_u32 s9, s9, 0
	v_add_u32_e32 v8, v3, v8
	v_lshrrev_b32_e32 v8, s13, v8
	v_mul_lo_u32 v9, v8, s14
	s_add_i32 s12, s12, -1
	s_cmp_lg_u32 s12, 0
	v_sub_u32_e32 v3, v3, v9
	s_waitcnt lgkmcnt(0)
	v_mad_u64_u32 v[2:3], s[14:15], v3, s15, v[2:3]
	v_mov_b32_e32 v3, v8
	s_cbranch_scc1 .LBB135_129
.LBB135_130:
	s_cbranch_execnz .LBB135_133
.LBB135_131:
	v_mul_hi_u32 v2, s17, v11
	s_andn2_b64 vcc, exec, s[54:55]
	v_add_u32_e32 v2, v11, v2
	v_lshrrev_b32_e32 v3, s18, v2
	v_mul_lo_u32 v2, v3, s16
	v_sub_u32_e32 v2, v11, v2
	v_mul_lo_u32 v2, v2, s50
	s_cbranch_vccnz .LBB135_133
; %bb.132:
	v_mul_hi_u32 v8, s52, v3
	v_add_u32_e32 v8, v3, v8
	v_lshrrev_b32_e32 v8, s53, v8
	v_mul_lo_u32 v8, v8, s19
	v_sub_u32_e32 v3, v3, v8
	v_mad_u64_u32 v[2:3], s[8:9], v3, s51, v[2:3]
.LBB135_133:
	v_mov_b32_e32 v3, s49
	s_and_b32 s14, 0xffff, s75
	v_add_co_u32_e32 v8, vcc, s48, v2
	s_cmp_lt_i32 s14, 11
	v_addc_co_u32_e32 v9, vcc, 0, v3, vcc
	s_cbranch_scc1 .LBB135_140
; %bb.134:
	s_cmp_gt_i32 s14, 25
	s_cbranch_scc0 .LBB135_143
; %bb.135:
	s_cmp_gt_i32 s14, 28
	s_cbranch_scc0 .LBB135_144
	;; [unrolled: 3-line block ×4, first 2 shown]
; %bb.138:
	s_mov_b64 s[12:13], 0
	s_mov_b64 s[8:9], -1
	s_cmp_eq_u32 s14, 46
	s_mov_b64 s[10:11], 0
	s_cbranch_scc0 .LBB135_147
; %bb.139:
	v_mov_b32_e32 v2, s79
	global_store_dword v[8:9], v2, off
	s_mov_b64 s[10:11], -1
	s_mov_b64 s[8:9], 0
	s_branch .LBB135_147
.LBB135_140:
	s_mov_b64 s[10:11], 0
	s_mov_b64 s[8:9], s[60:61]
	s_cbranch_execnz .LBB135_192
.LBB135_141:
	s_andn2_b64 vcc, exec, s[10:11]
	s_cbranch_vccnz .LBB135_230
.LBB135_142:
	v_add_u32_e32 v11, 0x80, v11
	s_mov_b64 s[10:11], -1
	s_branch .LBB135_231
.LBB135_143:
	s_mov_b64 s[12:13], -1
	s_mov_b64 s[10:11], 0
	s_mov_b64 s[8:9], s[60:61]
	s_branch .LBB135_169
.LBB135_144:
	s_mov_b64 s[12:13], -1
	s_mov_b64 s[10:11], 0
	s_mov_b64 s[8:9], s[60:61]
	s_branch .LBB135_155
.LBB135_145:
	s_mov_b64 s[12:13], -1
	s_mov_b64 s[10:11], 0
	s_mov_b64 s[8:9], s[60:61]
	s_branch .LBB135_151
.LBB135_146:
	s_mov_b64 s[12:13], -1
	s_mov_b64 s[10:11], 0
	s_mov_b64 s[8:9], s[60:61]
.LBB135_147:
	s_and_b64 vcc, exec, s[12:13]
	s_cbranch_vccz .LBB135_150
; %bb.148:
	s_cmp_eq_u32 s14, 44
	s_mov_b64 s[8:9], -1
	s_cbranch_scc0 .LBB135_150
; %bb.149:
	v_mov_b32_e32 v2, 0xffff
	v_cndmask_b32_e64 v2, v17, v2, s[4:5]
	s_mov_b64 s[10:11], -1
	s_mov_b64 s[8:9], 0
	global_store_byte v[8:9], v2, off
.LBB135_150:
	s_mov_b64 s[12:13], 0
.LBB135_151:
	s_and_b64 vcc, exec, s[12:13]
	s_cbranch_vccz .LBB135_154
; %bb.152:
	s_cmp_eq_u32 s14, 29
	s_mov_b64 s[8:9], -1
	s_cbranch_scc0 .LBB135_154
; %bb.153:
	global_store_dwordx2 v[8:9], v[6:7], off
	s_mov_b64 s[10:11], -1
	s_mov_b64 s[8:9], 0
.LBB135_154:
	s_mov_b64 s[12:13], 0
.LBB135_155:
	s_and_b64 vcc, exec, s[12:13]
	s_cbranch_vccz .LBB135_168
; %bb.156:
	s_cmp_lt_i32 s14, 27
	s_mov_b64 s[10:11], -1
	s_cbranch_scc1 .LBB135_162
; %bb.157:
	s_cmp_gt_i32 s14, 27
	s_cbranch_scc0 .LBB135_159
; %bb.158:
	s_mov_b64 s[10:11], 0
	global_store_dword v[8:9], v16, off
.LBB135_159:
	s_andn2_b64 vcc, exec, s[10:11]
	s_cbranch_vccnz .LBB135_161
; %bb.160:
	global_store_short v[8:9], v16, off
.LBB135_161:
	s_mov_b64 s[10:11], 0
.LBB135_162:
	s_andn2_b64 vcc, exec, s[10:11]
	s_cbranch_vccnz .LBB135_167
; %bb.163:
	s_andn2_b64 vcc, exec, s[44:45]
	v_mov_b32_e32 v2, 0x80
	s_cbranch_vccnz .LBB135_166
; %bb.164:
	s_or_b64 s[10:11], s[2:3], s[46:47]
	s_andn2_b64 vcc, exec, s[10:11]
	v_mov_b32_e32 v2, 0
	s_cbranch_vccnz .LBB135_166
; %bb.165:
	v_mov_b32_e32 v2, s84
	v_cndmask_b32_e64 v2, v15, v2, s[2:3]
	v_or_b32_e32 v2, s78, v2
.LBB135_166:
	global_store_byte v[8:9], v2, off
.LBB135_167:
	s_mov_b64 s[10:11], -1
.LBB135_168:
	s_mov_b64 s[12:13], 0
.LBB135_169:
	s_and_b64 vcc, exec, s[12:13]
	s_cbranch_vccz .LBB135_191
; %bb.170:
	s_cmp_gt_i32 s14, 22
	s_mov_b64 s[12:13], -1
	s_cbranch_scc0 .LBB135_183
; %bb.171:
	s_cmp_lt_i32 s14, 24
	s_mov_b64 s[10:11], -1
	s_cbranch_scc1 .LBB135_180
; %bb.172:
	s_cmp_gt_i32 s14, 24
	s_cbranch_scc0 .LBB135_177
; %bb.173:
	s_andn2_b64 vcc, exec, s[40:41]
	v_mov_b32_e32 v2, 0x80
	s_cbranch_vccnz .LBB135_176
; %bb.174:
	s_or_b64 s[10:11], s[0:1], s[42:43]
	s_andn2_b64 vcc, exec, s[10:11]
	v_mov_b32_e32 v2, 0
	s_cbranch_vccnz .LBB135_176
; %bb.175:
	v_mov_b32_e32 v2, s83
	v_cndmask_b32_e64 v2, v14, v2, s[0:1]
	v_or_b32_e32 v2, s78, v2
.LBB135_176:
	s_mov_b64 s[10:11], 0
	global_store_byte v[8:9], v2, off
.LBB135_177:
	s_and_b64 vcc, exec, s[10:11]
	s_cbranch_vccz .LBB135_179
; %bb.178:
	v_mov_b32_e32 v2, s77
	global_store_byte v[8:9], v2, off
.LBB135_179:
	s_mov_b64 s[10:11], 0
.LBB135_180:
	s_andn2_b64 vcc, exec, s[10:11]
	s_cbranch_vccnz .LBB135_182
; %bb.181:
	s_and_b64 s[10:11], s[38:39], exec
	s_cselect_b32 s12, s81, s80
	s_and_b64 s[10:11], s[36:37], exec
	s_cselect_b32 s10, s82, s12
	s_or_b32 s10, s10, s78
	v_mov_b32_e32 v2, s10
	global_store_byte v[8:9], v2, off
.LBB135_182:
	s_mov_b64 s[12:13], 0
	s_mov_b64 s[10:11], -1
.LBB135_183:
	s_andn2_b64 vcc, exec, s[12:13]
	s_cbranch_vccnz .LBB135_191
; %bb.184:
	s_cmp_gt_i32 s14, 14
	s_mov_b64 s[12:13], -1
	s_cbranch_scc0 .LBB135_188
; %bb.185:
	s_cmp_eq_u32 s14, 15
	s_mov_b64 s[8:9], -1
	s_cbranch_scc0 .LBB135_187
; %bb.186:
	v_mov_b32_e32 v2, s79
	global_store_short v[8:9], v2, off
	s_mov_b64 s[10:11], -1
	s_mov_b64 s[8:9], 0
.LBB135_187:
	s_mov_b64 s[12:13], 0
.LBB135_188:
	s_and_b64 vcc, exec, s[12:13]
	s_cbranch_vccz .LBB135_191
; %bb.189:
	s_cmp_eq_u32 s14, 11
	s_mov_b64 s[8:9], -1
	s_cbranch_scc0 .LBB135_191
; %bb.190:
	s_mov_b64 s[10:11], -1
	s_mov_b64 s[8:9], 0
	global_store_byte v[8:9], v13, off
.LBB135_191:
	s_branch .LBB135_141
.LBB135_192:
	s_cmp_lt_i32 s14, 5
	s_mov_b64 s[10:11], -1
	s_cbranch_scc1 .LBB135_213
; %bb.193:
	s_cmp_lt_i32 s14, 8
	s_cbranch_scc1 .LBB135_203
; %bb.194:
	s_cmp_lt_i32 s14, 9
	s_cbranch_scc1 .LBB135_200
; %bb.195:
	s_cmp_gt_i32 s14, 9
	s_cbranch_scc0 .LBB135_197
; %bb.196:
	v_mov_b32_e32 v2, 0
	v_mov_b32_e32 v3, v2
	s_mov_b64 s[10:11], 0
	global_store_dwordx4 v[8:9], v[0:3], off
.LBB135_197:
	s_andn2_b64 vcc, exec, s[10:11]
	s_cbranch_vccnz .LBB135_199
; %bb.198:
	v_mov_b32_e32 v2, s76
	v_mov_b32_e32 v3, 0
	global_store_dwordx2 v[8:9], v[2:3], off
.LBB135_199:
	s_mov_b64 s[10:11], 0
.LBB135_200:
	s_andn2_b64 vcc, exec, s[10:11]
	s_cbranch_vccnz .LBB135_202
; %bb.201:
	global_store_dword v[8:9], v12, off
.LBB135_202:
	s_mov_b64 s[10:11], 0
.LBB135_203:
	s_andn2_b64 vcc, exec, s[10:11]
	s_cbranch_vccnz .LBB135_212
; %bb.204:
	s_cmp_lt_i32 s14, 6
	s_mov_b64 s[10:11], -1
	s_cbranch_scc1 .LBB135_210
; %bb.205:
	s_cmp_gt_i32 s14, 6
	s_cbranch_scc0 .LBB135_207
; %bb.206:
	s_mov_b64 s[10:11], 0
	global_store_dwordx2 v[8:9], v[0:1], off
.LBB135_207:
	s_andn2_b64 vcc, exec, s[10:11]
	s_cbranch_vccnz .LBB135_209
; %bb.208:
	v_mov_b32_e32 v2, s76
	global_store_dword v[8:9], v2, off
.LBB135_209:
	s_mov_b64 s[10:11], 0
.LBB135_210:
	s_andn2_b64 vcc, exec, s[10:11]
	s_cbranch_vccnz .LBB135_212
; %bb.211:
	global_store_short v[8:9], v12, off
.LBB135_212:
	s_mov_b64 s[10:11], 0
.LBB135_213:
	s_andn2_b64 vcc, exec, s[10:11]
	s_cbranch_vccnz .LBB135_229
; %bb.214:
	s_cmp_lt_i32 s14, 2
	s_mov_b64 s[10:11], -1
	s_cbranch_scc1 .LBB135_224
; %bb.215:
	s_cmp_lt_i32 s14, 3
	s_cbranch_scc1 .LBB135_221
; %bb.216:
	s_cmp_gt_i32 s14, 3
	s_cbranch_scc0 .LBB135_218
; %bb.217:
	s_mov_b64 s[10:11], 0
	global_store_dwordx2 v[8:9], v[4:5], off
.LBB135_218:
	s_andn2_b64 vcc, exec, s[10:11]
	s_cbranch_vccnz .LBB135_220
; %bb.219:
	global_store_dword v[8:9], v10, off
.LBB135_220:
	s_mov_b64 s[10:11], 0
.LBB135_221:
	s_andn2_b64 vcc, exec, s[10:11]
	s_cbranch_vccnz .LBB135_223
; %bb.222:
	global_store_short v[8:9], v10, off
.LBB135_223:
	s_mov_b64 s[10:11], 0
.LBB135_224:
	s_andn2_b64 vcc, exec, s[10:11]
	s_cbranch_vccnz .LBB135_229
; %bb.225:
	s_cmp_gt_i32 s14, 0
	s_mov_b64 s[10:11], -1
	s_cbranch_scc0 .LBB135_227
; %bb.226:
	s_mov_b64 s[10:11], 0
	global_store_byte v[8:9], v10, off
.LBB135_227:
	s_andn2_b64 vcc, exec, s[10:11]
	s_cbranch_vccnz .LBB135_229
; %bb.228:
	global_store_byte v[8:9], v4, off
.LBB135_229:
	s_branch .LBB135_142
.LBB135_230:
	s_mov_b64 s[10:11], 0
                                        ; implicit-def: $vgpr11
.LBB135_231:
	s_andn2_b64 s[12:13], s[60:61], exec
	s_and_b64 s[8:9], s[8:9], exec
	s_or_b64 s[64:65], s[12:13], s[8:9]
	s_orn2_b64 s[8:9], s[10:11], exec
.LBB135_232:
	s_or_b64 exec, exec, s[66:67]
	s_mov_b64 s[10:11], 0
	s_mov_b64 s[12:13], 0
                                        ; implicit-def: $vgpr8_vgpr9
	s_and_saveexec_b64 s[66:67], s[8:9]
	s_cbranch_execz .LBB135_421
; %bb.233:
	v_cmp_gt_i32_e32 vcc, s85, v11
	s_mov_b64 s[10:11], -1
	s_mov_b64 s[70:71], s[64:65]
	s_and_saveexec_b64 s[68:69], vcc
	s_cbranch_execz .LBB135_349
; %bb.234:
	s_andn2_b64 vcc, exec, s[30:31]
	s_cbranch_vccnz .LBB135_239
; %bb.235:
	s_andn2_b64 vcc, exec, s[58:59]
	s_cbranch_vccnz .LBB135_240
; %bb.236:
	s_add_i32 s88, s86, 1
	s_cmp_eq_u32 s74, 2
	s_cbranch_scc1 .LBB135_241
; %bb.237:
	s_and_b32 s87, s88, 28
	s_mov_b32 s89, 0
	v_mov_b32_e32 v2, 0
	s_mov_b64 s[70:71], s[28:29]
	s_mov_b64 s[72:73], s[56:57]
	v_mov_b32_e32 v3, v11
.LBB135_238:                            ; =>This Inner Loop Header: Depth=1
	s_load_dwordx8 s[8:15], s[70:71], 0x4
	s_load_dwordx4 s[20:23], s[70:71], 0x24
	s_load_dwordx4 s[24:27], s[72:73], 0x0
	s_add_u32 s70, s70, 48
	s_addc_u32 s71, s71, 0
	s_waitcnt lgkmcnt(0)
	v_mul_hi_u32 v8, s9, v3
	s_add_i32 s89, s89, 4
	s_add_u32 s72, s72, 16
	s_addc_u32 s73, s73, 0
	v_add_u32_e32 v8, v3, v8
	v_lshrrev_b32_e32 v8, s10, v8
	v_mul_lo_u32 v9, v8, s8
	v_mul_hi_u32 v18, s12, v8
	s_cmp_eq_u32 s87, s89
	v_sub_u32_e32 v3, v3, v9
	v_add_u32_e32 v9, v8, v18
	v_lshrrev_b32_e32 v9, s13, v9
	v_mul_lo_u32 v18, v3, s24
	v_mul_hi_u32 v3, s15, v9
	v_mul_lo_u32 v20, v9, s11
	v_add_u32_e32 v3, v9, v3
	v_lshrrev_b32_e32 v19, s20, v3
	v_mul_hi_u32 v3, s22, v19
	v_sub_u32_e32 v8, v8, v20
	v_mul_lo_u32 v20, v19, s14
	v_mul_lo_u32 v8, v8, s25
	v_add_u32_e32 v3, v19, v3
	v_lshrrev_b32_e32 v3, s23, v3
	v_mul_lo_u32 v21, v3, s21
	v_sub_u32_e32 v9, v9, v20
	v_mul_lo_u32 v9, v9, s26
	v_add3_u32 v2, v18, v2, v8
	v_sub_u32_e32 v19, v19, v21
	v_mul_lo_u32 v19, v19, s27
	v_add3_u32 v2, v9, v2, v19
	s_cbranch_scc0 .LBB135_238
	s_branch .LBB135_242
.LBB135_239:
	s_mov_b64 s[8:9], -1
                                        ; implicit-def: $vgpr2
	s_branch .LBB135_246
.LBB135_240:
	v_mov_b32_e32 v2, 0
	s_branch .LBB135_245
.LBB135_241:
	v_mov_b32_e32 v2, 0
	s_mov_b32 s87, 0
	v_mov_b32_e32 v3, v11
.LBB135_242:
	s_and_b32 s12, s88, 3
	s_cmp_eq_u32 s12, 0
	s_cbranch_scc1 .LBB135_245
; %bb.243:
	s_lshl_b32 s8, s87, 2
	s_add_u32 s8, s28, s8
	s_addc_u32 s9, s29, 0
	s_add_u32 s8, s8, 0xc4
	s_addc_u32 s9, s9, 0
	s_mul_i32 s10, s87, 12
	s_add_u32 s10, s28, s10
	s_addc_u32 s11, s29, 0
.LBB135_244:                            ; =>This Inner Loop Header: Depth=1
	s_load_dwordx2 s[14:15], s[10:11], 0x4
	s_load_dword s13, s[10:11], 0xc
	s_add_u32 s10, s10, 12
	s_addc_u32 s11, s11, 0
	s_waitcnt lgkmcnt(0)
	v_mul_hi_u32 v8, s15, v3
	s_load_dword s15, s[8:9], 0x0
	s_add_u32 s8, s8, 4
	s_addc_u32 s9, s9, 0
	v_add_u32_e32 v8, v3, v8
	v_lshrrev_b32_e32 v8, s13, v8
	v_mul_lo_u32 v9, v8, s14
	s_add_i32 s12, s12, -1
	s_cmp_lg_u32 s12, 0
	v_sub_u32_e32 v3, v3, v9
	s_waitcnt lgkmcnt(0)
	v_mad_u64_u32 v[2:3], s[14:15], v3, s15, v[2:3]
	v_mov_b32_e32 v3, v8
	s_cbranch_scc1 .LBB135_244
.LBB135_245:
	s_mov_b64 s[8:9], 0
.LBB135_246:
	s_andn2_b64 vcc, exec, s[8:9]
	s_cbranch_vccnz .LBB135_249
; %bb.247:
	v_mul_hi_u32 v2, s17, v11
	s_andn2_b64 vcc, exec, s[54:55]
	v_add_u32_e32 v2, v11, v2
	v_lshrrev_b32_e32 v3, s18, v2
	v_mul_lo_u32 v2, v3, s16
	v_sub_u32_e32 v2, v11, v2
	v_mul_lo_u32 v2, v2, s50
	s_cbranch_vccnz .LBB135_249
; %bb.248:
	v_mul_hi_u32 v8, s52, v3
	v_add_u32_e32 v8, v3, v8
	v_lshrrev_b32_e32 v8, s53, v8
	v_mul_lo_u32 v8, v8, s19
	v_sub_u32_e32 v3, v3, v8
	v_mad_u64_u32 v[2:3], s[8:9], v3, s51, v[2:3]
.LBB135_249:
	v_mov_b32_e32 v3, s49
	s_and_b32 s14, 0xffff, s75
	v_add_co_u32_e32 v8, vcc, s48, v2
	s_cmp_lt_i32 s14, 11
	v_addc_co_u32_e32 v9, vcc, 0, v3, vcc
	s_cbranch_scc1 .LBB135_256
; %bb.250:
	s_cmp_gt_i32 s14, 25
	s_cbranch_scc0 .LBB135_257
; %bb.251:
	s_cmp_gt_i32 s14, 28
	s_cbranch_scc0 .LBB135_258
	;; [unrolled: 3-line block ×4, first 2 shown]
; %bb.254:
	s_mov_b64 s[12:13], 0
	s_mov_b64 s[8:9], -1
	s_cmp_eq_u32 s14, 46
	s_mov_b64 s[10:11], 0
	s_cbranch_scc0 .LBB135_261
; %bb.255:
	v_mov_b32_e32 v2, s79
	global_store_dword v[8:9], v2, off
	s_mov_b64 s[10:11], -1
	s_mov_b64 s[8:9], 0
	s_branch .LBB135_261
.LBB135_256:
	s_mov_b64 s[12:13], -1
	s_mov_b64 s[10:11], 0
	s_mov_b64 s[8:9], s[64:65]
	s_branch .LBB135_306
.LBB135_257:
	s_mov_b64 s[12:13], -1
	s_mov_b64 s[10:11], 0
	s_mov_b64 s[8:9], s[64:65]
	s_branch .LBB135_283
.LBB135_258:
	s_mov_b64 s[12:13], -1
	s_mov_b64 s[10:11], 0
	s_mov_b64 s[8:9], s[64:65]
	s_branch .LBB135_269
.LBB135_259:
	s_mov_b64 s[12:13], -1
	s_mov_b64 s[10:11], 0
	s_mov_b64 s[8:9], s[64:65]
	s_branch .LBB135_265
.LBB135_260:
	s_mov_b64 s[12:13], -1
	s_mov_b64 s[10:11], 0
	s_mov_b64 s[8:9], s[64:65]
.LBB135_261:
	s_and_b64 vcc, exec, s[12:13]
	s_cbranch_vccz .LBB135_264
; %bb.262:
	s_cmp_eq_u32 s14, 44
	s_mov_b64 s[8:9], -1
	s_cbranch_scc0 .LBB135_264
; %bb.263:
	v_mov_b32_e32 v2, 0xffff
	v_cndmask_b32_e64 v2, v17, v2, s[4:5]
	s_mov_b64 s[10:11], -1
	s_mov_b64 s[8:9], 0
	global_store_byte v[8:9], v2, off
.LBB135_264:
	s_mov_b64 s[12:13], 0
.LBB135_265:
	s_and_b64 vcc, exec, s[12:13]
	s_cbranch_vccz .LBB135_268
; %bb.266:
	s_cmp_eq_u32 s14, 29
	s_mov_b64 s[8:9], -1
	s_cbranch_scc0 .LBB135_268
; %bb.267:
	global_store_dwordx2 v[8:9], v[6:7], off
	s_mov_b64 s[10:11], -1
	s_mov_b64 s[8:9], 0
.LBB135_268:
	s_mov_b64 s[12:13], 0
.LBB135_269:
	s_and_b64 vcc, exec, s[12:13]
	s_cbranch_vccz .LBB135_282
; %bb.270:
	s_cmp_lt_i32 s14, 27
	s_mov_b64 s[10:11], -1
	s_cbranch_scc1 .LBB135_276
; %bb.271:
	s_cmp_gt_i32 s14, 27
	s_cbranch_scc0 .LBB135_273
; %bb.272:
	s_mov_b64 s[10:11], 0
	global_store_dword v[8:9], v16, off
.LBB135_273:
	s_andn2_b64 vcc, exec, s[10:11]
	s_cbranch_vccnz .LBB135_275
; %bb.274:
	global_store_short v[8:9], v16, off
.LBB135_275:
	s_mov_b64 s[10:11], 0
.LBB135_276:
	s_andn2_b64 vcc, exec, s[10:11]
	s_cbranch_vccnz .LBB135_281
; %bb.277:
	s_andn2_b64 vcc, exec, s[44:45]
	v_mov_b32_e32 v2, 0x80
	s_cbranch_vccnz .LBB135_280
; %bb.278:
	s_or_b64 s[10:11], s[2:3], s[46:47]
	s_andn2_b64 vcc, exec, s[10:11]
	v_mov_b32_e32 v2, 0
	s_cbranch_vccnz .LBB135_280
; %bb.279:
	v_mov_b32_e32 v2, s84
	v_cndmask_b32_e64 v2, v15, v2, s[2:3]
	v_or_b32_e32 v2, s78, v2
.LBB135_280:
	global_store_byte v[8:9], v2, off
.LBB135_281:
	s_mov_b64 s[10:11], -1
.LBB135_282:
	s_mov_b64 s[12:13], 0
.LBB135_283:
	s_and_b64 vcc, exec, s[12:13]
	s_cbranch_vccz .LBB135_305
; %bb.284:
	s_cmp_gt_i32 s14, 22
	s_mov_b64 s[12:13], -1
	s_cbranch_scc0 .LBB135_297
; %bb.285:
	s_cmp_lt_i32 s14, 24
	s_mov_b64 s[10:11], -1
	s_cbranch_scc1 .LBB135_294
; %bb.286:
	s_cmp_gt_i32 s14, 24
	s_cbranch_scc0 .LBB135_291
; %bb.287:
	s_andn2_b64 vcc, exec, s[40:41]
	v_mov_b32_e32 v2, 0x80
	s_cbranch_vccnz .LBB135_290
; %bb.288:
	s_or_b64 s[10:11], s[0:1], s[42:43]
	s_andn2_b64 vcc, exec, s[10:11]
	v_mov_b32_e32 v2, 0
	s_cbranch_vccnz .LBB135_290
; %bb.289:
	v_mov_b32_e32 v2, s83
	v_cndmask_b32_e64 v2, v14, v2, s[0:1]
	v_or_b32_e32 v2, s78, v2
.LBB135_290:
	s_mov_b64 s[10:11], 0
	global_store_byte v[8:9], v2, off
.LBB135_291:
	s_and_b64 vcc, exec, s[10:11]
	s_cbranch_vccz .LBB135_293
; %bb.292:
	v_mov_b32_e32 v2, s77
	global_store_byte v[8:9], v2, off
.LBB135_293:
	s_mov_b64 s[10:11], 0
.LBB135_294:
	s_andn2_b64 vcc, exec, s[10:11]
	s_cbranch_vccnz .LBB135_296
; %bb.295:
	s_and_b64 s[10:11], s[38:39], exec
	s_cselect_b32 s12, s81, s80
	s_and_b64 s[10:11], s[36:37], exec
	s_cselect_b32 s10, s82, s12
	s_or_b32 s10, s10, s78
	v_mov_b32_e32 v2, s10
	global_store_byte v[8:9], v2, off
.LBB135_296:
	s_mov_b64 s[12:13], 0
	s_mov_b64 s[10:11], -1
.LBB135_297:
	s_andn2_b64 vcc, exec, s[12:13]
	s_cbranch_vccnz .LBB135_305
; %bb.298:
	s_cmp_gt_i32 s14, 14
	s_mov_b64 s[12:13], -1
	s_cbranch_scc0 .LBB135_302
; %bb.299:
	s_cmp_eq_u32 s14, 15
	s_mov_b64 s[8:9], -1
	s_cbranch_scc0 .LBB135_301
; %bb.300:
	v_mov_b32_e32 v2, s79
	global_store_short v[8:9], v2, off
	s_mov_b64 s[10:11], -1
	s_mov_b64 s[8:9], 0
.LBB135_301:
	s_mov_b64 s[12:13], 0
.LBB135_302:
	s_and_b64 vcc, exec, s[12:13]
	s_cbranch_vccz .LBB135_305
; %bb.303:
	s_cmp_eq_u32 s14, 11
	s_mov_b64 s[8:9], -1
	s_cbranch_scc0 .LBB135_305
; %bb.304:
	s_mov_b64 s[10:11], -1
	s_mov_b64 s[8:9], 0
	global_store_byte v[8:9], v13, off
.LBB135_305:
	s_mov_b64 s[12:13], 0
.LBB135_306:
	s_and_b64 vcc, exec, s[12:13]
	s_cbranch_vccz .LBB135_345
; %bb.307:
	s_cmp_lt_i32 s14, 5
	s_mov_b64 s[10:11], -1
	s_cbranch_scc1 .LBB135_328
; %bb.308:
	s_cmp_lt_i32 s14, 8
	s_cbranch_scc1 .LBB135_318
; %bb.309:
	s_cmp_lt_i32 s14, 9
	s_cbranch_scc1 .LBB135_315
; %bb.310:
	s_cmp_gt_i32 s14, 9
	s_cbranch_scc0 .LBB135_312
; %bb.311:
	v_mov_b32_e32 v2, 0
	v_mov_b32_e32 v3, v2
	s_mov_b64 s[10:11], 0
	global_store_dwordx4 v[8:9], v[0:3], off
.LBB135_312:
	s_andn2_b64 vcc, exec, s[10:11]
	s_cbranch_vccnz .LBB135_314
; %bb.313:
	v_mov_b32_e32 v2, s76
	v_mov_b32_e32 v3, 0
	global_store_dwordx2 v[8:9], v[2:3], off
.LBB135_314:
	s_mov_b64 s[10:11], 0
.LBB135_315:
	s_andn2_b64 vcc, exec, s[10:11]
	s_cbranch_vccnz .LBB135_317
; %bb.316:
	global_store_dword v[8:9], v12, off
.LBB135_317:
	s_mov_b64 s[10:11], 0
.LBB135_318:
	s_andn2_b64 vcc, exec, s[10:11]
	s_cbranch_vccnz .LBB135_327
; %bb.319:
	s_cmp_lt_i32 s14, 6
	s_mov_b64 s[10:11], -1
	s_cbranch_scc1 .LBB135_325
; %bb.320:
	s_cmp_gt_i32 s14, 6
	s_cbranch_scc0 .LBB135_322
; %bb.321:
	s_mov_b64 s[10:11], 0
	global_store_dwordx2 v[8:9], v[0:1], off
.LBB135_322:
	s_andn2_b64 vcc, exec, s[10:11]
	s_cbranch_vccnz .LBB135_324
; %bb.323:
	v_mov_b32_e32 v2, s76
	global_store_dword v[8:9], v2, off
.LBB135_324:
	s_mov_b64 s[10:11], 0
.LBB135_325:
	s_andn2_b64 vcc, exec, s[10:11]
	s_cbranch_vccnz .LBB135_327
; %bb.326:
	global_store_short v[8:9], v12, off
.LBB135_327:
	s_mov_b64 s[10:11], 0
.LBB135_328:
	s_andn2_b64 vcc, exec, s[10:11]
	s_cbranch_vccnz .LBB135_344
; %bb.329:
	s_cmp_lt_i32 s14, 2
	s_mov_b64 s[10:11], -1
	s_cbranch_scc1 .LBB135_339
; %bb.330:
	s_cmp_lt_i32 s14, 3
	s_cbranch_scc1 .LBB135_336
; %bb.331:
	s_cmp_gt_i32 s14, 3
	s_cbranch_scc0 .LBB135_333
; %bb.332:
	s_mov_b64 s[10:11], 0
	global_store_dwordx2 v[8:9], v[4:5], off
.LBB135_333:
	s_andn2_b64 vcc, exec, s[10:11]
	s_cbranch_vccnz .LBB135_335
; %bb.334:
	global_store_dword v[8:9], v10, off
.LBB135_335:
	s_mov_b64 s[10:11], 0
.LBB135_336:
	s_andn2_b64 vcc, exec, s[10:11]
	s_cbranch_vccnz .LBB135_338
; %bb.337:
	global_store_short v[8:9], v10, off
.LBB135_338:
	s_mov_b64 s[10:11], 0
.LBB135_339:
	s_andn2_b64 vcc, exec, s[10:11]
	s_cbranch_vccnz .LBB135_344
; %bb.340:
	s_cmp_gt_i32 s14, 0
	s_mov_b64 s[10:11], -1
	s_cbranch_scc0 .LBB135_342
; %bb.341:
	s_mov_b64 s[10:11], 0
	global_store_byte v[8:9], v10, off
.LBB135_342:
	s_andn2_b64 vcc, exec, s[10:11]
	s_cbranch_vccnz .LBB135_344
; %bb.343:
	global_store_byte v[8:9], v4, off
.LBB135_344:
	s_mov_b64 s[10:11], -1
.LBB135_345:
	s_andn2_b64 vcc, exec, s[10:11]
	s_cbranch_vccnz .LBB135_347
; %bb.346:
	v_add_u32_e32 v11, 0x80, v11
	s_mov_b64 s[10:11], -1
	s_branch .LBB135_348
.LBB135_347:
	s_mov_b64 s[10:11], 0
                                        ; implicit-def: $vgpr11
.LBB135_348:
	s_andn2_b64 s[12:13], s[64:65], exec
	s_and_b64 s[8:9], s[8:9], exec
	s_or_b64 s[70:71], s[12:13], s[8:9]
	s_orn2_b64 s[10:11], s[10:11], exec
.LBB135_349:
	s_or_b64 exec, exec, s[68:69]
	s_mov_b64 s[8:9], 0
	s_mov_b64 s[14:15], 0
                                        ; implicit-def: $vgpr8_vgpr9
	s_and_saveexec_b64 s[68:69], s[10:11]
	s_cbranch_execz .LBB135_420
; %bb.350:
	v_cmp_gt_i32_e32 vcc, s85, v11
	s_mov_b64 s[10:11], 0
	s_mov_b64 s[12:13], s[70:71]
                                        ; implicit-def: $vgpr8_vgpr9
	s_and_saveexec_b64 s[72:73], vcc
	s_cbranch_execz .LBB135_419
; %bb.351:
	s_andn2_b64 vcc, exec, s[30:31]
	s_cbranch_vccnz .LBB135_356
; %bb.352:
	s_andn2_b64 vcc, exec, s[58:59]
	s_cbranch_vccnz .LBB135_357
; %bb.353:
	s_add_i32 s86, s86, 1
	s_cmp_eq_u32 s74, 2
	s_cbranch_scc1 .LBB135_358
; %bb.354:
	s_and_b32 s85, s86, 28
	s_mov_b32 s87, 0
	v_mov_b32_e32 v2, 0
	s_mov_b64 s[58:59], s[28:29]
	v_mov_b32_e32 v3, v11
.LBB135_355:                            ; =>This Inner Loop Header: Depth=1
	s_load_dwordx8 s[8:15], s[58:59], 0x4
	s_load_dwordx4 s[20:23], s[58:59], 0x24
	s_load_dwordx4 s[24:27], s[56:57], 0x0
	s_add_u32 s58, s58, 48
	s_addc_u32 s59, s59, 0
	s_waitcnt lgkmcnt(0)
	v_mul_hi_u32 v8, s9, v3
	s_add_i32 s87, s87, 4
	s_add_u32 s56, s56, 16
	s_addc_u32 s57, s57, 0
	v_add_u32_e32 v8, v3, v8
	v_lshrrev_b32_e32 v8, s10, v8
	v_mul_lo_u32 v9, v8, s8
	v_mul_hi_u32 v18, s12, v8
	s_cmp_eq_u32 s85, s87
	v_sub_u32_e32 v3, v3, v9
	v_add_u32_e32 v9, v8, v18
	v_lshrrev_b32_e32 v9, s13, v9
	v_mul_lo_u32 v18, v3, s24
	v_mul_hi_u32 v3, s15, v9
	v_mul_lo_u32 v20, v9, s11
	v_add_u32_e32 v3, v9, v3
	v_lshrrev_b32_e32 v19, s20, v3
	v_mul_hi_u32 v3, s22, v19
	v_sub_u32_e32 v8, v8, v20
	v_mul_lo_u32 v20, v19, s14
	v_mul_lo_u32 v8, v8, s25
	v_add_u32_e32 v3, v19, v3
	v_lshrrev_b32_e32 v3, s23, v3
	v_mul_lo_u32 v21, v3, s21
	v_sub_u32_e32 v9, v9, v20
	v_mul_lo_u32 v9, v9, s26
	v_add3_u32 v2, v18, v2, v8
	v_sub_u32_e32 v19, v19, v21
	v_mul_lo_u32 v19, v19, s27
	v_add3_u32 v2, v9, v2, v19
	s_cbranch_scc0 .LBB135_355
	s_branch .LBB135_359
.LBB135_356:
	s_mov_b64 s[8:9], -1
                                        ; implicit-def: $vgpr2
	s_branch .LBB135_363
.LBB135_357:
	v_mov_b32_e32 v2, 0
	s_branch .LBB135_362
.LBB135_358:
	v_mov_b32_e32 v2, 0
	s_mov_b32 s85, 0
	v_mov_b32_e32 v3, v11
.LBB135_359:
	s_and_b32 s12, s86, 3
	s_cmp_eq_u32 s12, 0
	s_cbranch_scc1 .LBB135_362
; %bb.360:
	s_lshl_b32 s8, s85, 2
	s_add_u32 s8, s28, s8
	s_addc_u32 s9, s29, 0
	s_add_u32 s8, s8, 0xc4
	s_addc_u32 s9, s9, 0
	s_mul_i32 s10, s85, 12
	s_add_u32 s10, s28, s10
	s_addc_u32 s11, s29, 0
.LBB135_361:                            ; =>This Inner Loop Header: Depth=1
	s_load_dwordx2 s[14:15], s[10:11], 0x4
	s_load_dword s13, s[10:11], 0xc
	s_add_u32 s10, s10, 12
	s_addc_u32 s11, s11, 0
	s_waitcnt lgkmcnt(0)
	v_mul_hi_u32 v8, s15, v3
	s_load_dword s15, s[8:9], 0x0
	s_add_u32 s8, s8, 4
	s_addc_u32 s9, s9, 0
	v_add_u32_e32 v8, v3, v8
	v_lshrrev_b32_e32 v8, s13, v8
	v_mul_lo_u32 v9, v8, s14
	s_add_i32 s12, s12, -1
	s_cmp_lg_u32 s12, 0
	v_sub_u32_e32 v3, v3, v9
	s_waitcnt lgkmcnt(0)
	v_mad_u64_u32 v[2:3], s[14:15], v3, s15, v[2:3]
	v_mov_b32_e32 v3, v8
	s_cbranch_scc1 .LBB135_361
.LBB135_362:
	s_mov_b64 s[8:9], 0
.LBB135_363:
	s_andn2_b64 vcc, exec, s[8:9]
	s_cbranch_vccnz .LBB135_366
; %bb.364:
	v_mul_hi_u32 v2, s17, v11
	s_andn2_b64 vcc, exec, s[54:55]
	v_add_u32_e32 v2, v11, v2
	v_lshrrev_b32_e32 v3, s18, v2
	v_mul_lo_u32 v2, v3, s16
	v_sub_u32_e32 v2, v11, v2
	v_mul_lo_u32 v2, v2, s50
	s_cbranch_vccnz .LBB135_366
; %bb.365:
	v_mul_hi_u32 v8, s52, v3
	v_add_u32_e32 v8, v3, v8
	v_lshrrev_b32_e32 v8, s53, v8
	v_mul_lo_u32 v8, v8, s19
	v_sub_u32_e32 v3, v3, v8
	v_mad_u64_u32 v[2:3], s[8:9], v3, s51, v[2:3]
.LBB135_366:
	v_mov_b32_e32 v3, s49
	s_and_b32 s12, 0xffff, s75
	v_add_co_u32_e32 v8, vcc, s48, v2
	s_cmp_lt_i32 s12, 11
	v_addc_co_u32_e32 v9, vcc, 0, v3, vcc
	s_cbranch_scc1 .LBB135_416
; %bb.367:
	s_mov_b64 s[10:11], -1
	s_cmp_gt_i32 s12, 25
	s_mov_b64 s[8:9], s[70:71]
	s_cbranch_scc0 .LBB135_395
; %bb.368:
	s_cmp_gt_i32 s12, 28
	s_mov_b64 s[8:9], s[70:71]
	s_cbranch_scc0 .LBB135_382
; %bb.369:
	;; [unrolled: 4-line block ×4, first 2 shown]
	s_cmp_eq_u32 s12, 46
	s_mov_b64 s[8:9], -1
	s_cbranch_scc0 .LBB135_373
; %bb.372:
	v_mov_b32_e32 v2, s79
	global_store_dword v[8:9], v2, off
	s_mov_b64 s[8:9], 0
.LBB135_373:
	s_mov_b64 s[10:11], 0
.LBB135_374:
	s_and_b64 vcc, exec, s[10:11]
	s_cbranch_vccz .LBB135_377
; %bb.375:
	s_cmp_eq_u32 s12, 44
	s_mov_b64 s[8:9], -1
	s_cbranch_scc0 .LBB135_377
; %bb.376:
	v_mov_b32_e32 v2, 0xffff
	v_cndmask_b32_e64 v2, v17, v2, s[4:5]
	global_store_byte v[8:9], v2, off
	s_mov_b64 s[8:9], 0
.LBB135_377:
	s_mov_b64 s[10:11], 0
.LBB135_378:
	s_and_b64 vcc, exec, s[10:11]
	s_cbranch_vccz .LBB135_381
; %bb.379:
	s_cmp_eq_u32 s12, 29
	s_mov_b64 s[8:9], -1
	s_cbranch_scc0 .LBB135_381
; %bb.380:
	global_store_dwordx2 v[8:9], v[6:7], off
	s_mov_b64 s[8:9], 0
.LBB135_381:
	s_mov_b64 s[10:11], 0
.LBB135_382:
	s_and_b64 vcc, exec, s[10:11]
	s_cbranch_vccz .LBB135_394
; %bb.383:
	s_cmp_lt_i32 s12, 27
	s_mov_b64 s[4:5], -1
	s_cbranch_scc1 .LBB135_389
; %bb.384:
	s_cmp_gt_i32 s12, 27
	s_cbranch_scc0 .LBB135_386
; %bb.385:
	s_mov_b64 s[4:5], 0
	global_store_dword v[8:9], v16, off
.LBB135_386:
	s_andn2_b64 vcc, exec, s[4:5]
	s_cbranch_vccnz .LBB135_388
; %bb.387:
	global_store_short v[8:9], v16, off
.LBB135_388:
	s_mov_b64 s[4:5], 0
.LBB135_389:
	s_andn2_b64 vcc, exec, s[4:5]
	s_cbranch_vccnz .LBB135_394
; %bb.390:
	s_andn2_b64 vcc, exec, s[44:45]
	v_mov_b32_e32 v2, 0x80
	s_cbranch_vccnz .LBB135_393
; %bb.391:
	s_or_b64 s[4:5], s[2:3], s[46:47]
	s_andn2_b64 vcc, exec, s[4:5]
	v_mov_b32_e32 v2, 0
	s_cbranch_vccnz .LBB135_393
; %bb.392:
	v_mov_b32_e32 v2, s84
	v_cndmask_b32_e64 v2, v15, v2, s[2:3]
	v_or_b32_e32 v2, s78, v2
.LBB135_393:
	global_store_byte v[8:9], v2, off
.LBB135_394:
	s_mov_b64 s[10:11], 0
.LBB135_395:
	s_mov_b64 s[2:3], 0
	s_and_b64 vcc, exec, s[10:11]
	s_cbranch_vccz .LBB135_417
; %bb.396:
	s_cmp_gt_i32 s12, 22
	s_mov_b64 s[4:5], -1
	s_cbranch_scc0 .LBB135_409
; %bb.397:
	s_cmp_lt_i32 s12, 24
	s_cbranch_scc1 .LBB135_406
; %bb.398:
	s_cmp_gt_i32 s12, 24
	s_cbranch_scc0 .LBB135_403
; %bb.399:
	s_andn2_b64 vcc, exec, s[40:41]
	v_mov_b32_e32 v2, 0x80
	s_cbranch_vccnz .LBB135_402
; %bb.400:
	s_or_b64 s[4:5], s[0:1], s[42:43]
	s_andn2_b64 vcc, exec, s[4:5]
	v_mov_b32_e32 v2, 0
	s_cbranch_vccnz .LBB135_402
; %bb.401:
	v_mov_b32_e32 v2, s83
	v_cndmask_b32_e64 v2, v14, v2, s[0:1]
	v_or_b32_e32 v2, s78, v2
.LBB135_402:
	s_mov_b64 s[4:5], 0
	global_store_byte v[8:9], v2, off
.LBB135_403:
	s_and_b64 vcc, exec, s[4:5]
	s_cbranch_vccz .LBB135_405
; %bb.404:
	v_mov_b32_e32 v2, s77
	global_store_byte v[8:9], v2, off
.LBB135_405:
	s_mov_b64 s[4:5], 0
.LBB135_406:
	s_andn2_b64 vcc, exec, s[4:5]
	s_cbranch_vccnz .LBB135_408
; %bb.407:
	s_and_b64 s[0:1], s[38:39], exec
	s_cselect_b32 s4, s81, s80
	s_and_b64 s[0:1], s[36:37], exec
	s_cselect_b32 s0, s82, s4
	s_or_b32 s0, s0, s78
	v_mov_b32_e32 v2, s0
	global_store_byte v[8:9], v2, off
.LBB135_408:
	s_mov_b64 s[4:5], 0
.LBB135_409:
	s_andn2_b64 vcc, exec, s[4:5]
	s_mov_b64 s[0:1], 0
	s_cbranch_vccnz .LBB135_418
; %bb.410:
	s_cmp_gt_i32 s12, 14
	s_mov_b64 s[4:5], -1
	s_cbranch_scc0 .LBB135_414
; %bb.411:
	s_cmp_eq_u32 s12, 15
	s_mov_b64 s[8:9], -1
	s_cbranch_scc0 .LBB135_413
; %bb.412:
	v_mov_b32_e32 v2, s79
	global_store_short v[8:9], v2, off
	s_mov_b64 s[8:9], 0
.LBB135_413:
	s_mov_b64 s[4:5], 0
.LBB135_414:
	s_and_b64 vcc, exec, s[4:5]
	s_cbranch_vccz .LBB135_418
; %bb.415:
	s_cmp_lg_u32 s12, 11
	s_cselect_b64 s[4:5], -1, 0
	s_andn2_b64 s[8:9], s[8:9], exec
	s_and_b64 s[4:5], s[4:5], exec
	s_mov_b64 s[0:1], -1
	s_or_b64 s[8:9], s[8:9], s[4:5]
	s_branch .LBB135_418
.LBB135_416:
	s_mov_b64 s[0:1], 0
	s_mov_b64 s[2:3], -1
	s_mov_b64 s[8:9], s[70:71]
	s_branch .LBB135_418
.LBB135_417:
	s_mov_b64 s[0:1], 0
.LBB135_418:
	s_and_b64 s[14:15], s[2:3], exec
	s_and_b64 s[10:11], s[0:1], exec
	s_andn2_b64 s[0:1], s[70:71], exec
	s_and_b64 s[2:3], s[8:9], exec
	s_or_b64 s[12:13], s[0:1], s[2:3]
.LBB135_419:
	s_or_b64 exec, exec, s[72:73]
	s_andn2_b64 s[0:1], s[70:71], exec
	s_and_b64 s[2:3], s[12:13], exec
	s_and_b64 s[14:15], s[14:15], exec
	;; [unrolled: 1-line block ×3, first 2 shown]
	s_or_b64 s[70:71], s[0:1], s[2:3]
.LBB135_420:
	s_or_b64 exec, exec, s[68:69]
	s_andn2_b64 s[0:1], s[64:65], exec
	s_and_b64 s[2:3], s[70:71], exec
	s_and_b64 s[12:13], s[14:15], exec
	;; [unrolled: 1-line block ×3, first 2 shown]
	s_or_b64 s[64:65], s[0:1], s[2:3]
.LBB135_421:
	s_or_b64 exec, exec, s[66:67]
	s_andn2_b64 s[0:1], s[60:61], exec
	s_and_b64 s[2:3], s[64:65], exec
	s_and_b64 s[8:9], s[12:13], exec
	;; [unrolled: 1-line block ×3, first 2 shown]
	s_or_b64 s[60:61], s[0:1], s[2:3]
	s_or_b64 exec, exec, s[62:63]
	s_mov_b64 s[0:1], 0
	s_and_saveexec_b64 s[2:3], s[60:61]
	s_cbranch_execz .LBB135_122
.LBB135_422:
	s_mov_b64 s[0:1], exec
	s_andn2_b64 s[66:67], s[66:67], exec
	s_trap 2
	s_or_b64 exec, exec, s[2:3]
	s_and_saveexec_b64 s[2:3], s[66:67]
	s_xor_b64 s[2:3], exec, s[2:3]
	s_cbranch_execnz .LBB135_123
.LBB135_423:
	s_or_b64 exec, exec, s[2:3]
	s_and_saveexec_b64 s[2:3], s[8:9]
	s_xor_b64 s[2:3], exec, s[2:3]
	s_cbranch_execz .LBB135_461
.LBB135_424:
	s_sext_i32_i16 s8, s75
	s_cmp_lt_i32 s8, 5
	s_mov_b64 s[4:5], -1
	s_cbranch_scc1 .LBB135_445
; %bb.425:
	s_cmp_lt_i32 s8, 8
	s_cbranch_scc1 .LBB135_435
; %bb.426:
	s_cmp_lt_i32 s8, 9
	s_cbranch_scc1 .LBB135_432
; %bb.427:
	s_cmp_gt_i32 s8, 9
	s_cbranch_scc0 .LBB135_429
; %bb.428:
	v_mov_b32_e32 v2, 0
	v_mov_b32_e32 v3, v2
	s_mov_b64 s[4:5], 0
	global_store_dwordx4 v[8:9], v[0:3], off
.LBB135_429:
	s_andn2_b64 vcc, exec, s[4:5]
	s_cbranch_vccnz .LBB135_431
; %bb.430:
	v_mov_b32_e32 v2, s76
	v_mov_b32_e32 v3, 0
	global_store_dwordx2 v[8:9], v[2:3], off
.LBB135_431:
	s_mov_b64 s[4:5], 0
.LBB135_432:
	s_andn2_b64 vcc, exec, s[4:5]
	s_cbranch_vccnz .LBB135_434
; %bb.433:
	global_store_dword v[8:9], v12, off
.LBB135_434:
	s_mov_b64 s[4:5], 0
.LBB135_435:
	s_andn2_b64 vcc, exec, s[4:5]
	s_cbranch_vccnz .LBB135_444
; %bb.436:
	s_sext_i32_i16 s8, s75
	s_cmp_lt_i32 s8, 6
	s_mov_b64 s[4:5], -1
	s_cbranch_scc1 .LBB135_442
; %bb.437:
	s_cmp_gt_i32 s8, 6
	s_cbranch_scc0 .LBB135_439
; %bb.438:
	s_mov_b64 s[4:5], 0
	global_store_dwordx2 v[8:9], v[0:1], off
.LBB135_439:
	s_andn2_b64 vcc, exec, s[4:5]
	s_cbranch_vccnz .LBB135_441
; %bb.440:
	v_mov_b32_e32 v0, s76
	global_store_dword v[8:9], v0, off
.LBB135_441:
	s_mov_b64 s[4:5], 0
.LBB135_442:
	s_andn2_b64 vcc, exec, s[4:5]
	s_cbranch_vccnz .LBB135_444
; %bb.443:
	global_store_short v[8:9], v12, off
.LBB135_444:
	s_mov_b64 s[4:5], 0
.LBB135_445:
	s_andn2_b64 vcc, exec, s[4:5]
	s_cbranch_vccnz .LBB135_461
; %bb.446:
	s_sext_i32_i16 s8, s75
	s_cmp_lt_i32 s8, 2
	s_mov_b64 s[4:5], -1
	s_cbranch_scc1 .LBB135_456
; %bb.447:
	s_cmp_lt_i32 s8, 3
	s_cbranch_scc1 .LBB135_453
; %bb.448:
	s_cmp_gt_i32 s8, 3
	s_cbranch_scc0 .LBB135_450
; %bb.449:
	s_mov_b64 s[4:5], 0
	global_store_dwordx2 v[8:9], v[4:5], off
.LBB135_450:
	s_andn2_b64 vcc, exec, s[4:5]
	s_cbranch_vccnz .LBB135_452
; %bb.451:
	global_store_dword v[8:9], v10, off
.LBB135_452:
	s_mov_b64 s[4:5], 0
.LBB135_453:
	s_andn2_b64 vcc, exec, s[4:5]
	s_cbranch_vccnz .LBB135_455
; %bb.454:
	global_store_short v[8:9], v10, off
.LBB135_455:
	s_mov_b64 s[4:5], 0
.LBB135_456:
	s_andn2_b64 vcc, exec, s[4:5]
	s_cbranch_vccnz .LBB135_461
; %bb.457:
	s_sext_i32_i16 s4, s75
	s_cmp_gt_i32 s4, 0
	s_mov_b64 s[4:5], -1
	s_cbranch_scc0 .LBB135_459
; %bb.458:
	s_mov_b64 s[4:5], 0
	global_store_byte v[8:9], v10, off
.LBB135_459:
	s_andn2_b64 vcc, exec, s[4:5]
	s_cbranch_vccnz .LBB135_461
; %bb.460:
	global_store_byte v[8:9], v4, off
.LBB135_461:
	s_or_b64 exec, exec, s[2:3]
	s_and_b64 s[20:21], s[0:1], exec
                                        ; implicit-def: $vgpr8
                                        ; implicit-def: $vgpr11
.LBB135_462:
	s_or_saveexec_b64 s[22:23], s[34:35]
	s_mov_b64 s[2:3], 0
                                        ; implicit-def: $sgpr13
                                        ; implicit-def: $vgpr0_vgpr1
                                        ; implicit-def: $sgpr12
	s_xor_b64 exec, exec, s[22:23]
	s_cbranch_execz .LBB135_915
; %bb.463:
	v_cndmask_b32_e64 v0, 0, 1, s[30:31]
	v_cmp_ne_u32_e64 s[0:1], 1, v0
	s_andn2_b64 vcc, exec, s[30:31]
	s_cbranch_vccnz .LBB135_469
; %bb.464:
	s_cmp_lg_u32 s33, 0
	s_mov_b32 s26, 0
	s_cbranch_scc0 .LBB135_470
; %bb.465:
	s_min_u32 s27, s74, 15
	s_add_i32 s27, s27, 1
	s_cmp_eq_u32 s74, 2
	s_cbranch_scc1 .LBB135_471
; %bb.466:
	s_and_b32 s26, s27, 28
	s_add_u32 s2, s28, 0xc4
	s_addc_u32 s3, s29, 0
	s_mov_b32 s30, 0
	v_mov_b32_e32 v6, 0
	s_mov_b64 s[24:25], s[28:29]
	v_mov_b32_e32 v0, v11
.LBB135_467:                            ; =>This Inner Loop Header: Depth=1
	s_load_dwordx8 s[4:11], s[24:25], 0x4
	s_load_dwordx4 s[12:15], s[24:25], 0x24
	s_load_dwordx4 s[16:19], s[2:3], 0x0
	s_add_u32 s24, s24, 48
	s_addc_u32 s25, s25, 0
	s_waitcnt lgkmcnt(0)
	v_mul_hi_u32 v1, s5, v0
	s_add_i32 s30, s30, 4
	s_add_u32 s2, s2, 16
	s_addc_u32 s3, s3, 0
	v_add_u32_e32 v1, v0, v1
	v_lshrrev_b32_e32 v1, s6, v1
	v_mul_lo_u32 v2, v1, s4
	v_mul_hi_u32 v3, s8, v1
	s_cmp_lg_u32 s26, s30
	v_sub_u32_e32 v0, v0, v2
	v_add_u32_e32 v2, v1, v3
	v_lshrrev_b32_e32 v2, s9, v2
	v_mul_lo_u32 v3, v0, s16
	v_mul_hi_u32 v0, s11, v2
	v_mul_lo_u32 v5, v2, s7
	v_add_u32_e32 v0, v2, v0
	v_lshrrev_b32_e32 v4, s12, v0
	v_mul_hi_u32 v0, s14, v4
	v_sub_u32_e32 v1, v1, v5
	v_mul_lo_u32 v5, v4, s10
	v_mul_lo_u32 v1, v1, s17
	v_add_u32_e32 v0, v4, v0
	v_lshrrev_b32_e32 v0, s15, v0
	v_mul_lo_u32 v7, v0, s13
	v_sub_u32_e32 v2, v2, v5
	v_mul_lo_u32 v2, v2, s18
	v_add3_u32 v1, v3, v6, v1
	v_sub_u32_e32 v4, v4, v7
	v_mul_lo_u32 v4, v4, s19
	v_add3_u32 v6, v2, v1, v4
	s_cbranch_scc1 .LBB135_467
; %bb.468:
	s_and_b32 s6, s27, 3
	s_cmp_eq_u32 s6, 0
	s_cbranch_scc0 .LBB135_472
	s_branch .LBB135_474
.LBB135_469:
                                        ; implicit-def: $vgpr6
	s_branch .LBB135_475
.LBB135_470:
	v_mov_b32_e32 v6, 0
	s_branch .LBB135_474
.LBB135_471:
	v_mov_b32_e32 v6, 0
	v_mov_b32_e32 v0, v11
	s_and_b32 s6, s27, 3
	s_cmp_eq_u32 s6, 0
	s_cbranch_scc1 .LBB135_474
.LBB135_472:
	s_lshl_b32 s2, s26, 2
	s_add_u32 s2, s28, s2
	s_addc_u32 s3, s29, 0
	s_add_u32 s2, s2, 0xc4
	s_addc_u32 s3, s3, 0
	s_mul_i32 s4, s26, 12
	s_add_u32 s4, s28, s4
	s_addc_u32 s5, s29, 0
.LBB135_473:                            ; =>This Inner Loop Header: Depth=1
	s_load_dwordx2 s[8:9], s[4:5], 0x4
	s_load_dword s7, s[4:5], 0xc
	s_add_u32 s4, s4, 12
	s_addc_u32 s5, s5, 0
	s_waitcnt lgkmcnt(0)
	v_mul_hi_u32 v1, s9, v0
	s_load_dword s9, s[2:3], 0x0
	s_add_u32 s2, s2, 4
	s_addc_u32 s3, s3, 0
	v_add_u32_e32 v1, v0, v1
	v_lshrrev_b32_e32 v1, s7, v1
	v_mul_lo_u32 v2, v1, s8
	s_add_i32 s6, s6, -1
	s_cmp_lg_u32 s6, 0
	v_sub_u32_e32 v0, v0, v2
	s_waitcnt lgkmcnt(0)
	v_mad_u64_u32 v[6:7], s[8:9], v0, s9, v[6:7]
	v_mov_b32_e32 v0, v1
	s_cbranch_scc1 .LBB135_473
.LBB135_474:
	s_cbranch_execnz .LBB135_477
.LBB135_475:
	s_load_dwordx4 s[4:7], s[28:29], 0x4
	s_load_dword s2, s[28:29], 0xc4
	s_cmp_lt_u32 s33, 2
	s_waitcnt lgkmcnt(0)
	v_mul_hi_u32 v0, s5, v11
	v_add_u32_e32 v0, v11, v0
	v_lshrrev_b32_e32 v0, s6, v0
	v_mul_lo_u32 v1, v0, s4
	v_sub_u32_e32 v1, v11, v1
	v_mul_lo_u32 v6, v1, s2
	s_cbranch_scc1 .LBB135_477
; %bb.476:
	s_load_dwordx4 s[4:7], s[28:29], 0x10
	s_load_dword s2, s[28:29], 0xc8
	s_waitcnt lgkmcnt(0)
	v_mul_hi_u32 v1, s5, v0
	v_add_u32_e32 v1, v0, v1
	v_lshrrev_b32_e32 v1, s6, v1
	v_mul_lo_u32 v1, v1, s4
	v_sub_u32_e32 v0, v0, v1
	v_mad_u64_u32 v[6:7], s[2:3], v0, s2, v[6:7]
.LBB135_477:
	s_and_b64 vcc, exec, s[0:1]
	v_add_u32_e32 v0, 0x80, v11
	s_cbranch_vccnz .LBB135_483
; %bb.478:
	s_cmp_lg_u32 s33, 0
	s_mov_b32 s26, 0
	s_cbranch_scc0 .LBB135_484
; %bb.479:
	s_min_u32 s27, s74, 15
	s_add_i32 s27, s27, 1
	s_cmp_eq_u32 s74, 2
	s_cbranch_scc1 .LBB135_485
; %bb.480:
	s_and_b32 s26, s27, 28
	s_add_u32 s2, s28, 0xc4
	s_addc_u32 s3, s29, 0
	s_mov_b32 s30, 0
	v_mov_b32_e32 v4, 0
	s_mov_b64 s[24:25], s[28:29]
	v_mov_b32_e32 v1, v0
.LBB135_481:                            ; =>This Inner Loop Header: Depth=1
	s_load_dwordx8 s[4:11], s[24:25], 0x4
	s_load_dwordx4 s[12:15], s[24:25], 0x24
	s_load_dwordx4 s[16:19], s[2:3], 0x0
	s_add_u32 s24, s24, 48
	s_addc_u32 s25, s25, 0
	s_waitcnt lgkmcnt(0)
	v_mul_hi_u32 v2, s5, v1
	s_add_i32 s30, s30, 4
	s_add_u32 s2, s2, 16
	s_addc_u32 s3, s3, 0
	v_add_u32_e32 v2, v1, v2
	v_lshrrev_b32_e32 v2, s6, v2
	v_mul_lo_u32 v3, v2, s4
	v_mul_hi_u32 v5, s8, v2
	s_cmp_lg_u32 s26, s30
	v_sub_u32_e32 v1, v1, v3
	v_add_u32_e32 v3, v2, v5
	v_lshrrev_b32_e32 v3, s9, v3
	v_mul_lo_u32 v5, v1, s16
	v_mul_hi_u32 v1, s11, v3
	v_mul_lo_u32 v9, v3, s7
	v_add_u32_e32 v1, v3, v1
	v_lshrrev_b32_e32 v7, s12, v1
	v_mul_hi_u32 v1, s14, v7
	v_sub_u32_e32 v2, v2, v9
	v_mul_lo_u32 v9, v7, s10
	v_mul_lo_u32 v2, v2, s17
	v_add_u32_e32 v1, v7, v1
	v_lshrrev_b32_e32 v1, s15, v1
	v_mul_lo_u32 v10, v1, s13
	v_sub_u32_e32 v3, v3, v9
	v_mul_lo_u32 v3, v3, s18
	v_add3_u32 v2, v5, v4, v2
	v_sub_u32_e32 v7, v7, v10
	v_mul_lo_u32 v7, v7, s19
	v_add3_u32 v4, v3, v2, v7
	s_cbranch_scc1 .LBB135_481
; %bb.482:
	s_and_b32 s6, s27, 3
	s_cmp_eq_u32 s6, 0
	s_cbranch_scc0 .LBB135_486
	s_branch .LBB135_488
.LBB135_483:
                                        ; implicit-def: $vgpr4
	s_branch .LBB135_489
.LBB135_484:
	v_mov_b32_e32 v4, 0
	s_branch .LBB135_488
.LBB135_485:
	v_mov_b32_e32 v4, 0
	v_mov_b32_e32 v1, v0
	s_and_b32 s6, s27, 3
	s_cmp_eq_u32 s6, 0
	s_cbranch_scc1 .LBB135_488
.LBB135_486:
	s_lshl_b32 s2, s26, 2
	s_add_u32 s2, s28, s2
	s_addc_u32 s3, s29, 0
	s_add_u32 s2, s2, 0xc4
	s_addc_u32 s3, s3, 0
	s_mul_i32 s4, s26, 12
	s_add_u32 s4, s28, s4
	s_addc_u32 s5, s29, 0
.LBB135_487:                            ; =>This Inner Loop Header: Depth=1
	s_load_dwordx2 s[8:9], s[4:5], 0x4
	s_load_dword s7, s[4:5], 0xc
	s_add_u32 s4, s4, 12
	s_addc_u32 s5, s5, 0
	s_waitcnt lgkmcnt(0)
	v_mul_hi_u32 v2, s9, v1
	s_load_dword s9, s[2:3], 0x0
	s_add_u32 s2, s2, 4
	s_addc_u32 s3, s3, 0
	v_add_u32_e32 v2, v1, v2
	v_lshrrev_b32_e32 v2, s7, v2
	v_mul_lo_u32 v3, v2, s8
	s_add_i32 s6, s6, -1
	s_cmp_lg_u32 s6, 0
	v_sub_u32_e32 v1, v1, v3
	s_waitcnt lgkmcnt(0)
	v_mad_u64_u32 v[4:5], s[8:9], v1, s9, v[4:5]
	v_mov_b32_e32 v1, v2
	s_cbranch_scc1 .LBB135_487
.LBB135_488:
	s_cbranch_execnz .LBB135_491
.LBB135_489:
	s_load_dwordx4 s[4:7], s[28:29], 0x4
	s_load_dword s2, s[28:29], 0xc4
	s_cmp_lt_u32 s33, 2
	s_waitcnt lgkmcnt(0)
	v_mul_hi_u32 v1, s5, v0
	v_add_u32_e32 v1, v0, v1
	v_lshrrev_b32_e32 v1, s6, v1
	v_mul_lo_u32 v2, v1, s4
	v_sub_u32_e32 v0, v0, v2
	v_mul_lo_u32 v4, v0, s2
	s_cbranch_scc1 .LBB135_491
; %bb.490:
	s_load_dwordx4 s[4:7], s[28:29], 0x10
	s_load_dword s2, s[28:29], 0xc8
	s_waitcnt lgkmcnt(0)
	v_mul_hi_u32 v0, s5, v1
	v_add_u32_e32 v0, v1, v0
	v_lshrrev_b32_e32 v0, s6, v0
	v_mul_lo_u32 v0, v0, s4
	v_sub_u32_e32 v0, v1, v0
	v_mad_u64_u32 v[4:5], s[2:3], v0, s2, v[4:5]
.LBB135_491:
	s_and_b64 vcc, exec, s[0:1]
	v_add_u32_e32 v0, 0x100, v11
	s_cbranch_vccnz .LBB135_497
; %bb.492:
	s_cmp_lg_u32 s33, 0
	s_mov_b32 s26, 0
	s_cbranch_scc0 .LBB135_498
; %bb.493:
	s_min_u32 s27, s74, 15
	s_add_i32 s27, s27, 1
	s_cmp_eq_u32 s74, 2
	s_cbranch_scc1 .LBB135_499
; %bb.494:
	s_and_b32 s26, s27, 28
	s_add_u32 s2, s28, 0xc4
	s_addc_u32 s3, s29, 0
	s_mov_b32 s30, 0
	v_mov_b32_e32 v2, 0
	s_mov_b64 s[24:25], s[28:29]
	v_mov_b32_e32 v1, v0
.LBB135_495:                            ; =>This Inner Loop Header: Depth=1
	s_load_dwordx8 s[4:11], s[24:25], 0x4
	s_load_dwordx4 s[12:15], s[24:25], 0x24
	s_load_dwordx4 s[16:19], s[2:3], 0x0
	s_add_u32 s24, s24, 48
	s_addc_u32 s25, s25, 0
	s_waitcnt lgkmcnt(0)
	v_mul_hi_u32 v3, s5, v1
	s_add_i32 s30, s30, 4
	s_add_u32 s2, s2, 16
	s_addc_u32 s3, s3, 0
	v_add_u32_e32 v3, v1, v3
	v_lshrrev_b32_e32 v3, s6, v3
	v_mul_lo_u32 v5, v3, s4
	v_mul_hi_u32 v7, s8, v3
	s_cmp_lg_u32 s26, s30
	v_sub_u32_e32 v1, v1, v5
	v_add_u32_e32 v5, v3, v7
	v_lshrrev_b32_e32 v5, s9, v5
	v_mul_lo_u32 v7, v1, s16
	v_mul_hi_u32 v1, s11, v5
	v_mul_lo_u32 v10, v5, s7
	v_add_u32_e32 v1, v5, v1
	v_lshrrev_b32_e32 v9, s12, v1
	v_mul_hi_u32 v1, s14, v9
	v_sub_u32_e32 v3, v3, v10
	v_mul_lo_u32 v10, v9, s10
	v_mul_lo_u32 v3, v3, s17
	v_add_u32_e32 v1, v9, v1
	v_lshrrev_b32_e32 v1, s15, v1
	v_mul_lo_u32 v11, v1, s13
	v_sub_u32_e32 v5, v5, v10
	v_mul_lo_u32 v5, v5, s18
	v_add3_u32 v2, v7, v2, v3
	v_sub_u32_e32 v9, v9, v11
	v_mul_lo_u32 v9, v9, s19
	v_add3_u32 v2, v5, v2, v9
	s_cbranch_scc1 .LBB135_495
; %bb.496:
	s_and_b32 s6, s27, 3
	s_cmp_eq_u32 s6, 0
	s_cbranch_scc0 .LBB135_500
	s_branch .LBB135_502
.LBB135_497:
                                        ; implicit-def: $vgpr2
	s_branch .LBB135_503
.LBB135_498:
	v_mov_b32_e32 v2, 0
	s_branch .LBB135_502
.LBB135_499:
	v_mov_b32_e32 v2, 0
	v_mov_b32_e32 v1, v0
	s_and_b32 s6, s27, 3
	s_cmp_eq_u32 s6, 0
	s_cbranch_scc1 .LBB135_502
.LBB135_500:
	s_lshl_b32 s2, s26, 2
	s_add_u32 s2, s28, s2
	s_addc_u32 s3, s29, 0
	s_add_u32 s2, s2, 0xc4
	s_addc_u32 s3, s3, 0
	s_mul_i32 s4, s26, 12
	s_add_u32 s4, s28, s4
	s_addc_u32 s5, s29, 0
.LBB135_501:                            ; =>This Inner Loop Header: Depth=1
	s_load_dwordx2 s[8:9], s[4:5], 0x4
	s_load_dword s7, s[4:5], 0xc
	s_add_u32 s4, s4, 12
	s_addc_u32 s5, s5, 0
	s_waitcnt lgkmcnt(0)
	v_mul_hi_u32 v3, s9, v1
	s_load_dword s9, s[2:3], 0x0
	s_add_u32 s2, s2, 4
	s_addc_u32 s3, s3, 0
	v_add_u32_e32 v3, v1, v3
	v_lshrrev_b32_e32 v5, s7, v3
	v_mul_lo_u32 v3, v5, s8
	s_add_i32 s6, s6, -1
	s_cmp_lg_u32 s6, 0
	v_sub_u32_e32 v1, v1, v3
	s_waitcnt lgkmcnt(0)
	v_mad_u64_u32 v[2:3], s[8:9], v1, s9, v[2:3]
	v_mov_b32_e32 v1, v5
	s_cbranch_scc1 .LBB135_501
.LBB135_502:
	s_cbranch_execnz .LBB135_505
.LBB135_503:
	s_load_dwordx4 s[4:7], s[28:29], 0x4
	s_load_dword s2, s[28:29], 0xc4
	s_cmp_lt_u32 s33, 2
	s_waitcnt lgkmcnt(0)
	v_mul_hi_u32 v1, s5, v0
	v_add_u32_e32 v1, v0, v1
	v_lshrrev_b32_e32 v1, s6, v1
	v_mul_lo_u32 v2, v1, s4
	v_sub_u32_e32 v0, v0, v2
	v_mul_lo_u32 v2, v0, s2
	s_cbranch_scc1 .LBB135_505
; %bb.504:
	s_load_dwordx4 s[4:7], s[28:29], 0x10
	s_load_dword s2, s[28:29], 0xc8
	s_waitcnt lgkmcnt(0)
	v_mul_hi_u32 v0, s5, v1
	v_add_u32_e32 v0, v1, v0
	v_lshrrev_b32_e32 v0, s6, v0
	v_mul_lo_u32 v0, v0, s4
	v_sub_u32_e32 v0, v1, v0
	v_mad_u64_u32 v[2:3], s[2:3], v0, s2, v[2:3]
.LBB135_505:
	s_and_b64 vcc, exec, s[0:1]
	s_cbranch_vccnz .LBB135_511
; %bb.506:
	s_cmp_lg_u32 s33, 0
	s_mov_b32 s24, 0
	s_cbranch_scc0 .LBB135_512
; %bb.507:
	s_min_u32 s25, s74, 15
	s_add_i32 s25, s25, 1
	s_cmp_eq_u32 s74, 2
	s_cbranch_scc1 .LBB135_513
; %bb.508:
	s_and_b32 s24, s25, 28
	s_add_u32 s16, s28, 0xc4
	s_addc_u32 s17, s29, 0
	s_mov_b32 s26, 0
	v_mov_b32_e32 v0, 0
	s_mov_b64 s[18:19], s[28:29]
	v_mov_b32_e32 v1, v8
.LBB135_509:                            ; =>This Inner Loop Header: Depth=1
	s_load_dwordx8 s[0:7], s[18:19], 0x4
	s_load_dwordx4 s[8:11], s[18:19], 0x24
	s_load_dwordx4 s[12:15], s[16:17], 0x0
	s_add_u32 s18, s18, 48
	s_addc_u32 s19, s19, 0
	s_waitcnt lgkmcnt(0)
	v_mul_hi_u32 v3, s1, v1
	s_add_i32 s26, s26, 4
	s_add_u32 s16, s16, 16
	s_addc_u32 s17, s17, 0
	v_add_u32_e32 v3, v1, v3
	v_lshrrev_b32_e32 v3, s2, v3
	v_mul_lo_u32 v5, v3, s0
	v_mul_hi_u32 v7, s4, v3
	s_cmp_lg_u32 s24, s26
	v_sub_u32_e32 v1, v1, v5
	v_add_u32_e32 v5, v3, v7
	v_lshrrev_b32_e32 v5, s5, v5
	v_mul_lo_u32 v7, v1, s12
	v_mul_hi_u32 v1, s7, v5
	v_mul_lo_u32 v10, v5, s3
	v_add_u32_e32 v1, v5, v1
	v_lshrrev_b32_e32 v9, s8, v1
	v_mul_hi_u32 v1, s10, v9
	v_sub_u32_e32 v3, v3, v10
	v_mul_lo_u32 v10, v9, s6
	v_mul_lo_u32 v3, v3, s13
	v_add_u32_e32 v1, v9, v1
	v_lshrrev_b32_e32 v1, s11, v1
	v_mul_lo_u32 v11, v1, s9
	v_sub_u32_e32 v5, v5, v10
	v_mul_lo_u32 v5, v5, s14
	v_add3_u32 v0, v7, v0, v3
	v_sub_u32_e32 v9, v9, v11
	v_mul_lo_u32 v9, v9, s15
	v_add3_u32 v0, v5, v0, v9
	s_cbranch_scc1 .LBB135_509
; %bb.510:
	s_and_b32 s4, s25, 3
	s_cmp_eq_u32 s4, 0
	s_cbranch_scc0 .LBB135_514
	s_branch .LBB135_516
.LBB135_511:
                                        ; implicit-def: $vgpr0
	s_branch .LBB135_517
.LBB135_512:
	v_mov_b32_e32 v0, 0
	s_branch .LBB135_516
.LBB135_513:
	v_mov_b32_e32 v0, 0
	v_mov_b32_e32 v1, v8
	s_and_b32 s4, s25, 3
	s_cmp_eq_u32 s4, 0
	s_cbranch_scc1 .LBB135_516
.LBB135_514:
	s_lshl_b32 s0, s24, 2
	s_add_u32 s0, s28, s0
	s_addc_u32 s1, s29, 0
	s_add_u32 s0, s0, 0xc4
	s_addc_u32 s1, s1, 0
	s_mul_i32 s2, s24, 12
	s_add_u32 s2, s28, s2
	s_addc_u32 s3, s29, 0
.LBB135_515:                            ; =>This Inner Loop Header: Depth=1
	s_load_dwordx2 s[6:7], s[2:3], 0x4
	s_load_dword s5, s[2:3], 0xc
	s_add_u32 s2, s2, 12
	s_addc_u32 s3, s3, 0
	s_waitcnt lgkmcnt(0)
	v_mul_hi_u32 v3, s7, v1
	s_load_dword s7, s[0:1], 0x0
	s_add_u32 s0, s0, 4
	s_addc_u32 s1, s1, 0
	v_add_u32_e32 v3, v1, v3
	v_lshrrev_b32_e32 v3, s5, v3
	v_mul_lo_u32 v5, v3, s6
	s_add_i32 s4, s4, -1
	s_cmp_lg_u32 s4, 0
	v_sub_u32_e32 v1, v1, v5
	s_waitcnt lgkmcnt(0)
	v_mad_u64_u32 v[0:1], s[6:7], v1, s7, v[0:1]
	v_mov_b32_e32 v1, v3
	s_cbranch_scc1 .LBB135_515
.LBB135_516:
	s_cbranch_execnz .LBB135_519
.LBB135_517:
	s_load_dwordx4 s[0:3], s[28:29], 0x4
	s_waitcnt lgkmcnt(0)
	s_load_dword s3, s[28:29], 0xc4
	s_cmp_lt_u32 s33, 2
	v_mul_hi_u32 v0, s1, v8
	v_add_u32_e32 v0, v8, v0
	v_lshrrev_b32_e32 v1, s2, v0
	v_mul_lo_u32 v0, v1, s0
	v_sub_u32_e32 v0, v8, v0
	s_waitcnt lgkmcnt(0)
	v_mul_lo_u32 v0, v0, s3
	s_cbranch_scc1 .LBB135_519
; %bb.518:
	s_load_dwordx4 s[0:3], s[28:29], 0x10
	s_waitcnt lgkmcnt(0)
	s_load_dword s3, s[28:29], 0xc8
	v_mul_hi_u32 v3, s1, v1
	v_add_u32_e32 v3, v1, v3
	v_lshrrev_b32_e32 v3, s2, v3
	v_mul_lo_u32 v3, v3, s0
	v_sub_u32_e32 v1, v1, v3
	s_waitcnt lgkmcnt(0)
	v_mad_u64_u32 v[0:1], s[0:1], v1, s3, v[0:1]
.LBB135_519:
	s_load_dwordx2 s[2:3], s[28:29], 0x108
	s_load_dword s12, s[28:29], 0x110
	s_waitcnt lgkmcnt(0)
	v_mov_b32_e32 v1, s3
	s_bfe_u32 s13, s12, 0x80008
	v_add_co_u32_e32 v5, vcc, s2, v6
	s_cmp_lt_i32 s13, 11
	v_addc_co_u32_e32 v6, vcc, 0, v1, vcc
	s_cbranch_scc1 .LBB135_547
; %bb.520:
	s_and_b32 s10, 0xffff, s13
	s_mov_b64 s[8:9], -1
	s_mov_b64 s[4:5], 0
	s_cmp_gt_i32 s10, 25
	s_mov_b64 s[6:7], 0
	s_mov_b64 s[0:1], 0
	s_cbranch_scc0 .LBB135_557
; %bb.521:
	s_cmp_gt_i32 s10, 28
	s_cbranch_scc0 .LBB135_536
; %bb.522:
	s_cmp_gt_i32 s10, 43
	;; [unrolled: 3-line block ×3, first 2 shown]
	s_cbranch_scc0 .LBB135_526
; %bb.524:
	s_mov_b64 s[0:1], -1
	s_mov_b64 s[8:9], 0
	s_cmp_eq_u32 s10, 46
	s_cbranch_scc0 .LBB135_526
; %bb.525:
	s_lshl_b32 s0, s12, 24
	s_and_b32 s1, s0, 0x80000000
	s_and_b32 s0, s0, 0x7f000000
	s_flbit_i32_b32 s6, s0
	s_min_u32 s6, s6, 32
	v_sub_u32_e64 v1, s6, 4 clamp
	v_readfirstlane_b32 s7, v1
	s_lshl_b32 s11, s0, s7
	s_add_i32 s6, s0, 0x1000000
	s_lshr_b32 s11, s11, 4
	s_lshl_b32 s7, s7, 23
	s_ashr_i32 s6, s6, 8
	s_sub_i32 s7, s11, s7
	s_and_b32 s6, s6, 0x7f800000
	s_add_i32 s7, s7, 0x3c000000
	s_or_b32 s6, s7, s6
	s_cmp_lg_u32 s0, 0
	s_cselect_b32 s0, s6, 0
	s_or_b32 s1, s0, s1
	s_bfe_u32 s0, s0, 0x10010
	s_add_i32 s0, s1, s0
	s_addk_i32 s0, 0x7fff
	s_lshr_b32 s6, s0, 16
	v_cmp_o_f32_e64 s[0:1], s1, s1
	s_and_b64 s[0:1], s[0:1], exec
	s_cselect_b32 s0, s6, 0x7fc0
	v_mov_b32_e32 v1, s0
	global_store_dword v[5:6], v1, off
	s_mov_b64 s[0:1], 0
	s_mov_b64 s[6:7], -1
.LBB135_526:
	s_and_b64 vcc, exec, s[8:9]
	s_cbranch_vccz .LBB135_531
; %bb.527:
	s_cmp_eq_u32 s10, 44
	s_mov_b64 s[0:1], -1
	s_cbranch_scc0 .LBB135_531
; %bb.528:
	s_lshl_b32 s0, s12, 24
	s_and_b32 s0, s0, 0x7f000000
	s_flbit_i32_b32 s1, s0
	s_min_u32 s1, s1, 32
	v_sub_u32_e64 v1, s1, 4 clamp
	v_readfirstlane_b32 s6, v1
	s_lshl_b32 s7, s0, s6
	s_add_i32 s1, s0, 0x1000000
	s_lshr_b32 s7, s7, 4
	s_lshl_b32 s6, s6, 23
	s_ashr_i32 s1, s1, 8
	s_sub_i32 s6, s7, s6
	s_and_b32 s1, s1, 0x7f800000
	s_add_i32 s6, s6, 0x3c000000
	s_or_b32 s1, s6, s1
	s_cmp_lg_u32 s0, 0
	s_cselect_b32 s1, s1, 0
	s_lshr_b32 s0, s1, 23
	s_cmpk_eq_i32 s0, 0xff
	v_mov_b32_e32 v1, 0xff
	s_cbranch_scc1 .LBB135_530
; %bb.529:
	s_bitcmp1_b32 s1, 22
	s_cselect_b64 s[6:7], -1, 0
	s_and_b32 s1, s1, 0x3fffff
	s_or_b32 s1, s0, s1
	s_cmp_lg_u32 s1, 0
	s_cselect_b64 s[8:9], -1, 0
	s_and_b64 s[6:7], s[6:7], s[8:9]
	v_cndmask_b32_e64 v1, 0, 1, s[6:7]
	v_add_u32_e32 v1, s0, v1
.LBB135_530:
	s_mov_b64 s[0:1], 0
	s_mov_b64 s[6:7], -1
	global_store_byte v[5:6], v1, off
.LBB135_531:
	s_mov_b64 s[8:9], 0
.LBB135_532:
	s_and_b64 vcc, exec, s[8:9]
	s_cbranch_vccz .LBB135_535
; %bb.533:
	s_cmp_eq_u32 s10, 29
	s_mov_b64 s[0:1], -1
	s_cbranch_scc0 .LBB135_535
; %bb.534:
	s_lshl_b32 s0, s12, 24
	s_and_b32 s1, s0, 0x80000000
	s_and_b32 s0, s0, 0x7f000000
	s_flbit_i32_b32 s6, s0
	s_min_u32 s6, s6, 32
	v_sub_u32_e64 v1, s6, 4 clamp
	v_readfirstlane_b32 s7, v1
	s_lshl_b32 s8, s0, s7
	s_add_i32 s6, s0, 0x1000000
	s_lshr_b32 s8, s8, 4
	s_lshl_b32 s7, s7, 23
	s_ashr_i32 s6, s6, 8
	s_sub_i32 s7, s8, s7
	s_and_b32 s6, s6, 0x7f800000
	s_add_i32 s7, s7, 0x3c000000
	s_or_b32 s6, s7, s6
	s_cmp_lg_u32 s0, 0
	s_cselect_b32 s0, s6, 0
	s_or_b32 s0, s0, s1
	v_trunc_f32_e32 v1, s0
	v_mul_f32_e32 v3, 0x2f800000, v1
	v_floor_f32_e32 v3, v3
	v_fmac_f32_e32 v1, 0xcf800000, v3
	v_cvt_u32_f32_e32 v7, v1
	v_cvt_u32_f32_e32 v8, v3
	s_mov_b64 s[0:1], 0
	s_mov_b64 s[6:7], -1
	global_store_dwordx2 v[5:6], v[7:8], off
.LBB135_535:
	s_mov_b64 s[8:9], 0
.LBB135_536:
	s_and_b64 vcc, exec, s[8:9]
	s_cbranch_vccz .LBB135_556
; %bb.537:
	s_cmp_lt_i32 s10, 27
	s_mov_b64 s[6:7], -1
	s_cbranch_scc1 .LBB135_543
; %bb.538:
	s_cmp_gt_i32 s10, 27
	s_cbranch_scc0 .LBB135_540
; %bb.539:
	s_lshl_b32 s6, s12, 24
	s_and_b32 s7, s6, 0x80000000
	s_and_b32 s6, s6, 0x7f000000
	s_flbit_i32_b32 s8, s6
	s_min_u32 s8, s8, 32
	v_sub_u32_e64 v1, s8, 4 clamp
	v_readfirstlane_b32 s9, v1
	s_lshl_b32 s11, s6, s9
	s_add_i32 s8, s6, 0x1000000
	s_lshr_b32 s11, s11, 4
	s_lshl_b32 s9, s9, 23
	s_ashr_i32 s8, s8, 8
	s_sub_i32 s9, s11, s9
	s_and_b32 s8, s8, 0x7f800000
	s_add_i32 s9, s9, 0x3c000000
	s_or_b32 s8, s9, s8
	s_cmp_lg_u32 s6, 0
	s_cselect_b32 s6, s8, 0
	s_or_b32 s6, s6, s7
	v_cvt_u32_f32_e32 v1, s6
	s_mov_b64 s[6:7], 0
	global_store_dword v[5:6], v1, off
.LBB135_540:
	s_andn2_b64 vcc, exec, s[6:7]
	s_cbranch_vccnz .LBB135_542
; %bb.541:
	s_lshl_b32 s6, s12, 24
	s_and_b32 s7, s6, 0x80000000
	s_and_b32 s6, s6, 0x7f000000
	s_flbit_i32_b32 s8, s6
	s_min_u32 s8, s8, 32
	v_sub_u32_e64 v1, s8, 4 clamp
	v_readfirstlane_b32 s9, v1
	s_lshl_b32 s11, s6, s9
	s_add_i32 s8, s6, 0x1000000
	s_lshr_b32 s11, s11, 4
	s_lshl_b32 s9, s9, 23
	s_ashr_i32 s8, s8, 8
	s_sub_i32 s9, s11, s9
	s_and_b32 s8, s8, 0x7f800000
	s_add_i32 s9, s9, 0x3c000000
	s_or_b32 s8, s9, s8
	s_cmp_lg_u32 s6, 0
	s_cselect_b32 s6, s8, 0
	s_or_b32 s6, s6, s7
	v_cvt_u32_f32_e32 v1, s6
	global_store_short v[5:6], v1, off
.LBB135_542:
	s_mov_b64 s[6:7], 0
.LBB135_543:
	s_andn2_b64 vcc, exec, s[6:7]
	s_cbranch_vccnz .LBB135_555
; %bb.544:
	s_lshl_b32 s6, s12, 24
	s_and_b32 s7, s6, 0x80000000
	s_and_b32 s6, s6, 0x7f000000
	s_flbit_i32_b32 s8, s6
	s_min_u32 s8, s8, 32
	v_sub_u32_e64 v1, s8, 4 clamp
	v_readfirstlane_b32 s9, v1
	s_lshl_b32 s11, s6, s9
	s_add_i32 s8, s6, 0x1000000
	s_lshr_b32 s11, s11, 4
	s_lshl_b32 s9, s9, 23
	s_ashr_i32 s8, s8, 8
	s_sub_i32 s9, s11, s9
	s_and_b32 s8, s8, 0x7f800000
	s_add_i32 s9, s9, 0x3c000000
	s_or_b32 s8, s9, s8
	s_cmp_lg_u32 s6, 0
	s_cselect_b32 s6, s8, 0
	s_or_b32 s11, s6, s7
	s_and_b32 s7, s11, 0x7fffffff
	s_cmp_gt_u32 s7, 0x437fffff
	v_mov_b32_e32 v3, 0x80
	s_cbranch_scc1 .LBB135_554
; %bb.545:
	s_cmp_gt_u32 s7, 0x3bffffff
	s_cbranch_scc0 .LBB135_549
; %bb.546:
	s_bfe_u32 s6, s6, 0x10014
	s_add_i32 s6, s11, s6
	s_add_i32 s6, s6, 0x487ffff
	s_lshr_b32 s14, s6, 20
	s_mov_b64 s[8:9], 0
	s_mov_b64 s[6:7], -1
	s_branch .LBB135_550
.LBB135_547:
	s_mov_b64 s[6:7], 0
	s_mov_b64 s[0:1], s[20:21]
	s_cbranch_execnz .LBB135_597
.LBB135_548:
	s_andn2_b64 vcc, exec, s[6:7]
	s_cbranch_vccz .LBB135_635
	s_branch .LBB135_913
.LBB135_549:
	s_mov_b64 s[8:9], -1
	s_mov_b64 s[6:7], 0
                                        ; implicit-def: $sgpr14
.LBB135_550:
	s_andn2_b64 vcc, exec, s[8:9]
	v_mov_b32_e32 v1, s14
	s_cbranch_vccnz .LBB135_552
; %bb.551:
	v_mov_b32_e32 v1, 0x46000000
	v_add_f32_e64 v1, |s11|, v1
	v_and_b32_e32 v1, 0xff, v1
	v_cmp_ne_u32_e64 s[6:7], 0, v1
.LBB135_552:
	s_andn2_b64 vcc, exec, s[6:7]
	v_mov_b32_e32 v3, 0
	s_cbranch_vccnz .LBB135_554
; %bb.553:
	s_lshr_b32 s6, s11, 24
	s_and_b32 s6, s6, 0x80
	v_or_b32_e32 v3, s6, v1
.LBB135_554:
	global_store_byte v[5:6], v3, off
.LBB135_555:
	s_mov_b64 s[6:7], -1
.LBB135_556:
	s_mov_b64 s[8:9], 0
.LBB135_557:
	s_and_b64 vcc, exec, s[8:9]
	s_cbranch_vccz .LBB135_593
; %bb.558:
	s_cmp_gt_i32 s10, 22
	s_mov_b64 s[4:5], -1
	s_cbranch_scc0 .LBB135_586
; %bb.559:
	s_cmp_lt_i32 s10, 24
	s_cbranch_scc1 .LBB135_573
; %bb.560:
	s_cmp_gt_i32 s10, 24
	s_cbranch_scc0 .LBB135_570
; %bb.561:
	s_lshl_b32 s4, s12, 24
	s_and_b32 s5, s4, 0x80000000
	s_and_b32 s4, s4, 0x7f000000
	s_flbit_i32_b32 s6, s4
	s_min_u32 s6, s6, 32
	v_sub_u32_e64 v1, s6, 4 clamp
	v_readfirstlane_b32 s7, v1
	s_lshl_b32 s8, s4, s7
	s_add_i32 s6, s4, 0x1000000
	s_lshr_b32 s8, s8, 4
	s_lshl_b32 s7, s7, 23
	s_ashr_i32 s6, s6, 8
	s_sub_i32 s7, s8, s7
	s_and_b32 s6, s6, 0x7f800000
	s_add_i32 s7, s7, 0x3c000000
	s_or_b32 s6, s7, s6
	s_cmp_lg_u32 s4, 0
	s_cselect_b32 s4, s6, 0
	s_or_b32 s8, s4, s5
	s_and_b32 s5, s8, 0x7fffffff
	s_cmp_gt_u32 s5, 0x477fffff
	v_mov_b32_e32 v3, 0x80
	s_cbranch_scc1 .LBB135_569
; %bb.562:
	s_cmp_gt_u32 s5, 0x37ffffff
	s_cbranch_scc0 .LBB135_564
; %bb.563:
	s_bfe_u32 s4, s4, 0x10015
	s_add_i32 s4, s8, s4
	s_add_i32 s4, s4, 0x88fffff
	s_lshr_b32 s9, s4, 21
	s_mov_b64 s[6:7], 0
	s_mov_b64 s[4:5], -1
	s_branch .LBB135_565
.LBB135_564:
	s_mov_b64 s[6:7], -1
	s_mov_b64 s[4:5], 0
                                        ; implicit-def: $sgpr9
.LBB135_565:
	s_andn2_b64 vcc, exec, s[6:7]
	v_mov_b32_e32 v1, s9
	s_cbranch_vccnz .LBB135_567
; %bb.566:
	v_mov_b32_e32 v1, 0x42800000
	v_add_f32_e64 v1, |s8|, v1
	v_and_b32_e32 v1, 0xff, v1
	v_cmp_ne_u32_e64 s[4:5], 0, v1
.LBB135_567:
	s_andn2_b64 vcc, exec, s[4:5]
	v_mov_b32_e32 v3, 0
	s_cbranch_vccnz .LBB135_569
; %bb.568:
	s_lshr_b32 s4, s8, 24
	s_and_b32 s4, s4, 0x80
	v_or_b32_e32 v3, s4, v1
.LBB135_569:
	s_mov_b64 s[4:5], 0
	global_store_byte v[5:6], v3, off
.LBB135_570:
	s_and_b64 vcc, exec, s[4:5]
	s_cbranch_vccz .LBB135_572
; %bb.571:
	v_mov_b32_e32 v1, s12
	global_store_byte v[5:6], v1, off
.LBB135_572:
	s_mov_b64 s[4:5], 0
.LBB135_573:
	s_andn2_b64 vcc, exec, s[4:5]
	s_cbranch_vccnz .LBB135_585
; %bb.574:
	s_lshl_b32 s4, s12, 24
	s_and_b32 s5, s4, 0x80000000
	s_and_b32 s4, s4, 0x7f000000
	s_flbit_i32_b32 s6, s4
	s_min_u32 s6, s6, 32
	v_sub_u32_e64 v1, s6, 4 clamp
	v_readfirstlane_b32 s7, v1
	s_lshl_b32 s8, s4, s7
	s_add_i32 s6, s4, 0x1000000
	s_lshr_b32 s8, s8, 4
	s_lshl_b32 s7, s7, 23
	s_ashr_i32 s6, s6, 8
	s_sub_i32 s7, s8, s7
	s_and_b32 s6, s6, 0x7f800000
	s_add_i32 s7, s7, 0x3c000000
	s_or_b32 s6, s7, s6
	s_cmp_lg_u32 s4, 0
	s_cselect_b32 s4, s6, 0
	s_or_b32 s6, s4, s5
	s_and_b32 s7, s6, 0x7fffffff
	s_cmp_lt_u32 s7, 0x47800000
	s_cbranch_scc0 .LBB135_577
; %bb.575:
	s_cmp_gt_u32 s7, 0x387fffff
	s_cbranch_scc0 .LBB135_578
; %bb.576:
	s_bfe_u32 s4, s4, 0x10015
	s_add_i32 s4, s6, s4
	s_add_i32 s4, s4, 0x80fffff
	s_lshr_b32 s8, s4, 21
	s_mov_b64 s[4:5], 0
	s_branch .LBB135_579
.LBB135_577:
	s_mov_b64 s[4:5], -1
                                        ; implicit-def: $vgpr1
	s_branch .LBB135_582
.LBB135_578:
	s_mov_b64 s[4:5], -1
                                        ; implicit-def: $sgpr8
.LBB135_579:
	s_andn2_b64 vcc, exec, s[4:5]
	v_mov_b32_e32 v1, s8
	s_cbranch_vccnz .LBB135_581
; %bb.580:
	v_mov_b32_e32 v1, 0x43000000
	v_add_f32_e64 v1, |s6|, v1
.LBB135_581:
	s_mov_b64 s[4:5], 0
.LBB135_582:
	s_andn2_b64 vcc, exec, s[4:5]
	s_cbranch_vccnz .LBB135_584
; %bb.583:
	s_cmp_gt_u32 s7, 0x7f800000
	s_movk_i32 s4, 0x7f
	s_cselect_b32 s4, s4, 0x7c
	v_mov_b32_e32 v1, s4
.LBB135_584:
	s_lshr_b32 s4, s6, 24
	s_and_b32 s4, s4, 0x80
	v_or_b32_e32 v1, s4, v1
	global_store_byte v[5:6], v1, off
.LBB135_585:
	s_mov_b64 s[4:5], 0
	s_mov_b64 s[6:7], -1
.LBB135_586:
	s_andn2_b64 vcc, exec, s[4:5]
	s_mov_b64 s[4:5], 0
	s_cbranch_vccnz .LBB135_593
; %bb.587:
	s_cmp_gt_i32 s10, 14
	s_mov_b64 s[8:9], -1
	s_cbranch_scc0 .LBB135_591
; %bb.588:
	s_cmp_eq_u32 s10, 15
	s_mov_b64 s[0:1], -1
	s_cbranch_scc0 .LBB135_590
; %bb.589:
	s_lshl_b32 s0, s12, 24
	s_and_b32 s1, s0, 0x80000000
	s_and_b32 s0, s0, 0x7f000000
	s_flbit_i32_b32 s4, s0
	s_min_u32 s4, s4, 32
	v_sub_u32_e64 v1, s4, 4 clamp
	v_readfirstlane_b32 s5, v1
	s_lshl_b32 s6, s0, s5
	s_add_i32 s4, s0, 0x1000000
	s_lshr_b32 s6, s6, 4
	s_lshl_b32 s5, s5, 23
	s_ashr_i32 s4, s4, 8
	s_sub_i32 s5, s6, s5
	s_and_b32 s4, s4, 0x7f800000
	s_add_i32 s5, s5, 0x3c000000
	s_or_b32 s4, s5, s4
	s_cmp_lg_u32 s0, 0
	s_cselect_b32 s0, s4, 0
	s_or_b32 s1, s0, s1
	s_bfe_u32 s0, s0, 0x10010
	s_add_i32 s0, s1, s0
	s_addk_i32 s0, 0x7fff
	s_lshr_b32 s4, s0, 16
	v_cmp_o_f32_e64 s[0:1], s1, s1
	s_and_b64 s[0:1], s[0:1], exec
	s_cselect_b32 s0, s4, 0x7fc0
	v_mov_b32_e32 v1, s0
	global_store_short v[5:6], v1, off
	s_mov_b64 s[0:1], 0
	s_mov_b64 s[6:7], -1
.LBB135_590:
	s_mov_b64 s[8:9], 0
.LBB135_591:
	s_mov_b64 s[4:5], 0
	s_and_b64 vcc, exec, s[8:9]
	s_cbranch_vccz .LBB135_593
; %bb.592:
	s_cmp_lg_u32 s10, 11
	s_mov_b64 s[4:5], -1
	s_cselect_b64 s[0:1], -1, 0
.LBB135_593:
	s_and_b64 vcc, exec, s[0:1]
	s_mov_b64 s[0:1], s[20:21]
	s_cbranch_vccnz .LBB135_665
; %bb.594:
	s_andn2_b64 vcc, exec, s[4:5]
	s_cbranch_vccnz .LBB135_596
.LBB135_595:
	s_and_b32 s4, s12, 0x7f
	s_cmp_lg_u32 s4, 0
	s_cselect_b64 s[4:5], -1, 0
	v_cndmask_b32_e64 v1, 0, 1, s[4:5]
	global_store_byte v[5:6], v1, off
	s_mov_b64 s[6:7], -1
.LBB135_596:
	s_branch .LBB135_548
.LBB135_597:
	s_and_b32 s6, 0xffff, s13
	s_cmp_lt_i32 s6, 5
	s_mov_b64 s[4:5], -1
	s_cbranch_scc1 .LBB135_618
; %bb.598:
	s_cmp_lt_i32 s6, 8
	s_cbranch_scc1 .LBB135_608
; %bb.599:
	s_cmp_lt_i32 s6, 9
	s_cbranch_scc1 .LBB135_605
; %bb.600:
	s_cmp_gt_i32 s6, 9
	s_cbranch_scc0 .LBB135_602
; %bb.601:
	s_lshl_b32 s4, s12, 24
	s_and_b32 s5, s4, 0x80000000
	s_and_b32 s4, s4, 0x7f000000
	s_flbit_i32_b32 s7, s4
	s_min_u32 s7, s7, 32
	v_sub_u32_e64 v1, s7, 4 clamp
	v_readfirstlane_b32 s8, v1
	s_lshl_b32 s9, s4, s8
	s_add_i32 s7, s4, 0x1000000
	s_lshr_b32 s9, s9, 4
	s_lshl_b32 s8, s8, 23
	s_ashr_i32 s7, s7, 8
	s_sub_i32 s8, s9, s8
	s_and_b32 s7, s7, 0x7f800000
	s_add_i32 s8, s8, 0x3c000000
	s_or_b32 s7, s8, s7
	s_cmp_lg_u32 s4, 0
	s_cselect_b32 s4, s7, 0
	s_or_b32 s4, s4, s5
	v_cvt_f64_f32_e32 v[7:8], s4
	v_mov_b32_e32 v9, 0
	v_mov_b32_e32 v10, v9
	s_mov_b64 s[4:5], 0
	global_store_dwordx4 v[5:6], v[7:10], off
.LBB135_602:
	s_andn2_b64 vcc, exec, s[4:5]
	s_cbranch_vccnz .LBB135_604
; %bb.603:
	s_lshl_b32 s4, s12, 24
	s_and_b32 s5, s4, 0x80000000
	s_and_b32 s4, s4, 0x7f000000
	s_flbit_i32_b32 s7, s4
	s_min_u32 s7, s7, 32
	v_sub_u32_e64 v1, s7, 4 clamp
	v_readfirstlane_b32 s8, v1
	s_lshl_b32 s9, s4, s8
	s_add_i32 s7, s4, 0x1000000
	s_lshr_b32 s9, s9, 4
	s_lshl_b32 s8, s8, 23
	s_ashr_i32 s7, s7, 8
	s_sub_i32 s8, s9, s8
	s_and_b32 s7, s7, 0x7f800000
	s_add_i32 s8, s8, 0x3c000000
	s_or_b32 s7, s8, s7
	s_cmp_lg_u32 s4, 0
	s_cselect_b32 s4, s7, 0
	s_or_b32 s4, s4, s5
	v_mov_b32_e32 v7, s4
	v_mov_b32_e32 v8, 0
	global_store_dwordx2 v[5:6], v[7:8], off
.LBB135_604:
	s_mov_b64 s[4:5], 0
.LBB135_605:
	s_andn2_b64 vcc, exec, s[4:5]
	s_cbranch_vccnz .LBB135_607
; %bb.606:
	s_lshl_b32 s4, s12, 24
	s_and_b32 s5, s4, 0x80000000
	s_and_b32 s4, s4, 0x7f000000
	s_flbit_i32_b32 s7, s4
	s_min_u32 s7, s7, 32
	v_sub_u32_e64 v1, s7, 4 clamp
	v_readfirstlane_b32 s8, v1
	s_lshl_b32 s9, s4, s8
	s_add_i32 s7, s4, 0x1000000
	s_lshr_b32 s9, s9, 4
	s_lshl_b32 s8, s8, 23
	s_ashr_i32 s7, s7, 8
	s_sub_i32 s8, s9, s8
	s_and_b32 s7, s7, 0x7f800000
	s_add_i32 s8, s8, 0x3c000000
	s_or_b32 s7, s8, s7
	s_cmp_lg_u32 s4, 0
	s_cselect_b32 s4, s7, 0
	s_or_b32 s4, s4, s5
	v_cvt_f16_f32_e32 v1, s4
	global_store_dword v[5:6], v1, off
.LBB135_607:
	s_mov_b64 s[4:5], 0
.LBB135_608:
	s_andn2_b64 vcc, exec, s[4:5]
	s_cbranch_vccnz .LBB135_617
; %bb.609:
	s_cmp_lt_i32 s6, 6
	s_mov_b64 s[4:5], -1
	s_cbranch_scc1 .LBB135_615
; %bb.610:
	s_cmp_gt_i32 s6, 6
	s_cbranch_scc0 .LBB135_612
; %bb.611:
	s_lshl_b32 s4, s12, 24
	s_and_b32 s5, s4, 0x80000000
	s_and_b32 s4, s4, 0x7f000000
	s_flbit_i32_b32 s7, s4
	s_min_u32 s7, s7, 32
	v_sub_u32_e64 v1, s7, 4 clamp
	v_readfirstlane_b32 s8, v1
	s_lshl_b32 s9, s4, s8
	s_add_i32 s7, s4, 0x1000000
	s_lshr_b32 s9, s9, 4
	s_lshl_b32 s8, s8, 23
	s_ashr_i32 s7, s7, 8
	s_sub_i32 s8, s9, s8
	s_and_b32 s7, s7, 0x7f800000
	s_add_i32 s8, s8, 0x3c000000
	s_or_b32 s7, s8, s7
	s_cmp_lg_u32 s4, 0
	s_cselect_b32 s4, s7, 0
	s_or_b32 s4, s4, s5
	v_cvt_f64_f32_e32 v[7:8], s4
	s_mov_b64 s[4:5], 0
	global_store_dwordx2 v[5:6], v[7:8], off
.LBB135_612:
	s_andn2_b64 vcc, exec, s[4:5]
	s_cbranch_vccnz .LBB135_614
; %bb.613:
	s_lshl_b32 s4, s12, 24
	s_and_b32 s5, s4, 0x80000000
	s_and_b32 s4, s4, 0x7f000000
	s_flbit_i32_b32 s7, s4
	s_min_u32 s7, s7, 32
	v_sub_u32_e64 v1, s7, 4 clamp
	v_readfirstlane_b32 s8, v1
	s_lshl_b32 s9, s4, s8
	s_add_i32 s7, s4, 0x1000000
	s_lshr_b32 s9, s9, 4
	s_lshl_b32 s8, s8, 23
	s_ashr_i32 s7, s7, 8
	s_sub_i32 s8, s9, s8
	s_and_b32 s7, s7, 0x7f800000
	s_add_i32 s8, s8, 0x3c000000
	s_or_b32 s7, s8, s7
	s_cmp_lg_u32 s4, 0
	s_cselect_b32 s4, s7, 0
	s_or_b32 s4, s4, s5
	v_mov_b32_e32 v1, s4
	global_store_dword v[5:6], v1, off
.LBB135_614:
	s_mov_b64 s[4:5], 0
.LBB135_615:
	s_andn2_b64 vcc, exec, s[4:5]
	s_cbranch_vccnz .LBB135_617
; %bb.616:
	s_lshl_b32 s4, s12, 24
	s_and_b32 s5, s4, 0x80000000
	s_and_b32 s4, s4, 0x7f000000
	s_flbit_i32_b32 s7, s4
	s_min_u32 s7, s7, 32
	v_sub_u32_e64 v1, s7, 4 clamp
	v_readfirstlane_b32 s8, v1
	s_lshl_b32 s9, s4, s8
	s_add_i32 s7, s4, 0x1000000
	s_lshr_b32 s9, s9, 4
	s_lshl_b32 s8, s8, 23
	s_ashr_i32 s7, s7, 8
	s_sub_i32 s8, s9, s8
	s_and_b32 s7, s7, 0x7f800000
	s_add_i32 s8, s8, 0x3c000000
	s_or_b32 s7, s8, s7
	s_cmp_lg_u32 s4, 0
	s_cselect_b32 s4, s7, 0
	s_or_b32 s4, s4, s5
	v_cvt_f16_f32_e32 v1, s4
	global_store_short v[5:6], v1, off
.LBB135_617:
	s_mov_b64 s[4:5], 0
.LBB135_618:
	s_andn2_b64 vcc, exec, s[4:5]
	s_cbranch_vccnz .LBB135_634
; %bb.619:
	s_cmp_lt_i32 s6, 2
	s_mov_b64 s[4:5], -1
	s_cbranch_scc1 .LBB135_629
; %bb.620:
	s_cmp_lt_i32 s6, 3
	s_cbranch_scc1 .LBB135_626
; %bb.621:
	s_cmp_gt_i32 s6, 3
	s_cbranch_scc0 .LBB135_623
; %bb.622:
	s_lshl_b32 s4, s12, 24
	s_and_b32 s5, s4, 0x80000000
	s_and_b32 s4, s4, 0x7f000000
	s_flbit_i32_b32 s7, s4
	s_min_u32 s7, s7, 32
	v_sub_u32_e64 v1, s7, 4 clamp
	v_readfirstlane_b32 s8, v1
	s_lshl_b32 s9, s4, s8
	s_add_i32 s7, s4, 0x1000000
	s_lshr_b32 s9, s9, 4
	s_lshl_b32 s8, s8, 23
	s_ashr_i32 s7, s7, 8
	s_sub_i32 s8, s9, s8
	s_and_b32 s7, s7, 0x7f800000
	s_add_i32 s8, s8, 0x3c000000
	s_or_b32 s7, s8, s7
	s_cmp_lg_u32 s4, 0
	s_cselect_b32 s4, s7, 0
	s_or_b32 s4, s4, s5
	v_trunc_f32_e32 v1, s4
	s_mov_b32 s4, 0x2f800000
	v_mul_f32_e64 v3, |v1|, s4
	v_floor_f32_e32 v3, v3
	s_mov_b32 s4, 0xcf800000
	v_fma_f32 v7, v3, s4, |v1|
	v_cvt_u32_f32_e32 v7, v7
	v_cvt_u32_f32_e32 v3, v3
	v_ashrrev_i32_e32 v1, 31, v1
	s_mov_b64 s[4:5], 0
	v_xor_b32_e32 v7, v7, v1
	v_xor_b32_e32 v3, v3, v1
	v_sub_co_u32_e32 v7, vcc, v7, v1
	v_subb_co_u32_e32 v8, vcc, v3, v1, vcc
	global_store_dwordx2 v[5:6], v[7:8], off
.LBB135_623:
	s_andn2_b64 vcc, exec, s[4:5]
	s_cbranch_vccnz .LBB135_625
; %bb.624:
	s_lshl_b32 s4, s12, 24
	s_and_b32 s5, s4, 0x80000000
	s_and_b32 s4, s4, 0x7f000000
	s_flbit_i32_b32 s7, s4
	s_min_u32 s7, s7, 32
	v_sub_u32_e64 v1, s7, 4 clamp
	v_readfirstlane_b32 s8, v1
	s_lshl_b32 s9, s4, s8
	s_add_i32 s7, s4, 0x1000000
	s_lshr_b32 s9, s9, 4
	s_lshl_b32 s8, s8, 23
	s_ashr_i32 s7, s7, 8
	s_sub_i32 s8, s9, s8
	s_and_b32 s7, s7, 0x7f800000
	s_add_i32 s8, s8, 0x3c000000
	s_or_b32 s7, s8, s7
	s_cmp_lg_u32 s4, 0
	s_cselect_b32 s4, s7, 0
	s_or_b32 s4, s4, s5
	v_cvt_i32_f32_e32 v1, s4
	global_store_dword v[5:6], v1, off
.LBB135_625:
	s_mov_b64 s[4:5], 0
.LBB135_626:
	s_andn2_b64 vcc, exec, s[4:5]
	s_cbranch_vccnz .LBB135_628
; %bb.627:
	s_lshl_b32 s4, s12, 24
	s_and_b32 s5, s4, 0x80000000
	s_and_b32 s4, s4, 0x7f000000
	s_flbit_i32_b32 s7, s4
	s_min_u32 s7, s7, 32
	v_sub_u32_e64 v1, s7, 4 clamp
	v_readfirstlane_b32 s8, v1
	s_lshl_b32 s9, s4, s8
	s_add_i32 s7, s4, 0x1000000
	s_lshr_b32 s9, s9, 4
	s_lshl_b32 s8, s8, 23
	s_ashr_i32 s7, s7, 8
	s_sub_i32 s8, s9, s8
	s_and_b32 s7, s7, 0x7f800000
	s_add_i32 s8, s8, 0x3c000000
	s_or_b32 s7, s8, s7
	s_cmp_lg_u32 s4, 0
	s_cselect_b32 s4, s7, 0
	s_or_b32 s4, s4, s5
	v_cvt_i32_f32_e32 v1, s4
	global_store_short v[5:6], v1, off
.LBB135_628:
	s_mov_b64 s[4:5], 0
.LBB135_629:
	s_andn2_b64 vcc, exec, s[4:5]
	s_cbranch_vccnz .LBB135_634
; %bb.630:
	s_cmp_gt_i32 s6, 0
	s_mov_b64 s[4:5], -1
	s_cbranch_scc0 .LBB135_632
; %bb.631:
	s_lshl_b32 s4, s12, 24
	s_and_b32 s5, s4, 0x80000000
	s_and_b32 s4, s4, 0x7f000000
	s_flbit_i32_b32 s6, s4
	s_min_u32 s6, s6, 32
	v_sub_u32_e64 v1, s6, 4 clamp
	v_readfirstlane_b32 s7, v1
	s_lshl_b32 s8, s4, s7
	s_add_i32 s6, s4, 0x1000000
	s_lshr_b32 s8, s8, 4
	s_lshl_b32 s7, s7, 23
	s_ashr_i32 s6, s6, 8
	s_sub_i32 s7, s8, s7
	s_and_b32 s6, s6, 0x7f800000
	s_add_i32 s7, s7, 0x3c000000
	s_or_b32 s6, s7, s6
	s_cmp_lg_u32 s4, 0
	s_cselect_b32 s4, s6, 0
	s_or_b32 s4, s4, s5
	v_cvt_i32_f32_e32 v1, s4
	s_mov_b64 s[4:5], 0
	global_store_byte v[5:6], v1, off
.LBB135_632:
	s_andn2_b64 vcc, exec, s[4:5]
	s_cbranch_vccnz .LBB135_634
; %bb.633:
	s_lshl_b32 s4, s12, 24
	s_and_b32 s5, s4, 0x80000000
	s_and_b32 s4, s4, 0x7f000000
	s_flbit_i32_b32 s6, s4
	s_min_u32 s6, s6, 32
	v_sub_u32_e64 v1, s6, 4 clamp
	v_readfirstlane_b32 s7, v1
	s_lshl_b32 s8, s4, s7
	s_add_i32 s6, s4, 0x1000000
	s_lshr_b32 s8, s8, 4
	s_lshl_b32 s7, s7, 23
	s_ashr_i32 s6, s6, 8
	s_sub_i32 s7, s8, s7
	s_and_b32 s6, s6, 0x7f800000
	s_add_i32 s7, s7, 0x3c000000
	s_or_b32 s6, s7, s6
	s_cmp_lg_u32 s4, 0
	s_cselect_b32 s4, s6, 0
	s_or_b32 s4, s4, s5
	v_trunc_f32_e32 v1, s4
	s_mov_b32 s4, 0x2f800000
	v_mul_f32_e64 v3, |v1|, s4
	v_floor_f32_e32 v3, v3
	s_mov_b32 s4, 0xcf800000
	v_fma_f32 v3, v3, s4, |v1|
	v_cvt_u32_f32_e32 v3, v3
	v_ashrrev_i32_e32 v1, 31, v1
	v_xor_b32_e32 v3, v3, v1
	v_sub_u32_e32 v1, v3, v1
	global_store_byte v[5:6], v1, off
.LBB135_634:
.LBB135_635:
	v_mov_b32_e32 v1, s3
	s_and_b32 s14, 0xffff, s13
	v_add_co_u32_e32 v3, vcc, s2, v4
	s_cmp_lt_i32 s14, 11
	v_addc_co_u32_e32 v4, vcc, 0, v1, vcc
	s_cbranch_scc1 .LBB135_663
; %bb.636:
	s_mov_b64 s[10:11], -1
	s_mov_b64 s[6:7], 0
	s_cmp_gt_i32 s14, 25
	s_mov_b64 s[8:9], 0
	s_mov_b64 s[4:5], 0
	s_cbranch_scc0 .LBB135_674
; %bb.637:
	s_cmp_gt_i32 s14, 28
	s_cbranch_scc0 .LBB135_652
; %bb.638:
	s_cmp_gt_i32 s14, 43
	;; [unrolled: 3-line block ×3, first 2 shown]
	s_cbranch_scc0 .LBB135_642
; %bb.640:
	s_mov_b64 s[4:5], -1
	s_mov_b64 s[10:11], 0
	s_cmp_eq_u32 s14, 46
	s_cbranch_scc0 .LBB135_642
; %bb.641:
	s_lshl_b32 s4, s12, 24
	s_and_b32 s5, s4, 0x80000000
	s_and_b32 s4, s4, 0x7f000000
	s_flbit_i32_b32 s8, s4
	s_min_u32 s8, s8, 32
	v_sub_u32_e64 v1, s8, 4 clamp
	v_readfirstlane_b32 s9, v1
	s_lshl_b32 s15, s4, s9
	s_add_i32 s8, s4, 0x1000000
	s_lshr_b32 s15, s15, 4
	s_lshl_b32 s9, s9, 23
	s_ashr_i32 s8, s8, 8
	s_sub_i32 s9, s15, s9
	s_and_b32 s8, s8, 0x7f800000
	s_add_i32 s9, s9, 0x3c000000
	s_or_b32 s8, s9, s8
	s_cmp_lg_u32 s4, 0
	s_cselect_b32 s4, s8, 0
	s_or_b32 s5, s4, s5
	s_bfe_u32 s4, s4, 0x10010
	s_add_i32 s4, s5, s4
	s_addk_i32 s4, 0x7fff
	s_lshr_b32 s8, s4, 16
	v_cmp_o_f32_e64 s[4:5], s5, s5
	s_and_b64 s[4:5], s[4:5], exec
	s_cselect_b32 s4, s8, 0x7fc0
	v_mov_b32_e32 v1, s4
	global_store_dword v[3:4], v1, off
	s_mov_b64 s[4:5], 0
	s_mov_b64 s[8:9], -1
.LBB135_642:
	s_and_b64 vcc, exec, s[10:11]
	s_cbranch_vccz .LBB135_647
; %bb.643:
	s_cmp_eq_u32 s14, 44
	s_mov_b64 s[4:5], -1
	s_cbranch_scc0 .LBB135_647
; %bb.644:
	s_lshl_b32 s4, s12, 24
	s_and_b32 s4, s4, 0x7f000000
	s_flbit_i32_b32 s5, s4
	s_min_u32 s5, s5, 32
	v_sub_u32_e64 v1, s5, 4 clamp
	v_readfirstlane_b32 s8, v1
	s_lshl_b32 s9, s4, s8
	s_add_i32 s5, s4, 0x1000000
	s_lshr_b32 s9, s9, 4
	s_lshl_b32 s8, s8, 23
	s_ashr_i32 s5, s5, 8
	s_sub_i32 s8, s9, s8
	s_and_b32 s5, s5, 0x7f800000
	s_add_i32 s8, s8, 0x3c000000
	s_or_b32 s5, s8, s5
	s_cmp_lg_u32 s4, 0
	s_cselect_b32 s5, s5, 0
	s_lshr_b32 s4, s5, 23
	s_cmpk_eq_i32 s4, 0xff
	v_mov_b32_e32 v1, 0xff
	s_cbranch_scc1 .LBB135_646
; %bb.645:
	s_bitcmp1_b32 s5, 22
	s_cselect_b64 s[8:9], -1, 0
	s_and_b32 s5, s5, 0x3fffff
	s_or_b32 s5, s4, s5
	s_cmp_lg_u32 s5, 0
	s_cselect_b64 s[10:11], -1, 0
	s_and_b64 s[8:9], s[8:9], s[10:11]
	v_cndmask_b32_e64 v1, 0, 1, s[8:9]
	v_add_u32_e32 v1, s4, v1
.LBB135_646:
	s_mov_b64 s[4:5], 0
	s_mov_b64 s[8:9], -1
	global_store_byte v[3:4], v1, off
.LBB135_647:
	s_mov_b64 s[10:11], 0
.LBB135_648:
	s_and_b64 vcc, exec, s[10:11]
	s_cbranch_vccz .LBB135_651
; %bb.649:
	s_cmp_eq_u32 s14, 29
	s_mov_b64 s[4:5], -1
	s_cbranch_scc0 .LBB135_651
; %bb.650:
	s_lshl_b32 s4, s12, 24
	s_and_b32 s5, s4, 0x80000000
	s_and_b32 s4, s4, 0x7f000000
	s_flbit_i32_b32 s8, s4
	s_min_u32 s8, s8, 32
	v_sub_u32_e64 v1, s8, 4 clamp
	v_readfirstlane_b32 s9, v1
	s_lshl_b32 s10, s4, s9
	s_add_i32 s8, s4, 0x1000000
	s_lshr_b32 s10, s10, 4
	s_lshl_b32 s9, s9, 23
	s_ashr_i32 s8, s8, 8
	s_sub_i32 s9, s10, s9
	s_and_b32 s8, s8, 0x7f800000
	s_add_i32 s9, s9, 0x3c000000
	s_or_b32 s8, s9, s8
	s_cmp_lg_u32 s4, 0
	s_cselect_b32 s4, s8, 0
	s_or_b32 s4, s4, s5
	v_trunc_f32_e32 v1, s4
	v_mul_f32_e32 v5, 0x2f800000, v1
	v_floor_f32_e32 v6, v5
	v_fmac_f32_e32 v1, 0xcf800000, v6
	v_cvt_u32_f32_e32 v5, v1
	v_cvt_u32_f32_e32 v6, v6
	s_mov_b64 s[4:5], 0
	s_mov_b64 s[8:9], -1
	global_store_dwordx2 v[3:4], v[5:6], off
.LBB135_651:
	s_mov_b64 s[10:11], 0
.LBB135_652:
	s_and_b64 vcc, exec, s[10:11]
	s_cbranch_vccz .LBB135_673
; %bb.653:
	s_cmp_lt_i32 s14, 27
	s_mov_b64 s[8:9], -1
	s_cbranch_scc1 .LBB135_659
; %bb.654:
	s_cmp_gt_i32 s14, 27
	s_cbranch_scc0 .LBB135_656
; %bb.655:
	s_lshl_b32 s8, s12, 24
	s_and_b32 s9, s8, 0x80000000
	s_and_b32 s8, s8, 0x7f000000
	s_flbit_i32_b32 s10, s8
	s_min_u32 s10, s10, 32
	v_sub_u32_e64 v1, s10, 4 clamp
	v_readfirstlane_b32 s11, v1
	s_lshl_b32 s15, s8, s11
	s_add_i32 s10, s8, 0x1000000
	s_lshr_b32 s15, s15, 4
	s_lshl_b32 s11, s11, 23
	s_ashr_i32 s10, s10, 8
	s_sub_i32 s11, s15, s11
	s_and_b32 s10, s10, 0x7f800000
	s_add_i32 s11, s11, 0x3c000000
	s_or_b32 s10, s11, s10
	s_cmp_lg_u32 s8, 0
	s_cselect_b32 s8, s10, 0
	s_or_b32 s8, s8, s9
	v_cvt_u32_f32_e32 v1, s8
	s_mov_b64 s[8:9], 0
	global_store_dword v[3:4], v1, off
.LBB135_656:
	s_andn2_b64 vcc, exec, s[8:9]
	s_cbranch_vccnz .LBB135_658
; %bb.657:
	s_lshl_b32 s8, s12, 24
	s_and_b32 s9, s8, 0x80000000
	s_and_b32 s8, s8, 0x7f000000
	s_flbit_i32_b32 s10, s8
	s_min_u32 s10, s10, 32
	v_sub_u32_e64 v1, s10, 4 clamp
	v_readfirstlane_b32 s11, v1
	s_lshl_b32 s15, s8, s11
	s_add_i32 s10, s8, 0x1000000
	s_lshr_b32 s15, s15, 4
	s_lshl_b32 s11, s11, 23
	s_ashr_i32 s10, s10, 8
	s_sub_i32 s11, s15, s11
	s_and_b32 s10, s10, 0x7f800000
	s_add_i32 s11, s11, 0x3c000000
	s_or_b32 s10, s11, s10
	s_cmp_lg_u32 s8, 0
	s_cselect_b32 s8, s10, 0
	s_or_b32 s8, s8, s9
	v_cvt_u32_f32_e32 v1, s8
	global_store_short v[3:4], v1, off
.LBB135_658:
	s_mov_b64 s[8:9], 0
.LBB135_659:
	s_andn2_b64 vcc, exec, s[8:9]
	s_cbranch_vccnz .LBB135_672
; %bb.660:
	s_lshl_b32 s8, s12, 24
	s_and_b32 s9, s8, 0x80000000
	s_and_b32 s8, s8, 0x7f000000
	s_flbit_i32_b32 s10, s8
	s_min_u32 s10, s10, 32
	v_sub_u32_e64 v1, s10, 4 clamp
	v_readfirstlane_b32 s11, v1
	s_lshl_b32 s15, s8, s11
	s_add_i32 s10, s8, 0x1000000
	s_lshr_b32 s15, s15, 4
	s_lshl_b32 s11, s11, 23
	s_ashr_i32 s10, s10, 8
	s_sub_i32 s11, s15, s11
	s_and_b32 s10, s10, 0x7f800000
	s_add_i32 s11, s11, 0x3c000000
	s_or_b32 s10, s11, s10
	s_cmp_lg_u32 s8, 0
	s_cselect_b32 s8, s10, 0
	s_or_b32 s15, s8, s9
	s_and_b32 s9, s15, 0x7fffffff
	s_cmp_gt_u32 s9, 0x437fffff
	v_mov_b32_e32 v5, 0x80
	s_cbranch_scc1 .LBB135_671
; %bb.661:
	s_cmp_gt_u32 s9, 0x3bffffff
	s_cbranch_scc0 .LBB135_666
; %bb.662:
	s_bfe_u32 s8, s8, 0x10014
	s_add_i32 s8, s15, s8
	s_add_i32 s8, s8, 0x487ffff
	s_lshr_b32 s16, s8, 20
	s_mov_b64 s[10:11], 0
	s_mov_b64 s[8:9], -1
	s_branch .LBB135_667
.LBB135_663:
	s_mov_b64 s[8:9], 0
	s_cbranch_execnz .LBB135_714
.LBB135_664:
	s_andn2_b64 vcc, exec, s[8:9]
	s_cbranch_vccz .LBB135_752
	s_branch .LBB135_913
.LBB135_665:
	s_or_b64 s[0:1], s[20:21], exec
	s_trap 2
	s_cbranch_execz .LBB135_595
	s_branch .LBB135_596
.LBB135_666:
	s_mov_b64 s[10:11], -1
	s_mov_b64 s[8:9], 0
                                        ; implicit-def: $sgpr16
.LBB135_667:
	s_andn2_b64 vcc, exec, s[10:11]
	v_mov_b32_e32 v1, s16
	s_cbranch_vccnz .LBB135_669
; %bb.668:
	v_mov_b32_e32 v1, 0x46000000
	v_add_f32_e64 v1, |s15|, v1
	v_and_b32_e32 v1, 0xff, v1
	v_cmp_ne_u32_e64 s[8:9], 0, v1
.LBB135_669:
	s_andn2_b64 vcc, exec, s[8:9]
	v_mov_b32_e32 v5, 0
	s_cbranch_vccnz .LBB135_671
; %bb.670:
	s_lshr_b32 s8, s15, 24
	s_and_b32 s8, s8, 0x80
	v_or_b32_e32 v5, s8, v1
.LBB135_671:
	global_store_byte v[3:4], v5, off
.LBB135_672:
	s_mov_b64 s[8:9], -1
.LBB135_673:
	s_mov_b64 s[10:11], 0
.LBB135_674:
	s_and_b64 vcc, exec, s[10:11]
	s_cbranch_vccz .LBB135_710
; %bb.675:
	s_cmp_gt_i32 s14, 22
	s_mov_b64 s[6:7], -1
	s_cbranch_scc0 .LBB135_703
; %bb.676:
	s_cmp_lt_i32 s14, 24
	s_cbranch_scc1 .LBB135_690
; %bb.677:
	s_cmp_gt_i32 s14, 24
	s_cbranch_scc0 .LBB135_687
; %bb.678:
	s_lshl_b32 s6, s12, 24
	s_and_b32 s7, s6, 0x80000000
	s_and_b32 s6, s6, 0x7f000000
	s_flbit_i32_b32 s8, s6
	s_min_u32 s8, s8, 32
	v_sub_u32_e64 v1, s8, 4 clamp
	v_readfirstlane_b32 s9, v1
	s_lshl_b32 s10, s6, s9
	s_add_i32 s8, s6, 0x1000000
	s_lshr_b32 s10, s10, 4
	s_lshl_b32 s9, s9, 23
	s_ashr_i32 s8, s8, 8
	s_sub_i32 s9, s10, s9
	s_and_b32 s8, s8, 0x7f800000
	s_add_i32 s9, s9, 0x3c000000
	s_or_b32 s8, s9, s8
	s_cmp_lg_u32 s6, 0
	s_cselect_b32 s6, s8, 0
	s_or_b32 s10, s6, s7
	s_and_b32 s7, s10, 0x7fffffff
	s_cmp_gt_u32 s7, 0x477fffff
	v_mov_b32_e32 v5, 0x80
	s_cbranch_scc1 .LBB135_686
; %bb.679:
	s_cmp_gt_u32 s7, 0x37ffffff
	s_cbranch_scc0 .LBB135_681
; %bb.680:
	s_bfe_u32 s6, s6, 0x10015
	s_add_i32 s6, s10, s6
	s_add_i32 s6, s6, 0x88fffff
	s_lshr_b32 s11, s6, 21
	s_mov_b64 s[8:9], 0
	s_mov_b64 s[6:7], -1
	s_branch .LBB135_682
.LBB135_681:
	s_mov_b64 s[8:9], -1
	s_mov_b64 s[6:7], 0
                                        ; implicit-def: $sgpr11
.LBB135_682:
	s_andn2_b64 vcc, exec, s[8:9]
	v_mov_b32_e32 v1, s11
	s_cbranch_vccnz .LBB135_684
; %bb.683:
	v_mov_b32_e32 v1, 0x42800000
	v_add_f32_e64 v1, |s10|, v1
	v_and_b32_e32 v1, 0xff, v1
	v_cmp_ne_u32_e64 s[6:7], 0, v1
.LBB135_684:
	s_andn2_b64 vcc, exec, s[6:7]
	v_mov_b32_e32 v5, 0
	s_cbranch_vccnz .LBB135_686
; %bb.685:
	s_lshr_b32 s6, s10, 24
	s_and_b32 s6, s6, 0x80
	v_or_b32_e32 v5, s6, v1
.LBB135_686:
	s_mov_b64 s[6:7], 0
	global_store_byte v[3:4], v5, off
.LBB135_687:
	s_and_b64 vcc, exec, s[6:7]
	s_cbranch_vccz .LBB135_689
; %bb.688:
	v_mov_b32_e32 v1, s12
	global_store_byte v[3:4], v1, off
.LBB135_689:
	s_mov_b64 s[6:7], 0
.LBB135_690:
	s_andn2_b64 vcc, exec, s[6:7]
	s_cbranch_vccnz .LBB135_702
; %bb.691:
	s_lshl_b32 s6, s12, 24
	s_and_b32 s7, s6, 0x80000000
	s_and_b32 s6, s6, 0x7f000000
	s_flbit_i32_b32 s8, s6
	s_min_u32 s8, s8, 32
	v_sub_u32_e64 v1, s8, 4 clamp
	v_readfirstlane_b32 s9, v1
	s_lshl_b32 s10, s6, s9
	s_add_i32 s8, s6, 0x1000000
	s_lshr_b32 s10, s10, 4
	s_lshl_b32 s9, s9, 23
	s_ashr_i32 s8, s8, 8
	s_sub_i32 s9, s10, s9
	s_and_b32 s8, s8, 0x7f800000
	s_add_i32 s9, s9, 0x3c000000
	s_or_b32 s8, s9, s8
	s_cmp_lg_u32 s6, 0
	s_cselect_b32 s6, s8, 0
	s_or_b32 s8, s6, s7
	s_and_b32 s9, s8, 0x7fffffff
	s_cmp_lt_u32 s9, 0x47800000
	s_cbranch_scc0 .LBB135_694
; %bb.692:
	s_cmp_gt_u32 s9, 0x387fffff
	s_cbranch_scc0 .LBB135_695
; %bb.693:
	s_bfe_u32 s6, s6, 0x10015
	s_add_i32 s6, s8, s6
	s_add_i32 s6, s6, 0x80fffff
	s_lshr_b32 s10, s6, 21
	s_mov_b64 s[6:7], 0
	s_branch .LBB135_696
.LBB135_694:
	s_mov_b64 s[6:7], -1
                                        ; implicit-def: $vgpr1
	s_branch .LBB135_699
.LBB135_695:
	s_mov_b64 s[6:7], -1
                                        ; implicit-def: $sgpr10
.LBB135_696:
	s_andn2_b64 vcc, exec, s[6:7]
	v_mov_b32_e32 v1, s10
	s_cbranch_vccnz .LBB135_698
; %bb.697:
	v_mov_b32_e32 v1, 0x43000000
	v_add_f32_e64 v1, |s8|, v1
.LBB135_698:
	s_mov_b64 s[6:7], 0
.LBB135_699:
	s_andn2_b64 vcc, exec, s[6:7]
	s_cbranch_vccnz .LBB135_701
; %bb.700:
	s_cmp_gt_u32 s9, 0x7f800000
	s_movk_i32 s6, 0x7f
	s_cselect_b32 s6, s6, 0x7c
	v_mov_b32_e32 v1, s6
.LBB135_701:
	s_lshr_b32 s6, s8, 24
	s_and_b32 s6, s6, 0x80
	v_or_b32_e32 v1, s6, v1
	global_store_byte v[3:4], v1, off
.LBB135_702:
	s_mov_b64 s[6:7], 0
	s_mov_b64 s[8:9], -1
.LBB135_703:
	s_andn2_b64 vcc, exec, s[6:7]
	s_mov_b64 s[6:7], 0
	s_cbranch_vccnz .LBB135_710
; %bb.704:
	s_cmp_gt_i32 s14, 14
	s_mov_b64 s[10:11], -1
	s_cbranch_scc0 .LBB135_708
; %bb.705:
	s_cmp_eq_u32 s14, 15
	s_mov_b64 s[4:5], -1
	s_cbranch_scc0 .LBB135_707
; %bb.706:
	s_lshl_b32 s4, s12, 24
	s_and_b32 s5, s4, 0x80000000
	s_and_b32 s4, s4, 0x7f000000
	s_flbit_i32_b32 s6, s4
	s_min_u32 s6, s6, 32
	v_sub_u32_e64 v1, s6, 4 clamp
	v_readfirstlane_b32 s7, v1
	s_lshl_b32 s8, s4, s7
	s_add_i32 s6, s4, 0x1000000
	s_lshr_b32 s8, s8, 4
	s_lshl_b32 s7, s7, 23
	s_ashr_i32 s6, s6, 8
	s_sub_i32 s7, s8, s7
	s_and_b32 s6, s6, 0x7f800000
	s_add_i32 s7, s7, 0x3c000000
	s_or_b32 s6, s7, s6
	s_cmp_lg_u32 s4, 0
	s_cselect_b32 s4, s6, 0
	s_or_b32 s5, s4, s5
	s_bfe_u32 s4, s4, 0x10010
	s_add_i32 s4, s5, s4
	s_addk_i32 s4, 0x7fff
	s_lshr_b32 s6, s4, 16
	v_cmp_o_f32_e64 s[4:5], s5, s5
	s_and_b64 s[4:5], s[4:5], exec
	s_cselect_b32 s4, s6, 0x7fc0
	v_mov_b32_e32 v1, s4
	global_store_short v[3:4], v1, off
	s_mov_b64 s[4:5], 0
	s_mov_b64 s[8:9], -1
.LBB135_707:
	s_mov_b64 s[10:11], 0
.LBB135_708:
	s_mov_b64 s[6:7], 0
	s_and_b64 vcc, exec, s[10:11]
	s_cbranch_vccz .LBB135_710
; %bb.709:
	s_cmp_lg_u32 s14, 11
	s_mov_b64 s[6:7], -1
	s_cselect_b64 s[4:5], -1, 0
.LBB135_710:
	s_and_b64 vcc, exec, s[4:5]
	s_cbranch_vccnz .LBB135_812
; %bb.711:
	s_andn2_b64 vcc, exec, s[6:7]
	s_cbranch_vccnz .LBB135_713
.LBB135_712:
	s_and_b32 s4, s12, 0x7f
	s_cmp_lg_u32 s4, 0
	s_cselect_b64 s[4:5], -1, 0
	v_cndmask_b32_e64 v1, 0, 1, s[4:5]
	s_mov_b64 s[8:9], -1
	global_store_byte v[3:4], v1, off
.LBB135_713:
	s_branch .LBB135_664
.LBB135_714:
	s_cmp_lt_i32 s14, 5
	s_mov_b64 s[4:5], -1
	s_cbranch_scc1 .LBB135_735
; %bb.715:
	s_cmp_lt_i32 s14, 8
	s_cbranch_scc1 .LBB135_725
; %bb.716:
	s_cmp_lt_i32 s14, 9
	s_cbranch_scc1 .LBB135_722
; %bb.717:
	s_cmp_gt_i32 s14, 9
	s_cbranch_scc0 .LBB135_719
; %bb.718:
	s_lshl_b32 s4, s12, 24
	s_and_b32 s5, s4, 0x80000000
	s_and_b32 s4, s4, 0x7f000000
	s_flbit_i32_b32 s6, s4
	s_min_u32 s6, s6, 32
	v_sub_u32_e64 v1, s6, 4 clamp
	v_readfirstlane_b32 s7, v1
	s_lshl_b32 s8, s4, s7
	s_add_i32 s6, s4, 0x1000000
	s_lshr_b32 s8, s8, 4
	s_lshl_b32 s7, s7, 23
	s_ashr_i32 s6, s6, 8
	s_sub_i32 s7, s8, s7
	s_and_b32 s6, s6, 0x7f800000
	s_add_i32 s7, s7, 0x3c000000
	s_or_b32 s6, s7, s6
	s_cmp_lg_u32 s4, 0
	s_cselect_b32 s4, s6, 0
	s_or_b32 s4, s4, s5
	v_cvt_f64_f32_e32 v[5:6], s4
	v_mov_b32_e32 v7, 0
	v_mov_b32_e32 v8, v7
	s_mov_b64 s[4:5], 0
	global_store_dwordx4 v[3:4], v[5:8], off
.LBB135_719:
	s_andn2_b64 vcc, exec, s[4:5]
	s_cbranch_vccnz .LBB135_721
; %bb.720:
	s_lshl_b32 s4, s12, 24
	s_and_b32 s5, s4, 0x80000000
	s_and_b32 s4, s4, 0x7f000000
	s_flbit_i32_b32 s6, s4
	s_min_u32 s6, s6, 32
	v_sub_u32_e64 v1, s6, 4 clamp
	v_readfirstlane_b32 s7, v1
	s_lshl_b32 s8, s4, s7
	s_add_i32 s6, s4, 0x1000000
	s_lshr_b32 s8, s8, 4
	s_lshl_b32 s7, s7, 23
	s_ashr_i32 s6, s6, 8
	s_sub_i32 s7, s8, s7
	s_and_b32 s6, s6, 0x7f800000
	s_add_i32 s7, s7, 0x3c000000
	s_or_b32 s6, s7, s6
	s_cmp_lg_u32 s4, 0
	s_cselect_b32 s4, s6, 0
	s_or_b32 s4, s4, s5
	v_mov_b32_e32 v5, s4
	v_mov_b32_e32 v6, 0
	global_store_dwordx2 v[3:4], v[5:6], off
.LBB135_721:
	s_mov_b64 s[4:5], 0
.LBB135_722:
	s_andn2_b64 vcc, exec, s[4:5]
	s_cbranch_vccnz .LBB135_724
; %bb.723:
	s_lshl_b32 s4, s12, 24
	s_and_b32 s5, s4, 0x80000000
	s_and_b32 s4, s4, 0x7f000000
	s_flbit_i32_b32 s6, s4
	s_min_u32 s6, s6, 32
	v_sub_u32_e64 v1, s6, 4 clamp
	v_readfirstlane_b32 s7, v1
	s_lshl_b32 s8, s4, s7
	s_add_i32 s6, s4, 0x1000000
	s_lshr_b32 s8, s8, 4
	s_lshl_b32 s7, s7, 23
	s_ashr_i32 s6, s6, 8
	s_sub_i32 s7, s8, s7
	s_and_b32 s6, s6, 0x7f800000
	s_add_i32 s7, s7, 0x3c000000
	s_or_b32 s6, s7, s6
	s_cmp_lg_u32 s4, 0
	s_cselect_b32 s4, s6, 0
	s_or_b32 s4, s4, s5
	v_cvt_f16_f32_e32 v1, s4
	global_store_dword v[3:4], v1, off
.LBB135_724:
	s_mov_b64 s[4:5], 0
.LBB135_725:
	s_andn2_b64 vcc, exec, s[4:5]
	s_cbranch_vccnz .LBB135_734
; %bb.726:
	s_cmp_lt_i32 s14, 6
	s_mov_b64 s[4:5], -1
	s_cbranch_scc1 .LBB135_732
; %bb.727:
	s_cmp_gt_i32 s14, 6
	s_cbranch_scc0 .LBB135_729
; %bb.728:
	s_lshl_b32 s4, s12, 24
	s_and_b32 s5, s4, 0x80000000
	s_and_b32 s4, s4, 0x7f000000
	s_flbit_i32_b32 s6, s4
	s_min_u32 s6, s6, 32
	v_sub_u32_e64 v1, s6, 4 clamp
	v_readfirstlane_b32 s7, v1
	s_lshl_b32 s8, s4, s7
	s_add_i32 s6, s4, 0x1000000
	s_lshr_b32 s8, s8, 4
	s_lshl_b32 s7, s7, 23
	s_ashr_i32 s6, s6, 8
	s_sub_i32 s7, s8, s7
	s_and_b32 s6, s6, 0x7f800000
	s_add_i32 s7, s7, 0x3c000000
	s_or_b32 s6, s7, s6
	s_cmp_lg_u32 s4, 0
	s_cselect_b32 s4, s6, 0
	s_or_b32 s4, s4, s5
	v_cvt_f64_f32_e32 v[5:6], s4
	s_mov_b64 s[4:5], 0
	global_store_dwordx2 v[3:4], v[5:6], off
.LBB135_729:
	s_andn2_b64 vcc, exec, s[4:5]
	s_cbranch_vccnz .LBB135_731
; %bb.730:
	s_lshl_b32 s4, s12, 24
	s_and_b32 s5, s4, 0x80000000
	s_and_b32 s4, s4, 0x7f000000
	s_flbit_i32_b32 s6, s4
	s_min_u32 s6, s6, 32
	v_sub_u32_e64 v1, s6, 4 clamp
	v_readfirstlane_b32 s7, v1
	s_lshl_b32 s8, s4, s7
	s_add_i32 s6, s4, 0x1000000
	s_lshr_b32 s8, s8, 4
	s_lshl_b32 s7, s7, 23
	s_ashr_i32 s6, s6, 8
	s_sub_i32 s7, s8, s7
	s_and_b32 s6, s6, 0x7f800000
	s_add_i32 s7, s7, 0x3c000000
	s_or_b32 s6, s7, s6
	s_cmp_lg_u32 s4, 0
	s_cselect_b32 s4, s6, 0
	s_or_b32 s4, s4, s5
	v_mov_b32_e32 v1, s4
	global_store_dword v[3:4], v1, off
.LBB135_731:
	s_mov_b64 s[4:5], 0
.LBB135_732:
	s_andn2_b64 vcc, exec, s[4:5]
	s_cbranch_vccnz .LBB135_734
; %bb.733:
	s_lshl_b32 s4, s12, 24
	s_and_b32 s5, s4, 0x80000000
	s_and_b32 s4, s4, 0x7f000000
	s_flbit_i32_b32 s6, s4
	s_min_u32 s6, s6, 32
	v_sub_u32_e64 v1, s6, 4 clamp
	v_readfirstlane_b32 s7, v1
	s_lshl_b32 s8, s4, s7
	s_add_i32 s6, s4, 0x1000000
	s_lshr_b32 s8, s8, 4
	s_lshl_b32 s7, s7, 23
	s_ashr_i32 s6, s6, 8
	s_sub_i32 s7, s8, s7
	s_and_b32 s6, s6, 0x7f800000
	s_add_i32 s7, s7, 0x3c000000
	s_or_b32 s6, s7, s6
	s_cmp_lg_u32 s4, 0
	s_cselect_b32 s4, s6, 0
	s_or_b32 s4, s4, s5
	v_cvt_f16_f32_e32 v1, s4
	global_store_short v[3:4], v1, off
.LBB135_734:
	s_mov_b64 s[4:5], 0
.LBB135_735:
	s_andn2_b64 vcc, exec, s[4:5]
	s_cbranch_vccnz .LBB135_751
; %bb.736:
	s_cmp_lt_i32 s14, 2
	s_mov_b64 s[4:5], -1
	s_cbranch_scc1 .LBB135_746
; %bb.737:
	s_cmp_lt_i32 s14, 3
	s_cbranch_scc1 .LBB135_743
; %bb.738:
	s_cmp_gt_i32 s14, 3
	s_cbranch_scc0 .LBB135_740
; %bb.739:
	s_lshl_b32 s4, s12, 24
	s_and_b32 s5, s4, 0x80000000
	s_and_b32 s4, s4, 0x7f000000
	s_flbit_i32_b32 s6, s4
	s_min_u32 s6, s6, 32
	v_sub_u32_e64 v1, s6, 4 clamp
	v_readfirstlane_b32 s7, v1
	s_lshl_b32 s8, s4, s7
	s_add_i32 s6, s4, 0x1000000
	s_lshr_b32 s8, s8, 4
	s_lshl_b32 s7, s7, 23
	s_ashr_i32 s6, s6, 8
	s_sub_i32 s7, s8, s7
	s_and_b32 s6, s6, 0x7f800000
	s_add_i32 s7, s7, 0x3c000000
	s_or_b32 s6, s7, s6
	s_cmp_lg_u32 s4, 0
	s_cselect_b32 s4, s6, 0
	s_or_b32 s4, s4, s5
	v_trunc_f32_e32 v1, s4
	s_mov_b32 s4, 0x2f800000
	v_mul_f32_e64 v5, |v1|, s4
	v_floor_f32_e32 v5, v5
	s_mov_b32 s4, 0xcf800000
	v_fma_f32 v6, v5, s4, |v1|
	v_cvt_u32_f32_e32 v6, v6
	v_cvt_u32_f32_e32 v5, v5
	v_ashrrev_i32_e32 v1, 31, v1
	s_mov_b64 s[4:5], 0
	v_xor_b32_e32 v6, v6, v1
	v_xor_b32_e32 v7, v5, v1
	v_sub_co_u32_e32 v5, vcc, v6, v1
	v_subb_co_u32_e32 v6, vcc, v7, v1, vcc
	global_store_dwordx2 v[3:4], v[5:6], off
.LBB135_740:
	s_andn2_b64 vcc, exec, s[4:5]
	s_cbranch_vccnz .LBB135_742
; %bb.741:
	s_lshl_b32 s4, s12, 24
	s_and_b32 s5, s4, 0x80000000
	s_and_b32 s4, s4, 0x7f000000
	s_flbit_i32_b32 s6, s4
	s_min_u32 s6, s6, 32
	v_sub_u32_e64 v1, s6, 4 clamp
	v_readfirstlane_b32 s7, v1
	s_lshl_b32 s8, s4, s7
	s_add_i32 s6, s4, 0x1000000
	s_lshr_b32 s8, s8, 4
	s_lshl_b32 s7, s7, 23
	s_ashr_i32 s6, s6, 8
	s_sub_i32 s7, s8, s7
	s_and_b32 s6, s6, 0x7f800000
	s_add_i32 s7, s7, 0x3c000000
	s_or_b32 s6, s7, s6
	s_cmp_lg_u32 s4, 0
	s_cselect_b32 s4, s6, 0
	s_or_b32 s4, s4, s5
	v_cvt_i32_f32_e32 v1, s4
	global_store_dword v[3:4], v1, off
.LBB135_742:
	s_mov_b64 s[4:5], 0
.LBB135_743:
	s_andn2_b64 vcc, exec, s[4:5]
	s_cbranch_vccnz .LBB135_745
; %bb.744:
	s_lshl_b32 s4, s12, 24
	s_and_b32 s5, s4, 0x80000000
	s_and_b32 s4, s4, 0x7f000000
	s_flbit_i32_b32 s6, s4
	s_min_u32 s6, s6, 32
	v_sub_u32_e64 v1, s6, 4 clamp
	v_readfirstlane_b32 s7, v1
	s_lshl_b32 s8, s4, s7
	s_add_i32 s6, s4, 0x1000000
	s_lshr_b32 s8, s8, 4
	s_lshl_b32 s7, s7, 23
	s_ashr_i32 s6, s6, 8
	s_sub_i32 s7, s8, s7
	s_and_b32 s6, s6, 0x7f800000
	s_add_i32 s7, s7, 0x3c000000
	s_or_b32 s6, s7, s6
	s_cmp_lg_u32 s4, 0
	s_cselect_b32 s4, s6, 0
	s_or_b32 s4, s4, s5
	v_cvt_i32_f32_e32 v1, s4
	global_store_short v[3:4], v1, off
.LBB135_745:
	s_mov_b64 s[4:5], 0
.LBB135_746:
	s_andn2_b64 vcc, exec, s[4:5]
	s_cbranch_vccnz .LBB135_751
; %bb.747:
	s_cmp_gt_i32 s14, 0
	s_mov_b64 s[4:5], -1
	s_cbranch_scc0 .LBB135_749
; %bb.748:
	s_lshl_b32 s4, s12, 24
	s_and_b32 s5, s4, 0x80000000
	s_and_b32 s4, s4, 0x7f000000
	s_flbit_i32_b32 s6, s4
	s_min_u32 s6, s6, 32
	v_sub_u32_e64 v1, s6, 4 clamp
	v_readfirstlane_b32 s7, v1
	s_lshl_b32 s8, s4, s7
	s_add_i32 s6, s4, 0x1000000
	s_lshr_b32 s8, s8, 4
	s_lshl_b32 s7, s7, 23
	s_ashr_i32 s6, s6, 8
	s_sub_i32 s7, s8, s7
	s_and_b32 s6, s6, 0x7f800000
	s_add_i32 s7, s7, 0x3c000000
	s_or_b32 s6, s7, s6
	s_cmp_lg_u32 s4, 0
	s_cselect_b32 s4, s6, 0
	s_or_b32 s4, s4, s5
	v_cvt_i32_f32_e32 v1, s4
	s_mov_b64 s[4:5], 0
	global_store_byte v[3:4], v1, off
.LBB135_749:
	s_andn2_b64 vcc, exec, s[4:5]
	s_cbranch_vccnz .LBB135_751
; %bb.750:
	s_lshl_b32 s4, s12, 24
	s_and_b32 s5, s4, 0x80000000
	s_and_b32 s4, s4, 0x7f000000
	s_flbit_i32_b32 s6, s4
	s_min_u32 s6, s6, 32
	v_sub_u32_e64 v1, s6, 4 clamp
	v_readfirstlane_b32 s7, v1
	s_lshl_b32 s8, s4, s7
	s_add_i32 s6, s4, 0x1000000
	s_lshr_b32 s8, s8, 4
	s_lshl_b32 s7, s7, 23
	s_ashr_i32 s6, s6, 8
	s_sub_i32 s7, s8, s7
	s_and_b32 s6, s6, 0x7f800000
	s_add_i32 s7, s7, 0x3c000000
	s_or_b32 s6, s7, s6
	s_cmp_lg_u32 s4, 0
	s_cselect_b32 s4, s6, 0
	s_or_b32 s4, s4, s5
	v_trunc_f32_e32 v1, s4
	s_mov_b32 s4, 0x2f800000
	v_mul_f32_e64 v5, |v1|, s4
	v_floor_f32_e32 v5, v5
	s_mov_b32 s4, 0xcf800000
	v_fma_f32 v5, v5, s4, |v1|
	v_cvt_u32_f32_e32 v5, v5
	v_ashrrev_i32_e32 v1, 31, v1
	v_xor_b32_e32 v5, v5, v1
	v_sub_u32_e32 v1, v5, v1
	global_store_byte v[3:4], v1, off
.LBB135_751:
.LBB135_752:
	v_mov_b32_e32 v3, s3
	v_add_co_u32_e32 v1, vcc, s2, v2
	s_cmp_lt_i32 s14, 11
	v_addc_co_u32_e32 v2, vcc, 0, v3, vcc
	s_cbranch_scc1 .LBB135_780
; %bb.753:
	s_mov_b64 s[10:11], -1
	s_mov_b64 s[6:7], 0
	s_cmp_gt_i32 s14, 25
	s_mov_b64 s[8:9], 0
	s_mov_b64 s[4:5], 0
	s_cbranch_scc0 .LBB135_821
; %bb.754:
	s_cmp_gt_i32 s14, 28
	s_cbranch_scc0 .LBB135_769
; %bb.755:
	s_cmp_gt_i32 s14, 43
	;; [unrolled: 3-line block ×3, first 2 shown]
	s_cbranch_scc0 .LBB135_759
; %bb.757:
	s_mov_b64 s[4:5], -1
	s_mov_b64 s[10:11], 0
	s_cmp_eq_u32 s14, 46
	s_cbranch_scc0 .LBB135_759
; %bb.758:
	s_lshl_b32 s4, s12, 24
	s_and_b32 s5, s4, 0x80000000
	s_and_b32 s4, s4, 0x7f000000
	s_flbit_i32_b32 s8, s4
	s_min_u32 s8, s8, 32
	v_sub_u32_e64 v3, s8, 4 clamp
	v_readfirstlane_b32 s9, v3
	s_lshl_b32 s15, s4, s9
	s_add_i32 s8, s4, 0x1000000
	s_lshr_b32 s15, s15, 4
	s_lshl_b32 s9, s9, 23
	s_ashr_i32 s8, s8, 8
	s_sub_i32 s9, s15, s9
	s_and_b32 s8, s8, 0x7f800000
	s_add_i32 s9, s9, 0x3c000000
	s_or_b32 s8, s9, s8
	s_cmp_lg_u32 s4, 0
	s_cselect_b32 s4, s8, 0
	s_or_b32 s5, s4, s5
	s_bfe_u32 s4, s4, 0x10010
	s_add_i32 s4, s5, s4
	s_addk_i32 s4, 0x7fff
	s_lshr_b32 s8, s4, 16
	v_cmp_o_f32_e64 s[4:5], s5, s5
	s_and_b64 s[4:5], s[4:5], exec
	s_cselect_b32 s4, s8, 0x7fc0
	v_mov_b32_e32 v3, s4
	global_store_dword v[1:2], v3, off
	s_mov_b64 s[4:5], 0
	s_mov_b64 s[8:9], -1
.LBB135_759:
	s_and_b64 vcc, exec, s[10:11]
	s_cbranch_vccz .LBB135_764
; %bb.760:
	s_cmp_eq_u32 s14, 44
	s_mov_b64 s[4:5], -1
	s_cbranch_scc0 .LBB135_764
; %bb.761:
	s_lshl_b32 s4, s12, 24
	s_and_b32 s4, s4, 0x7f000000
	s_flbit_i32_b32 s5, s4
	s_min_u32 s5, s5, 32
	v_sub_u32_e64 v3, s5, 4 clamp
	v_readfirstlane_b32 s8, v3
	s_lshl_b32 s9, s4, s8
	s_add_i32 s5, s4, 0x1000000
	s_lshr_b32 s9, s9, 4
	s_lshl_b32 s8, s8, 23
	s_ashr_i32 s5, s5, 8
	s_sub_i32 s8, s9, s8
	s_and_b32 s5, s5, 0x7f800000
	s_add_i32 s8, s8, 0x3c000000
	s_or_b32 s5, s8, s5
	s_cmp_lg_u32 s4, 0
	s_cselect_b32 s5, s5, 0
	s_lshr_b32 s4, s5, 23
	s_cmpk_eq_i32 s4, 0xff
	v_mov_b32_e32 v3, 0xff
	s_cbranch_scc1 .LBB135_763
; %bb.762:
	s_bitcmp1_b32 s5, 22
	s_cselect_b64 s[8:9], -1, 0
	s_and_b32 s5, s5, 0x3fffff
	s_or_b32 s5, s4, s5
	s_cmp_lg_u32 s5, 0
	s_cselect_b64 s[10:11], -1, 0
	s_and_b64 s[8:9], s[8:9], s[10:11]
	v_cndmask_b32_e64 v3, 0, 1, s[8:9]
	v_add_u32_e32 v3, s4, v3
.LBB135_763:
	s_mov_b64 s[4:5], 0
	s_mov_b64 s[8:9], -1
	global_store_byte v[1:2], v3, off
.LBB135_764:
	s_mov_b64 s[10:11], 0
.LBB135_765:
	s_and_b64 vcc, exec, s[10:11]
	s_cbranch_vccz .LBB135_768
; %bb.766:
	s_cmp_eq_u32 s14, 29
	s_mov_b64 s[4:5], -1
	s_cbranch_scc0 .LBB135_768
; %bb.767:
	s_lshl_b32 s4, s12, 24
	s_and_b32 s5, s4, 0x80000000
	s_and_b32 s4, s4, 0x7f000000
	s_flbit_i32_b32 s8, s4
	s_min_u32 s8, s8, 32
	v_sub_u32_e64 v3, s8, 4 clamp
	v_readfirstlane_b32 s9, v3
	s_lshl_b32 s10, s4, s9
	s_add_i32 s8, s4, 0x1000000
	s_lshr_b32 s10, s10, 4
	s_lshl_b32 s9, s9, 23
	s_ashr_i32 s8, s8, 8
	s_sub_i32 s9, s10, s9
	s_and_b32 s8, s8, 0x7f800000
	s_add_i32 s9, s9, 0x3c000000
	s_or_b32 s8, s9, s8
	s_cmp_lg_u32 s4, 0
	s_cselect_b32 s4, s8, 0
	s_or_b32 s4, s4, s5
	v_trunc_f32_e32 v3, s4
	v_mul_f32_e32 v4, 0x2f800000, v3
	v_floor_f32_e32 v4, v4
	v_fmac_f32_e32 v3, 0xcf800000, v4
	v_cvt_u32_f32_e32 v3, v3
	v_cvt_u32_f32_e32 v4, v4
	s_mov_b64 s[4:5], 0
	s_mov_b64 s[8:9], -1
	global_store_dwordx2 v[1:2], v[3:4], off
.LBB135_768:
	s_mov_b64 s[10:11], 0
.LBB135_769:
	s_and_b64 vcc, exec, s[10:11]
	s_cbranch_vccz .LBB135_820
; %bb.770:
	s_cmp_lt_i32 s14, 27
	s_mov_b64 s[8:9], -1
	s_cbranch_scc1 .LBB135_776
; %bb.771:
	s_cmp_gt_i32 s14, 27
	s_cbranch_scc0 .LBB135_773
; %bb.772:
	s_lshl_b32 s8, s12, 24
	s_and_b32 s9, s8, 0x80000000
	s_and_b32 s8, s8, 0x7f000000
	s_flbit_i32_b32 s10, s8
	s_min_u32 s10, s10, 32
	v_sub_u32_e64 v3, s10, 4 clamp
	v_readfirstlane_b32 s11, v3
	s_lshl_b32 s15, s8, s11
	s_add_i32 s10, s8, 0x1000000
	s_lshr_b32 s15, s15, 4
	s_lshl_b32 s11, s11, 23
	s_ashr_i32 s10, s10, 8
	s_sub_i32 s11, s15, s11
	s_and_b32 s10, s10, 0x7f800000
	s_add_i32 s11, s11, 0x3c000000
	s_or_b32 s10, s11, s10
	s_cmp_lg_u32 s8, 0
	s_cselect_b32 s8, s10, 0
	s_or_b32 s8, s8, s9
	v_cvt_u32_f32_e32 v3, s8
	s_mov_b64 s[8:9], 0
	global_store_dword v[1:2], v3, off
.LBB135_773:
	s_andn2_b64 vcc, exec, s[8:9]
	s_cbranch_vccnz .LBB135_775
; %bb.774:
	s_lshl_b32 s8, s12, 24
	s_and_b32 s9, s8, 0x80000000
	s_and_b32 s8, s8, 0x7f000000
	s_flbit_i32_b32 s10, s8
	s_min_u32 s10, s10, 32
	v_sub_u32_e64 v3, s10, 4 clamp
	v_readfirstlane_b32 s11, v3
	s_lshl_b32 s15, s8, s11
	s_add_i32 s10, s8, 0x1000000
	s_lshr_b32 s15, s15, 4
	s_lshl_b32 s11, s11, 23
	s_ashr_i32 s10, s10, 8
	s_sub_i32 s11, s15, s11
	s_and_b32 s10, s10, 0x7f800000
	s_add_i32 s11, s11, 0x3c000000
	s_or_b32 s10, s11, s10
	s_cmp_lg_u32 s8, 0
	s_cselect_b32 s8, s10, 0
	s_or_b32 s8, s8, s9
	v_cvt_u32_f32_e32 v3, s8
	global_store_short v[1:2], v3, off
.LBB135_775:
	s_mov_b64 s[8:9], 0
.LBB135_776:
	s_andn2_b64 vcc, exec, s[8:9]
	s_cbranch_vccnz .LBB135_819
; %bb.777:
	s_lshl_b32 s8, s12, 24
	s_and_b32 s9, s8, 0x80000000
	s_and_b32 s8, s8, 0x7f000000
	s_flbit_i32_b32 s10, s8
	s_min_u32 s10, s10, 32
	v_sub_u32_e64 v3, s10, 4 clamp
	v_readfirstlane_b32 s11, v3
	s_lshl_b32 s15, s8, s11
	s_add_i32 s10, s8, 0x1000000
	s_lshr_b32 s15, s15, 4
	s_lshl_b32 s11, s11, 23
	s_ashr_i32 s10, s10, 8
	s_sub_i32 s11, s15, s11
	s_and_b32 s10, s10, 0x7f800000
	s_add_i32 s11, s11, 0x3c000000
	s_or_b32 s10, s11, s10
	s_cmp_lg_u32 s8, 0
	s_cselect_b32 s8, s10, 0
	s_or_b32 s15, s8, s9
	s_and_b32 s9, s15, 0x7fffffff
	s_cmp_gt_u32 s9, 0x437fffff
	v_mov_b32_e32 v4, 0x80
	s_cbranch_scc1 .LBB135_818
; %bb.778:
	s_cmp_gt_u32 s9, 0x3bffffff
	s_cbranch_scc0 .LBB135_813
; %bb.779:
	s_bfe_u32 s8, s8, 0x10014
	s_add_i32 s8, s15, s8
	s_add_i32 s8, s8, 0x487ffff
	s_lshr_b32 s16, s8, 20
	s_mov_b64 s[10:11], 0
	s_mov_b64 s[8:9], -1
	s_branch .LBB135_814
.LBB135_780:
	s_mov_b64 s[8:9], 0
	s_cbranch_execnz .LBB135_875
.LBB135_781:
	s_andn2_b64 vcc, exec, s[8:9]
	s_cbranch_vccnz .LBB135_913
.LBB135_782:
	v_mov_b32_e32 v1, s3
	v_add_co_u32_e32 v0, vcc, s2, v0
	s_cmp_lt_i32 s14, 11
	v_addc_co_u32_e32 v1, vcc, 0, v1, vcc
	s_cbranch_scc1 .LBB135_811
; %bb.783:
	s_mov_b64 s[6:7], -1
	s_mov_b64 s[4:5], 0
	s_cmp_gt_i32 s14, 25
	s_mov_b64 s[2:3], 0
	s_cbranch_scc0 .LBB135_835
; %bb.784:
	s_cmp_gt_i32 s14, 28
	s_cbranch_scc0 .LBB135_800
; %bb.785:
	s_cmp_gt_i32 s14, 43
	;; [unrolled: 3-line block ×3, first 2 shown]
	s_cbranch_scc0 .LBB135_790
; %bb.787:
	s_cmp_eq_u32 s14, 46
	s_mov_b64 s[2:3], -1
	s_cbranch_scc0 .LBB135_789
; %bb.788:
	s_lshl_b32 s2, s12, 24
	s_and_b32 s3, s2, 0x80000000
	s_and_b32 s2, s2, 0x7f000000
	s_flbit_i32_b32 s6, s2
	s_min_u32 s6, s6, 32
	v_sub_u32_e64 v2, s6, 4 clamp
	v_readfirstlane_b32 s7, v2
	s_lshl_b32 s8, s2, s7
	s_add_i32 s6, s2, 0x1000000
	s_lshr_b32 s8, s8, 4
	s_lshl_b32 s7, s7, 23
	s_ashr_i32 s6, s6, 8
	s_sub_i32 s7, s8, s7
	s_and_b32 s6, s6, 0x7f800000
	s_add_i32 s7, s7, 0x3c000000
	s_or_b32 s6, s7, s6
	s_cmp_lg_u32 s2, 0
	s_cselect_b32 s2, s6, 0
	s_or_b32 s3, s2, s3
	s_bfe_u32 s2, s2, 0x10010
	s_add_i32 s2, s3, s2
	s_addk_i32 s2, 0x7fff
	s_lshr_b32 s6, s2, 16
	v_cmp_o_f32_e64 s[2:3], s3, s3
	s_and_b64 s[2:3], s[2:3], exec
	s_cselect_b32 s2, s6, 0x7fc0
	v_mov_b32_e32 v2, s2
	global_store_dword v[0:1], v2, off
	s_mov_b64 s[2:3], 0
.LBB135_789:
	s_mov_b64 s[6:7], 0
.LBB135_790:
	s_and_b64 vcc, exec, s[6:7]
	s_cbranch_vccz .LBB135_795
; %bb.791:
	s_cmp_eq_u32 s14, 44
	s_mov_b64 s[2:3], -1
	s_cbranch_scc0 .LBB135_795
; %bb.792:
	s_lshl_b32 s2, s12, 24
	s_and_b32 s2, s2, 0x7f000000
	s_flbit_i32_b32 s3, s2
	s_min_u32 s3, s3, 32
	v_sub_u32_e64 v2, s3, 4 clamp
	v_readfirstlane_b32 s6, v2
	s_lshl_b32 s7, s2, s6
	s_add_i32 s3, s2, 0x1000000
	s_lshr_b32 s7, s7, 4
	s_lshl_b32 s6, s6, 23
	s_ashr_i32 s3, s3, 8
	s_sub_i32 s6, s7, s6
	s_and_b32 s3, s3, 0x7f800000
	s_add_i32 s6, s6, 0x3c000000
	s_or_b32 s3, s6, s3
	s_cmp_lg_u32 s2, 0
	s_cselect_b32 s3, s3, 0
	s_lshr_b32 s2, s3, 23
	s_cmpk_eq_i32 s2, 0xff
	v_mov_b32_e32 v2, 0xff
	s_cbranch_scc1 .LBB135_794
; %bb.793:
	s_bitcmp1_b32 s3, 22
	s_cselect_b64 s[6:7], -1, 0
	s_and_b32 s3, s3, 0x3fffff
	s_or_b32 s3, s2, s3
	s_cmp_lg_u32 s3, 0
	s_cselect_b64 s[8:9], -1, 0
	s_and_b64 s[6:7], s[6:7], s[8:9]
	v_cndmask_b32_e64 v2, 0, 1, s[6:7]
	v_add_u32_e32 v2, s2, v2
.LBB135_794:
	s_mov_b64 s[2:3], 0
	global_store_byte v[0:1], v2, off
.LBB135_795:
	s_mov_b64 s[6:7], 0
.LBB135_796:
	s_and_b64 vcc, exec, s[6:7]
	s_cbranch_vccz .LBB135_799
; %bb.797:
	s_cmp_eq_u32 s14, 29
	s_mov_b64 s[2:3], -1
	s_cbranch_scc0 .LBB135_799
; %bb.798:
	s_lshl_b32 s2, s12, 24
	s_and_b32 s3, s2, 0x80000000
	s_and_b32 s2, s2, 0x7f000000
	s_flbit_i32_b32 s6, s2
	s_min_u32 s6, s6, 32
	v_sub_u32_e64 v2, s6, 4 clamp
	v_readfirstlane_b32 s7, v2
	s_lshl_b32 s8, s2, s7
	s_add_i32 s6, s2, 0x1000000
	s_lshr_b32 s8, s8, 4
	s_lshl_b32 s7, s7, 23
	s_ashr_i32 s6, s6, 8
	s_sub_i32 s7, s8, s7
	s_and_b32 s6, s6, 0x7f800000
	s_add_i32 s7, s7, 0x3c000000
	s_or_b32 s6, s7, s6
	s_cmp_lg_u32 s2, 0
	s_cselect_b32 s2, s6, 0
	s_or_b32 s2, s2, s3
	v_trunc_f32_e32 v2, s2
	v_mul_f32_e32 v3, 0x2f800000, v2
	v_floor_f32_e32 v3, v3
	v_fmac_f32_e32 v2, 0xcf800000, v3
	v_cvt_u32_f32_e32 v2, v2
	v_cvt_u32_f32_e32 v3, v3
	s_mov_b64 s[2:3], 0
	global_store_dwordx2 v[0:1], v[2:3], off
.LBB135_799:
	s_mov_b64 s[6:7], 0
.LBB135_800:
	s_and_b64 vcc, exec, s[6:7]
	s_cbranch_vccz .LBB135_834
; %bb.801:
	s_cmp_lt_i32 s14, 27
	s_mov_b64 s[6:7], -1
	s_cbranch_scc1 .LBB135_807
; %bb.802:
	s_cmp_gt_i32 s14, 27
	s_cbranch_scc0 .LBB135_804
; %bb.803:
	s_lshl_b32 s6, s12, 24
	s_and_b32 s7, s6, 0x80000000
	s_and_b32 s6, s6, 0x7f000000
	s_flbit_i32_b32 s8, s6
	s_min_u32 s8, s8, 32
	v_sub_u32_e64 v2, s8, 4 clamp
	v_readfirstlane_b32 s9, v2
	s_lshl_b32 s10, s6, s9
	s_add_i32 s8, s6, 0x1000000
	s_lshr_b32 s10, s10, 4
	s_lshl_b32 s9, s9, 23
	s_ashr_i32 s8, s8, 8
	s_sub_i32 s9, s10, s9
	s_and_b32 s8, s8, 0x7f800000
	s_add_i32 s9, s9, 0x3c000000
	s_or_b32 s8, s9, s8
	s_cmp_lg_u32 s6, 0
	s_cselect_b32 s6, s8, 0
	s_or_b32 s6, s6, s7
	v_cvt_u32_f32_e32 v2, s6
	s_mov_b64 s[6:7], 0
	global_store_dword v[0:1], v2, off
.LBB135_804:
	s_andn2_b64 vcc, exec, s[6:7]
	s_cbranch_vccnz .LBB135_806
; %bb.805:
	s_lshl_b32 s6, s12, 24
	s_and_b32 s7, s6, 0x80000000
	s_and_b32 s6, s6, 0x7f000000
	s_flbit_i32_b32 s8, s6
	s_min_u32 s8, s8, 32
	v_sub_u32_e64 v2, s8, 4 clamp
	v_readfirstlane_b32 s9, v2
	s_lshl_b32 s10, s6, s9
	s_add_i32 s8, s6, 0x1000000
	s_lshr_b32 s10, s10, 4
	s_lshl_b32 s9, s9, 23
	s_ashr_i32 s8, s8, 8
	s_sub_i32 s9, s10, s9
	s_and_b32 s8, s8, 0x7f800000
	s_add_i32 s9, s9, 0x3c000000
	s_or_b32 s8, s9, s8
	s_cmp_lg_u32 s6, 0
	s_cselect_b32 s6, s8, 0
	s_or_b32 s6, s6, s7
	v_cvt_u32_f32_e32 v2, s6
	global_store_short v[0:1], v2, off
.LBB135_806:
	s_mov_b64 s[6:7], 0
.LBB135_807:
	s_andn2_b64 vcc, exec, s[6:7]
	s_cbranch_vccnz .LBB135_834
; %bb.808:
	s_lshl_b32 s6, s12, 24
	s_and_b32 s7, s6, 0x80000000
	s_and_b32 s6, s6, 0x7f000000
	s_flbit_i32_b32 s8, s6
	s_min_u32 s8, s8, 32
	v_sub_u32_e64 v2, s8, 4 clamp
	v_readfirstlane_b32 s9, v2
	s_lshl_b32 s10, s6, s9
	s_add_i32 s8, s6, 0x1000000
	s_lshr_b32 s10, s10, 4
	s_lshl_b32 s9, s9, 23
	s_ashr_i32 s8, s8, 8
	s_sub_i32 s9, s10, s9
	s_and_b32 s8, s8, 0x7f800000
	s_add_i32 s9, s9, 0x3c000000
	s_or_b32 s8, s9, s8
	s_cmp_lg_u32 s6, 0
	s_cselect_b32 s6, s8, 0
	s_or_b32 s10, s6, s7
	s_and_b32 s7, s10, 0x7fffffff
	s_cmp_gt_u32 s7, 0x437fffff
	v_mov_b32_e32 v3, 0x80
	s_cbranch_scc1 .LBB135_833
; %bb.809:
	s_cmp_gt_u32 s7, 0x3bffffff
	s_cbranch_scc0 .LBB135_828
; %bb.810:
	s_bfe_u32 s6, s6, 0x10014
	s_add_i32 s6, s10, s6
	s_add_i32 s6, s6, 0x487ffff
	s_lshr_b32 s11, s6, 20
	s_mov_b64 s[8:9], 0
	s_mov_b64 s[6:7], -1
	s_branch .LBB135_829
.LBB135_811:
	s_mov_b64 s[4:5], 0
	s_mov_b64 s[2:3], -1
	s_branch .LBB135_914
.LBB135_812:
	s_trap 2
	s_or_b64 s[0:1], s[0:1], exec
	s_cbranch_execz .LBB135_712
	s_branch .LBB135_713
.LBB135_813:
	s_mov_b64 s[10:11], -1
	s_mov_b64 s[8:9], 0
                                        ; implicit-def: $sgpr16
.LBB135_814:
	s_andn2_b64 vcc, exec, s[10:11]
	v_mov_b32_e32 v3, s16
	s_cbranch_vccnz .LBB135_816
; %bb.815:
	v_mov_b32_e32 v3, 0x46000000
	v_add_f32_e64 v3, |s15|, v3
	v_and_b32_e32 v3, 0xff, v3
	v_cmp_ne_u32_e64 s[8:9], 0, v3
.LBB135_816:
	s_andn2_b64 vcc, exec, s[8:9]
	v_mov_b32_e32 v4, 0
	s_cbranch_vccnz .LBB135_818
; %bb.817:
	s_lshr_b32 s8, s15, 24
	s_and_b32 s8, s8, 0x80
	v_or_b32_e32 v4, s8, v3
.LBB135_818:
	global_store_byte v[1:2], v4, off
.LBB135_819:
	s_mov_b64 s[8:9], -1
.LBB135_820:
	s_mov_b64 s[10:11], 0
.LBB135_821:
	s_and_b64 vcc, exec, s[10:11]
	s_cbranch_vccz .LBB135_871
; %bb.822:
	s_cmp_gt_i32 s14, 22
	s_mov_b64 s[6:7], -1
	s_cbranch_scc0 .LBB135_864
; %bb.823:
	s_cmp_lt_i32 s14, 24
	s_cbranch_scc1 .LBB135_851
; %bb.824:
	s_cmp_gt_i32 s14, 24
	s_cbranch_scc0 .LBB135_848
; %bb.825:
	s_lshl_b32 s6, s12, 24
	s_and_b32 s7, s6, 0x80000000
	s_and_b32 s6, s6, 0x7f000000
	s_flbit_i32_b32 s8, s6
	s_min_u32 s8, s8, 32
	v_sub_u32_e64 v3, s8, 4 clamp
	v_readfirstlane_b32 s9, v3
	s_lshl_b32 s10, s6, s9
	s_add_i32 s8, s6, 0x1000000
	s_lshr_b32 s10, s10, 4
	s_lshl_b32 s9, s9, 23
	s_ashr_i32 s8, s8, 8
	s_sub_i32 s9, s10, s9
	s_and_b32 s8, s8, 0x7f800000
	s_add_i32 s9, s9, 0x3c000000
	s_or_b32 s8, s9, s8
	s_cmp_lg_u32 s6, 0
	s_cselect_b32 s6, s8, 0
	s_or_b32 s10, s6, s7
	s_and_b32 s7, s10, 0x7fffffff
	s_cmp_gt_u32 s7, 0x477fffff
	v_mov_b32_e32 v4, 0x80
	s_cbranch_scc1 .LBB135_847
; %bb.826:
	s_cmp_gt_u32 s7, 0x37ffffff
	s_cbranch_scc0 .LBB135_842
; %bb.827:
	s_bfe_u32 s6, s6, 0x10015
	s_add_i32 s6, s10, s6
	s_add_i32 s6, s6, 0x88fffff
	s_lshr_b32 s11, s6, 21
	s_mov_b64 s[8:9], 0
	s_mov_b64 s[6:7], -1
	s_branch .LBB135_843
.LBB135_828:
	s_mov_b64 s[8:9], -1
	s_mov_b64 s[6:7], 0
                                        ; implicit-def: $sgpr11
.LBB135_829:
	s_andn2_b64 vcc, exec, s[8:9]
	v_mov_b32_e32 v2, s11
	s_cbranch_vccnz .LBB135_831
; %bb.830:
	v_mov_b32_e32 v2, 0x46000000
	v_add_f32_e64 v2, |s10|, v2
	v_and_b32_e32 v2, 0xff, v2
	v_cmp_ne_u32_e64 s[6:7], 0, v2
.LBB135_831:
	s_andn2_b64 vcc, exec, s[6:7]
	v_mov_b32_e32 v3, 0
	s_cbranch_vccnz .LBB135_833
; %bb.832:
	s_lshr_b32 s6, s10, 24
	s_and_b32 s6, s6, 0x80
	v_or_b32_e32 v3, s6, v2
.LBB135_833:
	global_store_byte v[0:1], v3, off
.LBB135_834:
	s_mov_b64 s[6:7], 0
.LBB135_835:
	s_and_b64 vcc, exec, s[6:7]
	s_cbranch_vccz .LBB135_988
; %bb.836:
	s_cmp_gt_i32 s14, 22
	s_mov_b64 s[4:5], -1
	s_cbranch_scc0 .LBB135_981
; %bb.837:
	s_cmp_lt_i32 s14, 24
	s_cbranch_scc1 .LBB135_968
; %bb.838:
	s_cmp_gt_i32 s14, 24
	s_cbranch_scc0 .LBB135_965
; %bb.839:
	s_lshl_b32 s4, s12, 24
	s_and_b32 s5, s4, 0x80000000
	s_and_b32 s4, s4, 0x7f000000
	s_flbit_i32_b32 s6, s4
	s_min_u32 s6, s6, 32
	v_sub_u32_e64 v2, s6, 4 clamp
	v_readfirstlane_b32 s7, v2
	s_lshl_b32 s8, s4, s7
	s_add_i32 s6, s4, 0x1000000
	s_lshr_b32 s8, s8, 4
	s_lshl_b32 s7, s7, 23
	s_ashr_i32 s6, s6, 8
	s_sub_i32 s7, s8, s7
	s_and_b32 s6, s6, 0x7f800000
	s_add_i32 s7, s7, 0x3c000000
	s_or_b32 s6, s7, s6
	s_cmp_lg_u32 s4, 0
	s_cselect_b32 s4, s6, 0
	s_or_b32 s8, s4, s5
	s_and_b32 s5, s8, 0x7fffffff
	s_cmp_gt_u32 s5, 0x477fffff
	v_mov_b32_e32 v3, 0x80
	s_cbranch_scc1 .LBB135_964
; %bb.840:
	s_cmp_gt_u32 s5, 0x37ffffff
	s_cbranch_scc0 .LBB135_959
; %bb.841:
	s_bfe_u32 s4, s4, 0x10015
	s_add_i32 s4, s8, s4
	s_add_i32 s4, s4, 0x88fffff
	s_lshr_b32 s9, s4, 21
	s_mov_b64 s[6:7], 0
	s_mov_b64 s[4:5], -1
	s_branch .LBB135_960
.LBB135_842:
	s_mov_b64 s[8:9], -1
	s_mov_b64 s[6:7], 0
                                        ; implicit-def: $sgpr11
.LBB135_843:
	s_andn2_b64 vcc, exec, s[8:9]
	v_mov_b32_e32 v3, s11
	s_cbranch_vccnz .LBB135_845
; %bb.844:
	v_mov_b32_e32 v3, 0x42800000
	v_add_f32_e64 v3, |s10|, v3
	v_and_b32_e32 v3, 0xff, v3
	v_cmp_ne_u32_e64 s[6:7], 0, v3
.LBB135_845:
	s_andn2_b64 vcc, exec, s[6:7]
	v_mov_b32_e32 v4, 0
	s_cbranch_vccnz .LBB135_847
; %bb.846:
	s_lshr_b32 s6, s10, 24
	s_and_b32 s6, s6, 0x80
	v_or_b32_e32 v4, s6, v3
.LBB135_847:
	s_mov_b64 s[6:7], 0
	global_store_byte v[1:2], v4, off
.LBB135_848:
	s_and_b64 vcc, exec, s[6:7]
	s_cbranch_vccz .LBB135_850
; %bb.849:
	v_mov_b32_e32 v3, s12
	global_store_byte v[1:2], v3, off
.LBB135_850:
	s_mov_b64 s[6:7], 0
.LBB135_851:
	s_andn2_b64 vcc, exec, s[6:7]
	s_cbranch_vccnz .LBB135_863
; %bb.852:
	s_lshl_b32 s6, s12, 24
	s_and_b32 s7, s6, 0x80000000
	s_and_b32 s6, s6, 0x7f000000
	s_flbit_i32_b32 s8, s6
	s_min_u32 s8, s8, 32
	v_sub_u32_e64 v3, s8, 4 clamp
	v_readfirstlane_b32 s9, v3
	s_lshl_b32 s10, s6, s9
	s_add_i32 s8, s6, 0x1000000
	s_lshr_b32 s10, s10, 4
	s_lshl_b32 s9, s9, 23
	s_ashr_i32 s8, s8, 8
	s_sub_i32 s9, s10, s9
	s_and_b32 s8, s8, 0x7f800000
	s_add_i32 s9, s9, 0x3c000000
	s_or_b32 s8, s9, s8
	s_cmp_lg_u32 s6, 0
	s_cselect_b32 s6, s8, 0
	s_or_b32 s8, s6, s7
	s_and_b32 s9, s8, 0x7fffffff
	s_cmp_lt_u32 s9, 0x47800000
	s_cbranch_scc0 .LBB135_855
; %bb.853:
	s_cmp_gt_u32 s9, 0x387fffff
	s_cbranch_scc0 .LBB135_856
; %bb.854:
	s_bfe_u32 s6, s6, 0x10015
	s_add_i32 s6, s8, s6
	s_add_i32 s6, s6, 0x80fffff
	s_lshr_b32 s10, s6, 21
	s_mov_b64 s[6:7], 0
	s_branch .LBB135_857
.LBB135_855:
	s_mov_b64 s[6:7], -1
                                        ; implicit-def: $vgpr3
	s_branch .LBB135_860
.LBB135_856:
	s_mov_b64 s[6:7], -1
                                        ; implicit-def: $sgpr10
.LBB135_857:
	s_andn2_b64 vcc, exec, s[6:7]
	v_mov_b32_e32 v3, s10
	s_cbranch_vccnz .LBB135_859
; %bb.858:
	v_mov_b32_e32 v3, 0x43000000
	v_add_f32_e64 v3, |s8|, v3
.LBB135_859:
	s_mov_b64 s[6:7], 0
.LBB135_860:
	s_andn2_b64 vcc, exec, s[6:7]
	s_cbranch_vccnz .LBB135_862
; %bb.861:
	s_cmp_gt_u32 s9, 0x7f800000
	s_movk_i32 s6, 0x7f
	s_cselect_b32 s6, s6, 0x7c
	v_mov_b32_e32 v3, s6
.LBB135_862:
	s_lshr_b32 s6, s8, 24
	s_and_b32 s6, s6, 0x80
	v_or_b32_e32 v3, s6, v3
	global_store_byte v[1:2], v3, off
.LBB135_863:
	s_mov_b64 s[6:7], 0
	s_mov_b64 s[8:9], -1
.LBB135_864:
	s_andn2_b64 vcc, exec, s[6:7]
	s_mov_b64 s[6:7], 0
	s_cbranch_vccnz .LBB135_871
; %bb.865:
	s_cmp_gt_i32 s14, 14
	s_mov_b64 s[10:11], -1
	s_cbranch_scc0 .LBB135_869
; %bb.866:
	s_cmp_eq_u32 s14, 15
	s_mov_b64 s[4:5], -1
	s_cbranch_scc0 .LBB135_868
; %bb.867:
	s_lshl_b32 s4, s12, 24
	s_and_b32 s5, s4, 0x80000000
	s_and_b32 s4, s4, 0x7f000000
	s_flbit_i32_b32 s6, s4
	s_min_u32 s6, s6, 32
	v_sub_u32_e64 v3, s6, 4 clamp
	v_readfirstlane_b32 s7, v3
	s_lshl_b32 s8, s4, s7
	s_add_i32 s6, s4, 0x1000000
	s_lshr_b32 s8, s8, 4
	s_lshl_b32 s7, s7, 23
	s_ashr_i32 s6, s6, 8
	s_sub_i32 s7, s8, s7
	s_and_b32 s6, s6, 0x7f800000
	s_add_i32 s7, s7, 0x3c000000
	s_or_b32 s6, s7, s6
	s_cmp_lg_u32 s4, 0
	s_cselect_b32 s4, s6, 0
	s_or_b32 s5, s4, s5
	s_bfe_u32 s4, s4, 0x10010
	s_add_i32 s4, s5, s4
	s_addk_i32 s4, 0x7fff
	s_lshr_b32 s6, s4, 16
	v_cmp_o_f32_e64 s[4:5], s5, s5
	s_and_b64 s[4:5], s[4:5], exec
	s_cselect_b32 s4, s6, 0x7fc0
	v_mov_b32_e32 v3, s4
	global_store_short v[1:2], v3, off
	s_mov_b64 s[4:5], 0
	s_mov_b64 s[8:9], -1
.LBB135_868:
	s_mov_b64 s[10:11], 0
.LBB135_869:
	s_mov_b64 s[6:7], 0
	s_and_b64 vcc, exec, s[10:11]
	s_cbranch_vccz .LBB135_871
; %bb.870:
	s_cmp_lg_u32 s14, 11
	s_mov_b64 s[6:7], -1
	s_cselect_b64 s[4:5], -1, 0
.LBB135_871:
	s_and_b64 vcc, exec, s[4:5]
	s_cbranch_vccnz .LBB135_958
; %bb.872:
	s_andn2_b64 vcc, exec, s[6:7]
	s_cbranch_vccnz .LBB135_874
.LBB135_873:
	s_and_b32 s4, s12, 0x7f
	s_cmp_lg_u32 s4, 0
	s_cselect_b64 s[4:5], -1, 0
	v_cndmask_b32_e64 v3, 0, 1, s[4:5]
	s_mov_b64 s[8:9], -1
	global_store_byte v[1:2], v3, off
.LBB135_874:
	s_branch .LBB135_781
.LBB135_875:
	s_cmp_lt_i32 s14, 5
	s_mov_b64 s[4:5], -1
	s_cbranch_scc1 .LBB135_896
; %bb.876:
	s_cmp_lt_i32 s14, 8
	s_cbranch_scc1 .LBB135_886
; %bb.877:
	s_cmp_lt_i32 s14, 9
	s_cbranch_scc1 .LBB135_883
; %bb.878:
	s_cmp_gt_i32 s14, 9
	s_cbranch_scc0 .LBB135_880
; %bb.879:
	s_lshl_b32 s4, s12, 24
	s_and_b32 s5, s4, 0x80000000
	s_and_b32 s4, s4, 0x7f000000
	s_flbit_i32_b32 s6, s4
	s_min_u32 s6, s6, 32
	v_sub_u32_e64 v3, s6, 4 clamp
	v_readfirstlane_b32 s7, v3
	s_lshl_b32 s8, s4, s7
	s_add_i32 s6, s4, 0x1000000
	s_lshr_b32 s8, s8, 4
	s_lshl_b32 s7, s7, 23
	s_ashr_i32 s6, s6, 8
	s_sub_i32 s7, s8, s7
	s_and_b32 s6, s6, 0x7f800000
	s_add_i32 s7, s7, 0x3c000000
	s_or_b32 s6, s7, s6
	s_cmp_lg_u32 s4, 0
	s_cselect_b32 s4, s6, 0
	s_or_b32 s4, s4, s5
	v_cvt_f64_f32_e32 v[3:4], s4
	v_mov_b32_e32 v5, 0
	v_mov_b32_e32 v6, v5
	s_mov_b64 s[4:5], 0
	global_store_dwordx4 v[1:2], v[3:6], off
.LBB135_880:
	s_andn2_b64 vcc, exec, s[4:5]
	s_cbranch_vccnz .LBB135_882
; %bb.881:
	s_lshl_b32 s4, s12, 24
	s_and_b32 s5, s4, 0x80000000
	s_and_b32 s4, s4, 0x7f000000
	s_flbit_i32_b32 s6, s4
	s_min_u32 s6, s6, 32
	v_sub_u32_e64 v3, s6, 4 clamp
	v_readfirstlane_b32 s7, v3
	s_lshl_b32 s8, s4, s7
	s_add_i32 s6, s4, 0x1000000
	s_lshr_b32 s8, s8, 4
	s_lshl_b32 s7, s7, 23
	s_ashr_i32 s6, s6, 8
	s_sub_i32 s7, s8, s7
	s_and_b32 s6, s6, 0x7f800000
	s_add_i32 s7, s7, 0x3c000000
	s_or_b32 s6, s7, s6
	s_cmp_lg_u32 s4, 0
	s_cselect_b32 s4, s6, 0
	s_or_b32 s4, s4, s5
	v_mov_b32_e32 v3, s4
	v_mov_b32_e32 v4, 0
	global_store_dwordx2 v[1:2], v[3:4], off
.LBB135_882:
	s_mov_b64 s[4:5], 0
.LBB135_883:
	s_andn2_b64 vcc, exec, s[4:5]
	s_cbranch_vccnz .LBB135_885
; %bb.884:
	s_lshl_b32 s4, s12, 24
	s_and_b32 s5, s4, 0x80000000
	s_and_b32 s4, s4, 0x7f000000
	s_flbit_i32_b32 s6, s4
	s_min_u32 s6, s6, 32
	v_sub_u32_e64 v3, s6, 4 clamp
	v_readfirstlane_b32 s7, v3
	s_lshl_b32 s8, s4, s7
	s_add_i32 s6, s4, 0x1000000
	s_lshr_b32 s8, s8, 4
	s_lshl_b32 s7, s7, 23
	s_ashr_i32 s6, s6, 8
	s_sub_i32 s7, s8, s7
	s_and_b32 s6, s6, 0x7f800000
	s_add_i32 s7, s7, 0x3c000000
	s_or_b32 s6, s7, s6
	s_cmp_lg_u32 s4, 0
	s_cselect_b32 s4, s6, 0
	s_or_b32 s4, s4, s5
	v_cvt_f16_f32_e32 v3, s4
	global_store_dword v[1:2], v3, off
.LBB135_885:
	s_mov_b64 s[4:5], 0
.LBB135_886:
	s_andn2_b64 vcc, exec, s[4:5]
	s_cbranch_vccnz .LBB135_895
; %bb.887:
	s_cmp_lt_i32 s14, 6
	s_mov_b64 s[4:5], -1
	s_cbranch_scc1 .LBB135_893
; %bb.888:
	s_cmp_gt_i32 s14, 6
	s_cbranch_scc0 .LBB135_890
; %bb.889:
	s_lshl_b32 s4, s12, 24
	s_and_b32 s5, s4, 0x80000000
	s_and_b32 s4, s4, 0x7f000000
	s_flbit_i32_b32 s6, s4
	s_min_u32 s6, s6, 32
	v_sub_u32_e64 v3, s6, 4 clamp
	v_readfirstlane_b32 s7, v3
	s_lshl_b32 s8, s4, s7
	s_add_i32 s6, s4, 0x1000000
	s_lshr_b32 s8, s8, 4
	s_lshl_b32 s7, s7, 23
	s_ashr_i32 s6, s6, 8
	s_sub_i32 s7, s8, s7
	s_and_b32 s6, s6, 0x7f800000
	s_add_i32 s7, s7, 0x3c000000
	s_or_b32 s6, s7, s6
	s_cmp_lg_u32 s4, 0
	s_cselect_b32 s4, s6, 0
	s_or_b32 s4, s4, s5
	v_cvt_f64_f32_e32 v[3:4], s4
	s_mov_b64 s[4:5], 0
	global_store_dwordx2 v[1:2], v[3:4], off
.LBB135_890:
	s_andn2_b64 vcc, exec, s[4:5]
	s_cbranch_vccnz .LBB135_892
; %bb.891:
	s_lshl_b32 s4, s12, 24
	s_and_b32 s5, s4, 0x80000000
	s_and_b32 s4, s4, 0x7f000000
	s_flbit_i32_b32 s6, s4
	s_min_u32 s6, s6, 32
	v_sub_u32_e64 v3, s6, 4 clamp
	v_readfirstlane_b32 s7, v3
	s_lshl_b32 s8, s4, s7
	s_add_i32 s6, s4, 0x1000000
	s_lshr_b32 s8, s8, 4
	s_lshl_b32 s7, s7, 23
	s_ashr_i32 s6, s6, 8
	s_sub_i32 s7, s8, s7
	s_and_b32 s6, s6, 0x7f800000
	s_add_i32 s7, s7, 0x3c000000
	s_or_b32 s6, s7, s6
	s_cmp_lg_u32 s4, 0
	s_cselect_b32 s4, s6, 0
	s_or_b32 s4, s4, s5
	v_mov_b32_e32 v3, s4
	global_store_dword v[1:2], v3, off
.LBB135_892:
	s_mov_b64 s[4:5], 0
.LBB135_893:
	s_andn2_b64 vcc, exec, s[4:5]
	s_cbranch_vccnz .LBB135_895
; %bb.894:
	s_lshl_b32 s4, s12, 24
	s_and_b32 s5, s4, 0x80000000
	s_and_b32 s4, s4, 0x7f000000
	s_flbit_i32_b32 s6, s4
	s_min_u32 s6, s6, 32
	v_sub_u32_e64 v3, s6, 4 clamp
	v_readfirstlane_b32 s7, v3
	s_lshl_b32 s8, s4, s7
	s_add_i32 s6, s4, 0x1000000
	s_lshr_b32 s8, s8, 4
	s_lshl_b32 s7, s7, 23
	s_ashr_i32 s6, s6, 8
	s_sub_i32 s7, s8, s7
	s_and_b32 s6, s6, 0x7f800000
	s_add_i32 s7, s7, 0x3c000000
	s_or_b32 s6, s7, s6
	s_cmp_lg_u32 s4, 0
	s_cselect_b32 s4, s6, 0
	s_or_b32 s4, s4, s5
	v_cvt_f16_f32_e32 v3, s4
	global_store_short v[1:2], v3, off
.LBB135_895:
	s_mov_b64 s[4:5], 0
.LBB135_896:
	s_andn2_b64 vcc, exec, s[4:5]
	s_cbranch_vccnz .LBB135_912
; %bb.897:
	s_cmp_lt_i32 s14, 2
	s_mov_b64 s[4:5], -1
	s_cbranch_scc1 .LBB135_907
; %bb.898:
	s_cmp_lt_i32 s14, 3
	s_cbranch_scc1 .LBB135_904
; %bb.899:
	s_cmp_gt_i32 s14, 3
	s_cbranch_scc0 .LBB135_901
; %bb.900:
	s_lshl_b32 s4, s12, 24
	s_and_b32 s5, s4, 0x80000000
	s_and_b32 s4, s4, 0x7f000000
	s_flbit_i32_b32 s6, s4
	s_min_u32 s6, s6, 32
	v_sub_u32_e64 v3, s6, 4 clamp
	v_readfirstlane_b32 s7, v3
	s_lshl_b32 s8, s4, s7
	s_add_i32 s6, s4, 0x1000000
	s_lshr_b32 s8, s8, 4
	s_lshl_b32 s7, s7, 23
	s_ashr_i32 s6, s6, 8
	s_sub_i32 s7, s8, s7
	s_and_b32 s6, s6, 0x7f800000
	s_add_i32 s7, s7, 0x3c000000
	s_or_b32 s6, s7, s6
	s_cmp_lg_u32 s4, 0
	s_cselect_b32 s4, s6, 0
	s_or_b32 s4, s4, s5
	v_trunc_f32_e32 v3, s4
	s_mov_b32 s4, 0x2f800000
	v_mul_f32_e64 v4, |v3|, s4
	v_floor_f32_e32 v4, v4
	s_mov_b32 s4, 0xcf800000
	v_fma_f32 v5, v4, s4, |v3|
	v_cvt_u32_f32_e32 v5, v5
	v_cvt_u32_f32_e32 v4, v4
	v_ashrrev_i32_e32 v6, 31, v3
	s_mov_b64 s[4:5], 0
	v_xor_b32_e32 v3, v5, v6
	v_xor_b32_e32 v4, v4, v6
	v_sub_co_u32_e32 v3, vcc, v3, v6
	v_subb_co_u32_e32 v4, vcc, v4, v6, vcc
	global_store_dwordx2 v[1:2], v[3:4], off
.LBB135_901:
	s_andn2_b64 vcc, exec, s[4:5]
	s_cbranch_vccnz .LBB135_903
; %bb.902:
	s_lshl_b32 s4, s12, 24
	s_and_b32 s5, s4, 0x80000000
	s_and_b32 s4, s4, 0x7f000000
	s_flbit_i32_b32 s6, s4
	s_min_u32 s6, s6, 32
	v_sub_u32_e64 v3, s6, 4 clamp
	v_readfirstlane_b32 s7, v3
	s_lshl_b32 s8, s4, s7
	s_add_i32 s6, s4, 0x1000000
	s_lshr_b32 s8, s8, 4
	s_lshl_b32 s7, s7, 23
	s_ashr_i32 s6, s6, 8
	s_sub_i32 s7, s8, s7
	s_and_b32 s6, s6, 0x7f800000
	s_add_i32 s7, s7, 0x3c000000
	s_or_b32 s6, s7, s6
	s_cmp_lg_u32 s4, 0
	s_cselect_b32 s4, s6, 0
	s_or_b32 s4, s4, s5
	v_cvt_i32_f32_e32 v3, s4
	global_store_dword v[1:2], v3, off
.LBB135_903:
	s_mov_b64 s[4:5], 0
.LBB135_904:
	s_andn2_b64 vcc, exec, s[4:5]
	s_cbranch_vccnz .LBB135_906
; %bb.905:
	s_lshl_b32 s4, s12, 24
	s_and_b32 s5, s4, 0x80000000
	s_and_b32 s4, s4, 0x7f000000
	s_flbit_i32_b32 s6, s4
	s_min_u32 s6, s6, 32
	v_sub_u32_e64 v3, s6, 4 clamp
	v_readfirstlane_b32 s7, v3
	s_lshl_b32 s8, s4, s7
	s_add_i32 s6, s4, 0x1000000
	s_lshr_b32 s8, s8, 4
	s_lshl_b32 s7, s7, 23
	s_ashr_i32 s6, s6, 8
	s_sub_i32 s7, s8, s7
	s_and_b32 s6, s6, 0x7f800000
	s_add_i32 s7, s7, 0x3c000000
	s_or_b32 s6, s7, s6
	s_cmp_lg_u32 s4, 0
	s_cselect_b32 s4, s6, 0
	s_or_b32 s4, s4, s5
	v_cvt_i32_f32_e32 v3, s4
	global_store_short v[1:2], v3, off
.LBB135_906:
	s_mov_b64 s[4:5], 0
.LBB135_907:
	s_andn2_b64 vcc, exec, s[4:5]
	s_cbranch_vccnz .LBB135_912
; %bb.908:
	s_cmp_gt_i32 s14, 0
	s_mov_b64 s[4:5], -1
	s_cbranch_scc0 .LBB135_910
; %bb.909:
	s_lshl_b32 s4, s12, 24
	s_and_b32 s5, s4, 0x80000000
	s_and_b32 s4, s4, 0x7f000000
	s_flbit_i32_b32 s6, s4
	s_min_u32 s6, s6, 32
	v_sub_u32_e64 v3, s6, 4 clamp
	v_readfirstlane_b32 s7, v3
	s_lshl_b32 s8, s4, s7
	s_add_i32 s6, s4, 0x1000000
	s_lshr_b32 s8, s8, 4
	s_lshl_b32 s7, s7, 23
	s_ashr_i32 s6, s6, 8
	s_sub_i32 s7, s8, s7
	s_and_b32 s6, s6, 0x7f800000
	s_add_i32 s7, s7, 0x3c000000
	s_or_b32 s6, s7, s6
	s_cmp_lg_u32 s4, 0
	s_cselect_b32 s4, s6, 0
	s_or_b32 s4, s4, s5
	v_cvt_i32_f32_e32 v3, s4
	s_mov_b64 s[4:5], 0
	global_store_byte v[1:2], v3, off
.LBB135_910:
	s_andn2_b64 vcc, exec, s[4:5]
	s_cbranch_vccnz .LBB135_912
; %bb.911:
	s_lshl_b32 s4, s12, 24
	s_and_b32 s5, s4, 0x80000000
	s_and_b32 s4, s4, 0x7f000000
	s_flbit_i32_b32 s6, s4
	s_min_u32 s6, s6, 32
	v_sub_u32_e64 v3, s6, 4 clamp
	v_readfirstlane_b32 s7, v3
	s_lshl_b32 s8, s4, s7
	s_add_i32 s6, s4, 0x1000000
	s_lshr_b32 s8, s8, 4
	s_lshl_b32 s7, s7, 23
	s_ashr_i32 s6, s6, 8
	s_sub_i32 s7, s8, s7
	s_and_b32 s6, s6, 0x7f800000
	s_add_i32 s7, s7, 0x3c000000
	s_or_b32 s6, s7, s6
	s_cmp_lg_u32 s4, 0
	s_cselect_b32 s4, s6, 0
	s_or_b32 s4, s4, s5
	v_trunc_f32_e32 v3, s4
	s_mov_b32 s4, 0x2f800000
	v_mul_f32_e64 v4, |v3|, s4
	v_floor_f32_e32 v4, v4
	s_mov_b32 s4, 0xcf800000
	v_fma_f32 v4, v4, s4, |v3|
	v_cvt_u32_f32_e32 v4, v4
	v_ashrrev_i32_e32 v3, 31, v3
	v_xor_b32_e32 v4, v4, v3
	v_sub_u32_e32 v3, v4, v3
	global_store_byte v[1:2], v3, off
.LBB135_912:
	s_branch .LBB135_782
.LBB135_913:
	s_mov_b64 s[2:3], 0
	s_mov_b64 s[4:5], 0
                                        ; implicit-def: $sgpr13
                                        ; implicit-def: $vgpr0_vgpr1
.LBB135_914:
	s_and_b64 s[6:7], s[4:5], exec
	s_andn2_b64 s[4:5], s[20:21], exec
	s_and_b64 s[0:1], s[0:1], exec
	s_and_b64 s[2:3], s[2:3], exec
	s_or_b64 s[20:21], s[4:5], s[0:1]
.LBB135_915:
	s_or_b64 exec, exec, s[22:23]
	s_and_saveexec_b64 s[0:1], s[20:21]
	s_cbranch_execz .LBB135_918
; %bb.916:
	; divergent unreachable
	s_or_b64 exec, exec, s[0:1]
	s_and_saveexec_b64 s[0:1], s[6:7]
	s_xor_b64 s[0:1], exec, s[0:1]
	s_cbranch_execnz .LBB135_919
.LBB135_917:
	s_or_b64 exec, exec, s[0:1]
	s_and_saveexec_b64 s[0:1], s[2:3]
	s_cbranch_execnz .LBB135_920
	s_branch .LBB135_957
.LBB135_918:
	s_or_b64 exec, exec, s[0:1]
	s_and_saveexec_b64 s[0:1], s[6:7]
	s_xor_b64 s[0:1], exec, s[0:1]
	s_cbranch_execz .LBB135_917
.LBB135_919:
	s_and_b32 s4, s12, 0x7f
	s_cmp_lg_u32 s4, 0
	s_cselect_b64 s[4:5], -1, 0
	v_cndmask_b32_e64 v2, 0, 1, s[4:5]
	global_store_byte v[0:1], v2, off
	s_or_b64 exec, exec, s[0:1]
	s_and_saveexec_b64 s[0:1], s[2:3]
	s_cbranch_execz .LBB135_957
.LBB135_920:
	s_sext_i32_i16 s2, s13
	s_cmp_lt_i32 s2, 5
	s_mov_b64 s[0:1], -1
	s_cbranch_scc1 .LBB135_941
; %bb.921:
	s_cmp_lt_i32 s2, 8
	s_cbranch_scc1 .LBB135_931
; %bb.922:
	s_cmp_lt_i32 s2, 9
	s_cbranch_scc1 .LBB135_928
; %bb.923:
	s_cmp_gt_i32 s2, 9
	s_cbranch_scc0 .LBB135_925
; %bb.924:
	s_lshl_b32 s0, s12, 24
	s_and_b32 s1, s0, 0x80000000
	s_and_b32 s0, s0, 0x7f000000
	s_flbit_i32_b32 s2, s0
	s_min_u32 s2, s2, 32
	v_sub_u32_e64 v2, s2, 4 clamp
	v_readfirstlane_b32 s3, v2
	s_lshl_b32 s4, s0, s3
	s_add_i32 s2, s0, 0x1000000
	s_lshr_b32 s4, s4, 4
	s_lshl_b32 s3, s3, 23
	s_ashr_i32 s2, s2, 8
	s_sub_i32 s3, s4, s3
	s_and_b32 s2, s2, 0x7f800000
	s_add_i32 s3, s3, 0x3c000000
	s_or_b32 s2, s3, s2
	s_cmp_lg_u32 s0, 0
	s_cselect_b32 s0, s2, 0
	s_or_b32 s0, s0, s1
	v_cvt_f64_f32_e32 v[2:3], s0
	v_mov_b32_e32 v4, 0
	v_mov_b32_e32 v5, v4
	s_mov_b64 s[0:1], 0
	global_store_dwordx4 v[0:1], v[2:5], off
.LBB135_925:
	s_andn2_b64 vcc, exec, s[0:1]
	s_cbranch_vccnz .LBB135_927
; %bb.926:
	s_lshl_b32 s0, s12, 24
	s_and_b32 s1, s0, 0x80000000
	s_and_b32 s0, s0, 0x7f000000
	s_flbit_i32_b32 s2, s0
	s_min_u32 s2, s2, 32
	v_sub_u32_e64 v2, s2, 4 clamp
	v_readfirstlane_b32 s3, v2
	s_lshl_b32 s4, s0, s3
	s_add_i32 s2, s0, 0x1000000
	s_lshr_b32 s4, s4, 4
	s_lshl_b32 s3, s3, 23
	s_ashr_i32 s2, s2, 8
	s_sub_i32 s3, s4, s3
	s_and_b32 s2, s2, 0x7f800000
	s_add_i32 s3, s3, 0x3c000000
	s_or_b32 s2, s3, s2
	s_cmp_lg_u32 s0, 0
	s_cselect_b32 s0, s2, 0
	s_or_b32 s0, s0, s1
	v_mov_b32_e32 v2, s0
	v_mov_b32_e32 v3, 0
	global_store_dwordx2 v[0:1], v[2:3], off
.LBB135_927:
	s_mov_b64 s[0:1], 0
.LBB135_928:
	s_andn2_b64 vcc, exec, s[0:1]
	s_cbranch_vccnz .LBB135_930
; %bb.929:
	s_lshl_b32 s0, s12, 24
	s_and_b32 s1, s0, 0x80000000
	s_and_b32 s0, s0, 0x7f000000
	s_flbit_i32_b32 s2, s0
	s_min_u32 s2, s2, 32
	v_sub_u32_e64 v2, s2, 4 clamp
	v_readfirstlane_b32 s3, v2
	s_lshl_b32 s4, s0, s3
	s_add_i32 s2, s0, 0x1000000
	s_lshr_b32 s4, s4, 4
	s_lshl_b32 s3, s3, 23
	s_ashr_i32 s2, s2, 8
	s_sub_i32 s3, s4, s3
	s_and_b32 s2, s2, 0x7f800000
	s_add_i32 s3, s3, 0x3c000000
	s_or_b32 s2, s3, s2
	s_cmp_lg_u32 s0, 0
	s_cselect_b32 s0, s2, 0
	s_or_b32 s0, s0, s1
	v_cvt_f16_f32_e32 v2, s0
	global_store_dword v[0:1], v2, off
.LBB135_930:
	s_mov_b64 s[0:1], 0
.LBB135_931:
	s_andn2_b64 vcc, exec, s[0:1]
	s_cbranch_vccnz .LBB135_940
; %bb.932:
	s_sext_i32_i16 s2, s13
	s_cmp_lt_i32 s2, 6
	s_mov_b64 s[0:1], -1
	s_cbranch_scc1 .LBB135_938
; %bb.933:
	s_cmp_gt_i32 s2, 6
	s_cbranch_scc0 .LBB135_935
; %bb.934:
	s_lshl_b32 s0, s12, 24
	s_and_b32 s1, s0, 0x80000000
	s_and_b32 s0, s0, 0x7f000000
	s_flbit_i32_b32 s2, s0
	s_min_u32 s2, s2, 32
	v_sub_u32_e64 v2, s2, 4 clamp
	v_readfirstlane_b32 s3, v2
	s_lshl_b32 s4, s0, s3
	s_add_i32 s2, s0, 0x1000000
	s_lshr_b32 s4, s4, 4
	s_lshl_b32 s3, s3, 23
	s_ashr_i32 s2, s2, 8
	s_sub_i32 s3, s4, s3
	s_and_b32 s2, s2, 0x7f800000
	s_add_i32 s3, s3, 0x3c000000
	s_or_b32 s2, s3, s2
	s_cmp_lg_u32 s0, 0
	s_cselect_b32 s0, s2, 0
	s_or_b32 s0, s0, s1
	v_cvt_f64_f32_e32 v[2:3], s0
	s_mov_b64 s[0:1], 0
	global_store_dwordx2 v[0:1], v[2:3], off
.LBB135_935:
	s_andn2_b64 vcc, exec, s[0:1]
	s_cbranch_vccnz .LBB135_937
; %bb.936:
	s_lshl_b32 s0, s12, 24
	s_and_b32 s1, s0, 0x80000000
	s_and_b32 s0, s0, 0x7f000000
	s_flbit_i32_b32 s2, s0
	s_min_u32 s2, s2, 32
	v_sub_u32_e64 v2, s2, 4 clamp
	v_readfirstlane_b32 s3, v2
	s_lshl_b32 s4, s0, s3
	s_add_i32 s2, s0, 0x1000000
	s_lshr_b32 s4, s4, 4
	s_lshl_b32 s3, s3, 23
	s_ashr_i32 s2, s2, 8
	s_sub_i32 s3, s4, s3
	s_and_b32 s2, s2, 0x7f800000
	s_add_i32 s3, s3, 0x3c000000
	s_or_b32 s2, s3, s2
	s_cmp_lg_u32 s0, 0
	s_cselect_b32 s0, s2, 0
	s_or_b32 s0, s0, s1
	v_mov_b32_e32 v2, s0
	global_store_dword v[0:1], v2, off
.LBB135_937:
	s_mov_b64 s[0:1], 0
.LBB135_938:
	s_andn2_b64 vcc, exec, s[0:1]
	s_cbranch_vccnz .LBB135_940
; %bb.939:
	s_lshl_b32 s0, s12, 24
	s_and_b32 s1, s0, 0x80000000
	s_and_b32 s0, s0, 0x7f000000
	s_flbit_i32_b32 s2, s0
	s_min_u32 s2, s2, 32
	v_sub_u32_e64 v2, s2, 4 clamp
	v_readfirstlane_b32 s3, v2
	s_lshl_b32 s4, s0, s3
	s_add_i32 s2, s0, 0x1000000
	s_lshr_b32 s4, s4, 4
	s_lshl_b32 s3, s3, 23
	s_ashr_i32 s2, s2, 8
	s_sub_i32 s3, s4, s3
	s_and_b32 s2, s2, 0x7f800000
	s_add_i32 s3, s3, 0x3c000000
	s_or_b32 s2, s3, s2
	s_cmp_lg_u32 s0, 0
	s_cselect_b32 s0, s2, 0
	s_or_b32 s0, s0, s1
	v_cvt_f16_f32_e32 v2, s0
	global_store_short v[0:1], v2, off
.LBB135_940:
	s_mov_b64 s[0:1], 0
.LBB135_941:
	s_andn2_b64 vcc, exec, s[0:1]
	s_cbranch_vccnz .LBB135_957
; %bb.942:
	s_sext_i32_i16 s2, s13
	s_cmp_lt_i32 s2, 2
	s_mov_b64 s[0:1], -1
	s_cbranch_scc1 .LBB135_952
; %bb.943:
	s_cmp_lt_i32 s2, 3
	s_cbranch_scc1 .LBB135_949
; %bb.944:
	s_cmp_gt_i32 s2, 3
	s_cbranch_scc0 .LBB135_946
; %bb.945:
	s_lshl_b32 s0, s12, 24
	s_and_b32 s1, s0, 0x80000000
	s_and_b32 s0, s0, 0x7f000000
	s_flbit_i32_b32 s2, s0
	s_min_u32 s2, s2, 32
	v_sub_u32_e64 v2, s2, 4 clamp
	v_readfirstlane_b32 s3, v2
	s_lshl_b32 s4, s0, s3
	s_add_i32 s2, s0, 0x1000000
	s_lshr_b32 s4, s4, 4
	s_lshl_b32 s3, s3, 23
	s_ashr_i32 s2, s2, 8
	s_sub_i32 s3, s4, s3
	s_and_b32 s2, s2, 0x7f800000
	s_add_i32 s3, s3, 0x3c000000
	s_or_b32 s2, s3, s2
	s_cmp_lg_u32 s0, 0
	s_cselect_b32 s0, s2, 0
	s_or_b32 s0, s0, s1
	v_trunc_f32_e32 v2, s0
	s_mov_b32 s0, 0x2f800000
	v_mul_f32_e64 v3, |v2|, s0
	v_floor_f32_e32 v3, v3
	s_mov_b32 s0, 0xcf800000
	v_fma_f32 v4, v3, s0, |v2|
	v_cvt_u32_f32_e32 v4, v4
	v_cvt_u32_f32_e32 v3, v3
	v_ashrrev_i32_e32 v5, 31, v2
	s_mov_b64 s[0:1], 0
	v_xor_b32_e32 v2, v4, v5
	v_xor_b32_e32 v3, v3, v5
	v_sub_co_u32_e32 v2, vcc, v2, v5
	v_subb_co_u32_e32 v3, vcc, v3, v5, vcc
	global_store_dwordx2 v[0:1], v[2:3], off
.LBB135_946:
	s_andn2_b64 vcc, exec, s[0:1]
	s_cbranch_vccnz .LBB135_948
; %bb.947:
	s_lshl_b32 s0, s12, 24
	s_and_b32 s1, s0, 0x80000000
	s_and_b32 s0, s0, 0x7f000000
	s_flbit_i32_b32 s2, s0
	s_min_u32 s2, s2, 32
	v_sub_u32_e64 v2, s2, 4 clamp
	v_readfirstlane_b32 s3, v2
	s_lshl_b32 s4, s0, s3
	s_add_i32 s2, s0, 0x1000000
	s_lshr_b32 s4, s4, 4
	s_lshl_b32 s3, s3, 23
	s_ashr_i32 s2, s2, 8
	s_sub_i32 s3, s4, s3
	s_and_b32 s2, s2, 0x7f800000
	s_add_i32 s3, s3, 0x3c000000
	s_or_b32 s2, s3, s2
	s_cmp_lg_u32 s0, 0
	s_cselect_b32 s0, s2, 0
	s_or_b32 s0, s0, s1
	v_cvt_i32_f32_e32 v2, s0
	global_store_dword v[0:1], v2, off
.LBB135_948:
	s_mov_b64 s[0:1], 0
.LBB135_949:
	s_andn2_b64 vcc, exec, s[0:1]
	s_cbranch_vccnz .LBB135_951
; %bb.950:
	s_lshl_b32 s0, s12, 24
	s_and_b32 s1, s0, 0x80000000
	s_and_b32 s0, s0, 0x7f000000
	s_flbit_i32_b32 s2, s0
	s_min_u32 s2, s2, 32
	v_sub_u32_e64 v2, s2, 4 clamp
	v_readfirstlane_b32 s3, v2
	s_lshl_b32 s4, s0, s3
	s_add_i32 s2, s0, 0x1000000
	s_lshr_b32 s4, s4, 4
	s_lshl_b32 s3, s3, 23
	s_ashr_i32 s2, s2, 8
	s_sub_i32 s3, s4, s3
	s_and_b32 s2, s2, 0x7f800000
	s_add_i32 s3, s3, 0x3c000000
	s_or_b32 s2, s3, s2
	s_cmp_lg_u32 s0, 0
	s_cselect_b32 s0, s2, 0
	s_or_b32 s0, s0, s1
	v_cvt_i32_f32_e32 v2, s0
	global_store_short v[0:1], v2, off
.LBB135_951:
	s_mov_b64 s[0:1], 0
.LBB135_952:
	s_andn2_b64 vcc, exec, s[0:1]
	s_cbranch_vccnz .LBB135_957
; %bb.953:
	s_sext_i32_i16 s0, s13
	s_cmp_gt_i32 s0, 0
	s_mov_b64 s[0:1], -1
	s_cbranch_scc0 .LBB135_955
; %bb.954:
	s_lshl_b32 s0, s12, 24
	s_and_b32 s1, s0, 0x80000000
	s_and_b32 s0, s0, 0x7f000000
	s_flbit_i32_b32 s2, s0
	s_min_u32 s2, s2, 32
	v_sub_u32_e64 v2, s2, 4 clamp
	v_readfirstlane_b32 s3, v2
	s_lshl_b32 s4, s0, s3
	s_add_i32 s2, s0, 0x1000000
	s_lshr_b32 s4, s4, 4
	s_lshl_b32 s3, s3, 23
	s_ashr_i32 s2, s2, 8
	s_sub_i32 s3, s4, s3
	s_and_b32 s2, s2, 0x7f800000
	s_add_i32 s3, s3, 0x3c000000
	s_or_b32 s2, s3, s2
	s_cmp_lg_u32 s0, 0
	s_cselect_b32 s0, s2, 0
	s_or_b32 s0, s0, s1
	v_cvt_i32_f32_e32 v2, s0
	s_mov_b64 s[0:1], 0
	global_store_byte v[0:1], v2, off
.LBB135_955:
	s_andn2_b64 vcc, exec, s[0:1]
	s_cbranch_vccnz .LBB135_957
; %bb.956:
	s_lshl_b32 s0, s12, 24
	s_and_b32 s1, s0, 0x80000000
	s_and_b32 s0, s0, 0x7f000000
	s_flbit_i32_b32 s2, s0
	s_min_u32 s2, s2, 32
	v_sub_u32_e64 v2, s2, 4 clamp
	v_readfirstlane_b32 s3, v2
	s_lshl_b32 s4, s0, s3
	s_add_i32 s2, s0, 0x1000000
	s_lshr_b32 s4, s4, 4
	s_lshl_b32 s3, s3, 23
	s_ashr_i32 s2, s2, 8
	s_sub_i32 s3, s4, s3
	s_and_b32 s2, s2, 0x7f800000
	s_add_i32 s3, s3, 0x3c000000
	s_or_b32 s2, s3, s2
	s_cmp_lg_u32 s0, 0
	s_cselect_b32 s0, s2, 0
	s_or_b32 s0, s0, s1
	v_trunc_f32_e32 v2, s0
	s_mov_b32 s0, 0x2f800000
	v_mul_f32_e64 v3, |v2|, s0
	v_floor_f32_e32 v3, v3
	s_mov_b32 s0, 0xcf800000
	v_fma_f32 v3, v3, s0, |v2|
	v_cvt_u32_f32_e32 v3, v3
	v_ashrrev_i32_e32 v2, 31, v2
	v_xor_b32_e32 v3, v3, v2
	v_sub_u32_e32 v2, v3, v2
	global_store_byte v[0:1], v2, off
	s_endpgm
.LBB135_957:
	s_endpgm
.LBB135_958:
	s_trap 2
	s_or_b64 s[0:1], s[0:1], exec
	s_cbranch_execz .LBB135_873
	s_branch .LBB135_874
.LBB135_959:
	s_mov_b64 s[6:7], -1
	s_mov_b64 s[4:5], 0
                                        ; implicit-def: $sgpr9
.LBB135_960:
	s_andn2_b64 vcc, exec, s[6:7]
	v_mov_b32_e32 v2, s9
	s_cbranch_vccnz .LBB135_962
; %bb.961:
	v_mov_b32_e32 v2, 0x42800000
	v_add_f32_e64 v2, |s8|, v2
	v_and_b32_e32 v2, 0xff, v2
	v_cmp_ne_u32_e64 s[4:5], 0, v2
.LBB135_962:
	s_andn2_b64 vcc, exec, s[4:5]
	v_mov_b32_e32 v3, 0
	s_cbranch_vccnz .LBB135_964
; %bb.963:
	s_lshr_b32 s4, s8, 24
	s_and_b32 s4, s4, 0x80
	v_or_b32_e32 v3, s4, v2
.LBB135_964:
	s_mov_b64 s[4:5], 0
	global_store_byte v[0:1], v3, off
.LBB135_965:
	s_and_b64 vcc, exec, s[4:5]
	s_cbranch_vccz .LBB135_967
; %bb.966:
	v_mov_b32_e32 v2, s12
	global_store_byte v[0:1], v2, off
.LBB135_967:
	s_mov_b64 s[4:5], 0
.LBB135_968:
	s_andn2_b64 vcc, exec, s[4:5]
	s_cbranch_vccnz .LBB135_980
; %bb.969:
	s_lshl_b32 s4, s12, 24
	s_and_b32 s5, s4, 0x80000000
	s_and_b32 s4, s4, 0x7f000000
	s_flbit_i32_b32 s6, s4
	s_min_u32 s6, s6, 32
	v_sub_u32_e64 v2, s6, 4 clamp
	v_readfirstlane_b32 s7, v2
	s_lshl_b32 s8, s4, s7
	s_add_i32 s6, s4, 0x1000000
	s_lshr_b32 s8, s8, 4
	s_lshl_b32 s7, s7, 23
	s_ashr_i32 s6, s6, 8
	s_sub_i32 s7, s8, s7
	s_and_b32 s6, s6, 0x7f800000
	s_add_i32 s7, s7, 0x3c000000
	s_or_b32 s6, s7, s6
	s_cmp_lg_u32 s4, 0
	s_cselect_b32 s4, s6, 0
	s_or_b32 s6, s4, s5
	s_and_b32 s7, s6, 0x7fffffff
	s_cmp_lt_u32 s7, 0x47800000
	s_cbranch_scc0 .LBB135_972
; %bb.970:
	s_cmp_gt_u32 s7, 0x387fffff
	s_cbranch_scc0 .LBB135_973
; %bb.971:
	s_bfe_u32 s4, s4, 0x10015
	s_add_i32 s4, s6, s4
	s_add_i32 s4, s4, 0x80fffff
	s_lshr_b32 s8, s4, 21
	s_mov_b64 s[4:5], 0
	s_branch .LBB135_974
.LBB135_972:
	s_mov_b64 s[4:5], -1
                                        ; implicit-def: $vgpr2
	s_branch .LBB135_977
.LBB135_973:
	s_mov_b64 s[4:5], -1
                                        ; implicit-def: $sgpr8
.LBB135_974:
	s_andn2_b64 vcc, exec, s[4:5]
	v_mov_b32_e32 v2, s8
	s_cbranch_vccnz .LBB135_976
; %bb.975:
	v_mov_b32_e32 v2, 0x43000000
	v_add_f32_e64 v2, |s6|, v2
.LBB135_976:
	s_mov_b64 s[4:5], 0
.LBB135_977:
	s_andn2_b64 vcc, exec, s[4:5]
	s_cbranch_vccnz .LBB135_979
; %bb.978:
	s_cmp_gt_u32 s7, 0x7f800000
	s_movk_i32 s4, 0x7f
	s_cselect_b32 s4, s4, 0x7c
	v_mov_b32_e32 v2, s4
.LBB135_979:
	s_lshr_b32 s4, s6, 24
	s_and_b32 s4, s4, 0x80
	v_or_b32_e32 v2, s4, v2
	global_store_byte v[0:1], v2, off
.LBB135_980:
	s_mov_b64 s[4:5], 0
.LBB135_981:
	s_andn2_b64 vcc, exec, s[4:5]
	s_mov_b64 s[4:5], 0
	s_cbranch_vccnz .LBB135_988
; %bb.982:
	s_cmp_gt_i32 s14, 14
	s_mov_b64 s[6:7], -1
	s_cbranch_scc0 .LBB135_986
; %bb.983:
	s_cmp_eq_u32 s14, 15
	s_mov_b64 s[2:3], -1
	s_cbranch_scc0 .LBB135_985
; %bb.984:
	s_lshl_b32 s2, s12, 24
	s_and_b32 s3, s2, 0x80000000
	s_and_b32 s2, s2, 0x7f000000
	s_flbit_i32_b32 s4, s2
	s_min_u32 s4, s4, 32
	v_sub_u32_e64 v2, s4, 4 clamp
	v_readfirstlane_b32 s5, v2
	s_lshl_b32 s6, s2, s5
	s_add_i32 s4, s2, 0x1000000
	s_lshr_b32 s6, s6, 4
	s_lshl_b32 s5, s5, 23
	s_ashr_i32 s4, s4, 8
	s_sub_i32 s5, s6, s5
	s_and_b32 s4, s4, 0x7f800000
	s_add_i32 s5, s5, 0x3c000000
	s_or_b32 s4, s5, s4
	s_cmp_lg_u32 s2, 0
	s_cselect_b32 s2, s4, 0
	s_or_b32 s3, s2, s3
	s_bfe_u32 s2, s2, 0x10010
	s_add_i32 s2, s3, s2
	s_addk_i32 s2, 0x7fff
	s_lshr_b32 s4, s2, 16
	v_cmp_o_f32_e64 s[2:3], s3, s3
	s_and_b64 s[2:3], s[2:3], exec
	s_cselect_b32 s2, s4, 0x7fc0
	v_mov_b32_e32 v2, s2
	global_store_short v[0:1], v2, off
	s_mov_b64 s[2:3], 0
.LBB135_985:
	s_mov_b64 s[6:7], 0
.LBB135_986:
	s_mov_b64 s[4:5], 0
	s_and_b64 vcc, exec, s[6:7]
	s_cbranch_vccz .LBB135_988
; %bb.987:
	s_cmp_lg_u32 s14, 11
	s_mov_b64 s[4:5], -1
	s_cselect_b64 s[2:3], -1, 0
.LBB135_988:
	s_and_b64 vcc, exec, s[2:3]
	s_cbranch_vccnz .LBB135_990
.LBB135_989:
	s_mov_b64 s[2:3], 0
	s_branch .LBB135_914
.LBB135_990:
	s_mov_b64 s[4:5], 0
	s_or_b64 s[0:1], s[0:1], exec
	s_trap 2
	s_branch .LBB135_989
	.section	.rodata,"a",@progbits
	.p2align	6, 0x0
	.amdhsa_kernel _ZN2at6native32elementwise_kernel_manual_unrollILi128ELi4EZNS0_15gpu_kernel_implINS0_11FillFunctorIN3c1013Float8_e4m3fnEEEEEvRNS_18TensorIteratorBaseERKT_EUlibE0_EEviT1_
		.amdhsa_group_segment_fixed_size 0
		.amdhsa_private_segment_fixed_size 0
		.amdhsa_kernarg_size 288
		.amdhsa_user_sgpr_count 6
		.amdhsa_user_sgpr_private_segment_buffer 1
		.amdhsa_user_sgpr_dispatch_ptr 0
		.amdhsa_user_sgpr_queue_ptr 0
		.amdhsa_user_sgpr_kernarg_segment_ptr 1
		.amdhsa_user_sgpr_dispatch_id 0
		.amdhsa_user_sgpr_flat_scratch_init 0
		.amdhsa_user_sgpr_private_segment_size 0
		.amdhsa_uses_dynamic_stack 0
		.amdhsa_system_sgpr_private_segment_wavefront_offset 0
		.amdhsa_system_sgpr_workgroup_id_x 1
		.amdhsa_system_sgpr_workgroup_id_y 0
		.amdhsa_system_sgpr_workgroup_id_z 0
		.amdhsa_system_sgpr_workgroup_info 0
		.amdhsa_system_vgpr_workitem_id 0
		.amdhsa_next_free_vgpr 22
		.amdhsa_next_free_sgpr 90
		.amdhsa_reserve_vcc 1
		.amdhsa_reserve_flat_scratch 0
		.amdhsa_float_round_mode_32 0
		.amdhsa_float_round_mode_16_64 0
		.amdhsa_float_denorm_mode_32 3
		.amdhsa_float_denorm_mode_16_64 3
		.amdhsa_dx10_clamp 1
		.amdhsa_ieee_mode 1
		.amdhsa_fp16_overflow 0
		.amdhsa_exception_fp_ieee_invalid_op 0
		.amdhsa_exception_fp_denorm_src 0
		.amdhsa_exception_fp_ieee_div_zero 0
		.amdhsa_exception_fp_ieee_overflow 0
		.amdhsa_exception_fp_ieee_underflow 0
		.amdhsa_exception_fp_ieee_inexact 0
		.amdhsa_exception_int_div_zero 0
	.end_amdhsa_kernel
	.section	.text._ZN2at6native32elementwise_kernel_manual_unrollILi128ELi4EZNS0_15gpu_kernel_implINS0_11FillFunctorIN3c1013Float8_e4m3fnEEEEEvRNS_18TensorIteratorBaseERKT_EUlibE0_EEviT1_,"axG",@progbits,_ZN2at6native32elementwise_kernel_manual_unrollILi128ELi4EZNS0_15gpu_kernel_implINS0_11FillFunctorIN3c1013Float8_e4m3fnEEEEEvRNS_18TensorIteratorBaseERKT_EUlibE0_EEviT1_,comdat
.Lfunc_end135:
	.size	_ZN2at6native32elementwise_kernel_manual_unrollILi128ELi4EZNS0_15gpu_kernel_implINS0_11FillFunctorIN3c1013Float8_e4m3fnEEEEEvRNS_18TensorIteratorBaseERKT_EUlibE0_EEviT1_, .Lfunc_end135-_ZN2at6native32elementwise_kernel_manual_unrollILi128ELi4EZNS0_15gpu_kernel_implINS0_11FillFunctorIN3c1013Float8_e4m3fnEEEEEvRNS_18TensorIteratorBaseERKT_EUlibE0_EEviT1_
                                        ; -- End function
	.set _ZN2at6native32elementwise_kernel_manual_unrollILi128ELi4EZNS0_15gpu_kernel_implINS0_11FillFunctorIN3c1013Float8_e4m3fnEEEEEvRNS_18TensorIteratorBaseERKT_EUlibE0_EEviT1_.num_vgpr, 22
	.set _ZN2at6native32elementwise_kernel_manual_unrollILi128ELi4EZNS0_15gpu_kernel_implINS0_11FillFunctorIN3c1013Float8_e4m3fnEEEEEvRNS_18TensorIteratorBaseERKT_EUlibE0_EEviT1_.num_agpr, 0
	.set _ZN2at6native32elementwise_kernel_manual_unrollILi128ELi4EZNS0_15gpu_kernel_implINS0_11FillFunctorIN3c1013Float8_e4m3fnEEEEEvRNS_18TensorIteratorBaseERKT_EUlibE0_EEviT1_.numbered_sgpr, 90
	.set _ZN2at6native32elementwise_kernel_manual_unrollILi128ELi4EZNS0_15gpu_kernel_implINS0_11FillFunctorIN3c1013Float8_e4m3fnEEEEEvRNS_18TensorIteratorBaseERKT_EUlibE0_EEviT1_.num_named_barrier, 0
	.set _ZN2at6native32elementwise_kernel_manual_unrollILi128ELi4EZNS0_15gpu_kernel_implINS0_11FillFunctorIN3c1013Float8_e4m3fnEEEEEvRNS_18TensorIteratorBaseERKT_EUlibE0_EEviT1_.private_seg_size, 0
	.set _ZN2at6native32elementwise_kernel_manual_unrollILi128ELi4EZNS0_15gpu_kernel_implINS0_11FillFunctorIN3c1013Float8_e4m3fnEEEEEvRNS_18TensorIteratorBaseERKT_EUlibE0_EEviT1_.uses_vcc, 1
	.set _ZN2at6native32elementwise_kernel_manual_unrollILi128ELi4EZNS0_15gpu_kernel_implINS0_11FillFunctorIN3c1013Float8_e4m3fnEEEEEvRNS_18TensorIteratorBaseERKT_EUlibE0_EEviT1_.uses_flat_scratch, 0
	.set _ZN2at6native32elementwise_kernel_manual_unrollILi128ELi4EZNS0_15gpu_kernel_implINS0_11FillFunctorIN3c1013Float8_e4m3fnEEEEEvRNS_18TensorIteratorBaseERKT_EUlibE0_EEviT1_.has_dyn_sized_stack, 0
	.set _ZN2at6native32elementwise_kernel_manual_unrollILi128ELi4EZNS0_15gpu_kernel_implINS0_11FillFunctorIN3c1013Float8_e4m3fnEEEEEvRNS_18TensorIteratorBaseERKT_EUlibE0_EEviT1_.has_recursion, 0
	.set _ZN2at6native32elementwise_kernel_manual_unrollILi128ELi4EZNS0_15gpu_kernel_implINS0_11FillFunctorIN3c1013Float8_e4m3fnEEEEEvRNS_18TensorIteratorBaseERKT_EUlibE0_EEviT1_.has_indirect_call, 0
	.section	.AMDGPU.csdata,"",@progbits
; Kernel info:
; codeLenInByte = 24528
; TotalNumSgprs: 94
; NumVgprs: 22
; ScratchSize: 0
; MemoryBound: 0
; FloatMode: 240
; IeeeMode: 1
; LDSByteSize: 0 bytes/workgroup (compile time only)
; SGPRBlocks: 11
; VGPRBlocks: 5
; NumSGPRsForWavesPerEU: 94
; NumVGPRsForWavesPerEU: 22
; Occupancy: 8
; WaveLimiterHint : 1
; COMPUTE_PGM_RSRC2:SCRATCH_EN: 0
; COMPUTE_PGM_RSRC2:USER_SGPR: 6
; COMPUTE_PGM_RSRC2:TRAP_HANDLER: 0
; COMPUTE_PGM_RSRC2:TGID_X_EN: 1
; COMPUTE_PGM_RSRC2:TGID_Y_EN: 0
; COMPUTE_PGM_RSRC2:TGID_Z_EN: 0
; COMPUTE_PGM_RSRC2:TIDIG_COMP_CNT: 0
	.section	.text._ZN2at6native29vectorized_elementwise_kernelILi16ENS0_11FillFunctorIN3c1015Float8_e4m3fnuzEEESt5arrayIPcLm1EEEEviT0_T1_,"axG",@progbits,_ZN2at6native29vectorized_elementwise_kernelILi16ENS0_11FillFunctorIN3c1015Float8_e4m3fnuzEEESt5arrayIPcLm1EEEEviT0_T1_,comdat
	.protected	_ZN2at6native29vectorized_elementwise_kernelILi16ENS0_11FillFunctorIN3c1015Float8_e4m3fnuzEEESt5arrayIPcLm1EEEEviT0_T1_ ; -- Begin function _ZN2at6native29vectorized_elementwise_kernelILi16ENS0_11FillFunctorIN3c1015Float8_e4m3fnuzEEESt5arrayIPcLm1EEEEviT0_T1_
	.globl	_ZN2at6native29vectorized_elementwise_kernelILi16ENS0_11FillFunctorIN3c1015Float8_e4m3fnuzEEESt5arrayIPcLm1EEEEviT0_T1_
	.p2align	8
	.type	_ZN2at6native29vectorized_elementwise_kernelILi16ENS0_11FillFunctorIN3c1015Float8_e4m3fnuzEEESt5arrayIPcLm1EEEEviT0_T1_,@function
_ZN2at6native29vectorized_elementwise_kernelILi16ENS0_11FillFunctorIN3c1015Float8_e4m3fnuzEEESt5arrayIPcLm1EEEEviT0_T1_: ; @_ZN2at6native29vectorized_elementwise_kernelILi16ENS0_11FillFunctorIN3c1015Float8_e4m3fnuzEEESt5arrayIPcLm1EEEEviT0_T1_
; %bb.0:
	s_load_dwordx4 s[0:3], s[4:5], 0x0
	s_lshl_b32 s6, s6, 12
	s_mov_b64 s[4:5], -1
	s_waitcnt lgkmcnt(0)
	s_sub_i32 s0, s0, s6
	s_cmpk_gt_i32 s0, 0xfff
	s_cbranch_scc0 .LBB136_2
; %bb.1:
	s_ashr_i32 s5, s6, 31
	s_add_u32 s4, s2, s6
	s_addc_u32 s5, s3, s5
	s_lshl_b32 s7, s1, 8
	s_and_b32 s8, s1, 0xff
	s_or_b32 s7, s8, s7
	s_and_b32 s8, s7, 0xffff
	s_lshl_b32 s7, s7, 16
	s_or_b32 s7, s8, s7
	v_lshlrev_b32_e32 v5, 4, v0
	v_mov_b32_e32 v1, s7
	v_mov_b32_e32 v2, s7
	;; [unrolled: 1-line block ×4, first 2 shown]
	global_store_dwordx4 v5, v[1:4], s[4:5]
	s_mov_b64 s[4:5], 0
.LBB136_2:
	s_andn2_b64 vcc, exec, s[4:5]
	s_cbranch_vccnz .LBB136_20
; %bb.3:
	v_cmp_gt_i32_e32 vcc, s0, v0
	s_and_saveexec_b64 s[4:5], vcc
	s_cbranch_execnz .LBB136_21
; %bb.4:
	s_or_b64 exec, exec, s[4:5]
	v_cmp_gt_i32_e32 vcc, s0, v0
	s_and_saveexec_b64 s[4:5], vcc
	s_cbranch_execnz .LBB136_22
.LBB136_5:
	s_or_b64 exec, exec, s[4:5]
	v_cmp_gt_i32_e32 vcc, s0, v0
	s_and_saveexec_b64 s[4:5], vcc
	s_cbranch_execnz .LBB136_23
.LBB136_6:
	s_or_b64 exec, exec, s[4:5]
	v_cmp_gt_i32_e32 vcc, s0, v0
	s_and_saveexec_b64 s[4:5], vcc
	s_cbranch_execnz .LBB136_24
.LBB136_7:
	s_or_b64 exec, exec, s[4:5]
	v_cmp_gt_i32_e32 vcc, s0, v0
	s_and_saveexec_b64 s[4:5], vcc
	s_cbranch_execnz .LBB136_25
.LBB136_8:
	s_or_b64 exec, exec, s[4:5]
	v_cmp_gt_i32_e32 vcc, s0, v0
	s_and_saveexec_b64 s[4:5], vcc
	s_cbranch_execnz .LBB136_26
.LBB136_9:
	s_or_b64 exec, exec, s[4:5]
	v_cmp_gt_i32_e32 vcc, s0, v0
	s_and_saveexec_b64 s[4:5], vcc
	s_cbranch_execnz .LBB136_27
.LBB136_10:
	s_or_b64 exec, exec, s[4:5]
	v_cmp_gt_i32_e32 vcc, s0, v0
	s_and_saveexec_b64 s[4:5], vcc
	s_cbranch_execnz .LBB136_28
.LBB136_11:
	s_or_b64 exec, exec, s[4:5]
	v_cmp_gt_i32_e32 vcc, s0, v0
	s_and_saveexec_b64 s[4:5], vcc
	s_cbranch_execnz .LBB136_29
.LBB136_12:
	s_or_b64 exec, exec, s[4:5]
	v_cmp_gt_i32_e32 vcc, s0, v0
	s_and_saveexec_b64 s[4:5], vcc
	s_cbranch_execnz .LBB136_30
.LBB136_13:
	s_or_b64 exec, exec, s[4:5]
	v_cmp_gt_i32_e32 vcc, s0, v0
	s_and_saveexec_b64 s[4:5], vcc
	s_cbranch_execnz .LBB136_31
.LBB136_14:
	s_or_b64 exec, exec, s[4:5]
	v_cmp_gt_i32_e32 vcc, s0, v0
	s_and_saveexec_b64 s[4:5], vcc
	s_cbranch_execnz .LBB136_32
.LBB136_15:
	s_or_b64 exec, exec, s[4:5]
	v_cmp_gt_i32_e32 vcc, s0, v0
	s_and_saveexec_b64 s[4:5], vcc
	s_cbranch_execnz .LBB136_33
.LBB136_16:
	s_or_b64 exec, exec, s[4:5]
	v_cmp_gt_i32_e32 vcc, s0, v0
	s_and_saveexec_b64 s[4:5], vcc
	s_cbranch_execnz .LBB136_34
.LBB136_17:
	s_or_b64 exec, exec, s[4:5]
	v_cmp_gt_i32_e32 vcc, s0, v0
	s_and_saveexec_b64 s[4:5], vcc
	s_cbranch_execnz .LBB136_35
.LBB136_18:
	s_or_b64 exec, exec, s[4:5]
	v_cmp_gt_i32_e32 vcc, s0, v0
	s_and_saveexec_b64 s[4:5], vcc
	s_cbranch_execz .LBB136_20
.LBB136_19:
	v_add_u32_e32 v0, s6, v0
	v_mov_b32_e32 v1, s1
	global_store_byte v0, v1, s[2:3]
.LBB136_20:
	s_endpgm
.LBB136_21:
	v_or_b32_e32 v1, 0x100, v0
	v_or_b32_e32 v0, s6, v0
	v_mov_b32_e32 v2, s1
	global_store_byte v0, v2, s[2:3]
	v_mov_b32_e32 v0, v1
	s_or_b64 exec, exec, s[4:5]
	v_cmp_gt_i32_e32 vcc, s0, v0
	s_and_saveexec_b64 s[4:5], vcc
	s_cbranch_execz .LBB136_5
.LBB136_22:
	v_add_u32_e32 v1, s6, v0
	v_add_u32_e32 v0, 0x100, v0
	v_mov_b32_e32 v2, s1
	global_store_byte v1, v2, s[2:3]
	s_or_b64 exec, exec, s[4:5]
	v_cmp_gt_i32_e32 vcc, s0, v0
	s_and_saveexec_b64 s[4:5], vcc
	s_cbranch_execz .LBB136_6
.LBB136_23:
	v_add_u32_e32 v1, s6, v0
	v_add_u32_e32 v0, 0x100, v0
	v_mov_b32_e32 v2, s1
	global_store_byte v1, v2, s[2:3]
	s_or_b64 exec, exec, s[4:5]
	v_cmp_gt_i32_e32 vcc, s0, v0
	s_and_saveexec_b64 s[4:5], vcc
	s_cbranch_execz .LBB136_7
.LBB136_24:
	v_add_u32_e32 v1, s6, v0
	v_add_u32_e32 v0, 0x100, v0
	v_mov_b32_e32 v2, s1
	global_store_byte v1, v2, s[2:3]
	s_or_b64 exec, exec, s[4:5]
	v_cmp_gt_i32_e32 vcc, s0, v0
	s_and_saveexec_b64 s[4:5], vcc
	s_cbranch_execz .LBB136_8
.LBB136_25:
	v_add_u32_e32 v1, s6, v0
	v_add_u32_e32 v0, 0x100, v0
	v_mov_b32_e32 v2, s1
	global_store_byte v1, v2, s[2:3]
	s_or_b64 exec, exec, s[4:5]
	v_cmp_gt_i32_e32 vcc, s0, v0
	s_and_saveexec_b64 s[4:5], vcc
	s_cbranch_execz .LBB136_9
.LBB136_26:
	v_add_u32_e32 v1, s6, v0
	v_add_u32_e32 v0, 0x100, v0
	v_mov_b32_e32 v2, s1
	global_store_byte v1, v2, s[2:3]
	s_or_b64 exec, exec, s[4:5]
	v_cmp_gt_i32_e32 vcc, s0, v0
	s_and_saveexec_b64 s[4:5], vcc
	s_cbranch_execz .LBB136_10
.LBB136_27:
	v_add_u32_e32 v1, s6, v0
	v_add_u32_e32 v0, 0x100, v0
	v_mov_b32_e32 v2, s1
	global_store_byte v1, v2, s[2:3]
	s_or_b64 exec, exec, s[4:5]
	v_cmp_gt_i32_e32 vcc, s0, v0
	s_and_saveexec_b64 s[4:5], vcc
	s_cbranch_execz .LBB136_11
.LBB136_28:
	v_add_u32_e32 v1, s6, v0
	v_add_u32_e32 v0, 0x100, v0
	v_mov_b32_e32 v2, s1
	global_store_byte v1, v2, s[2:3]
	s_or_b64 exec, exec, s[4:5]
	v_cmp_gt_i32_e32 vcc, s0, v0
	s_and_saveexec_b64 s[4:5], vcc
	s_cbranch_execz .LBB136_12
.LBB136_29:
	v_add_u32_e32 v1, s6, v0
	v_add_u32_e32 v0, 0x100, v0
	v_mov_b32_e32 v2, s1
	global_store_byte v1, v2, s[2:3]
	s_or_b64 exec, exec, s[4:5]
	v_cmp_gt_i32_e32 vcc, s0, v0
	s_and_saveexec_b64 s[4:5], vcc
	s_cbranch_execz .LBB136_13
.LBB136_30:
	v_add_u32_e32 v1, s6, v0
	v_add_u32_e32 v0, 0x100, v0
	v_mov_b32_e32 v2, s1
	global_store_byte v1, v2, s[2:3]
	s_or_b64 exec, exec, s[4:5]
	v_cmp_gt_i32_e32 vcc, s0, v0
	s_and_saveexec_b64 s[4:5], vcc
	s_cbranch_execz .LBB136_14
.LBB136_31:
	v_add_u32_e32 v1, s6, v0
	v_add_u32_e32 v0, 0x100, v0
	v_mov_b32_e32 v2, s1
	global_store_byte v1, v2, s[2:3]
	s_or_b64 exec, exec, s[4:5]
	v_cmp_gt_i32_e32 vcc, s0, v0
	s_and_saveexec_b64 s[4:5], vcc
	s_cbranch_execz .LBB136_15
.LBB136_32:
	v_add_u32_e32 v1, s6, v0
	v_add_u32_e32 v0, 0x100, v0
	v_mov_b32_e32 v2, s1
	global_store_byte v1, v2, s[2:3]
	s_or_b64 exec, exec, s[4:5]
	v_cmp_gt_i32_e32 vcc, s0, v0
	s_and_saveexec_b64 s[4:5], vcc
	s_cbranch_execz .LBB136_16
.LBB136_33:
	v_add_u32_e32 v1, s6, v0
	v_add_u32_e32 v0, 0x100, v0
	v_mov_b32_e32 v2, s1
	global_store_byte v1, v2, s[2:3]
	s_or_b64 exec, exec, s[4:5]
	v_cmp_gt_i32_e32 vcc, s0, v0
	s_and_saveexec_b64 s[4:5], vcc
	s_cbranch_execz .LBB136_17
.LBB136_34:
	v_add_u32_e32 v1, s6, v0
	v_add_u32_e32 v0, 0x100, v0
	v_mov_b32_e32 v2, s1
	global_store_byte v1, v2, s[2:3]
	s_or_b64 exec, exec, s[4:5]
	v_cmp_gt_i32_e32 vcc, s0, v0
	s_and_saveexec_b64 s[4:5], vcc
	s_cbranch_execz .LBB136_18
.LBB136_35:
	v_add_u32_e32 v1, s6, v0
	v_add_u32_e32 v0, 0x100, v0
	v_mov_b32_e32 v2, s1
	global_store_byte v1, v2, s[2:3]
	s_or_b64 exec, exec, s[4:5]
	v_cmp_gt_i32_e32 vcc, s0, v0
	s_and_saveexec_b64 s[4:5], vcc
	s_cbranch_execnz .LBB136_19
	s_branch .LBB136_20
	.section	.rodata,"a",@progbits
	.p2align	6, 0x0
	.amdhsa_kernel _ZN2at6native29vectorized_elementwise_kernelILi16ENS0_11FillFunctorIN3c1015Float8_e4m3fnuzEEESt5arrayIPcLm1EEEEviT0_T1_
		.amdhsa_group_segment_fixed_size 0
		.amdhsa_private_segment_fixed_size 0
		.amdhsa_kernarg_size 16
		.amdhsa_user_sgpr_count 6
		.amdhsa_user_sgpr_private_segment_buffer 1
		.amdhsa_user_sgpr_dispatch_ptr 0
		.amdhsa_user_sgpr_queue_ptr 0
		.amdhsa_user_sgpr_kernarg_segment_ptr 1
		.amdhsa_user_sgpr_dispatch_id 0
		.amdhsa_user_sgpr_flat_scratch_init 0
		.amdhsa_user_sgpr_private_segment_size 0
		.amdhsa_uses_dynamic_stack 0
		.amdhsa_system_sgpr_private_segment_wavefront_offset 0
		.amdhsa_system_sgpr_workgroup_id_x 1
		.amdhsa_system_sgpr_workgroup_id_y 0
		.amdhsa_system_sgpr_workgroup_id_z 0
		.amdhsa_system_sgpr_workgroup_info 0
		.amdhsa_system_vgpr_workitem_id 0
		.amdhsa_next_free_vgpr 6
		.amdhsa_next_free_sgpr 9
		.amdhsa_reserve_vcc 1
		.amdhsa_reserve_flat_scratch 0
		.amdhsa_float_round_mode_32 0
		.amdhsa_float_round_mode_16_64 0
		.amdhsa_float_denorm_mode_32 3
		.amdhsa_float_denorm_mode_16_64 3
		.amdhsa_dx10_clamp 1
		.amdhsa_ieee_mode 1
		.amdhsa_fp16_overflow 0
		.amdhsa_exception_fp_ieee_invalid_op 0
		.amdhsa_exception_fp_denorm_src 0
		.amdhsa_exception_fp_ieee_div_zero 0
		.amdhsa_exception_fp_ieee_overflow 0
		.amdhsa_exception_fp_ieee_underflow 0
		.amdhsa_exception_fp_ieee_inexact 0
		.amdhsa_exception_int_div_zero 0
	.end_amdhsa_kernel
	.section	.text._ZN2at6native29vectorized_elementwise_kernelILi16ENS0_11FillFunctorIN3c1015Float8_e4m3fnuzEEESt5arrayIPcLm1EEEEviT0_T1_,"axG",@progbits,_ZN2at6native29vectorized_elementwise_kernelILi16ENS0_11FillFunctorIN3c1015Float8_e4m3fnuzEEESt5arrayIPcLm1EEEEviT0_T1_,comdat
.Lfunc_end136:
	.size	_ZN2at6native29vectorized_elementwise_kernelILi16ENS0_11FillFunctorIN3c1015Float8_e4m3fnuzEEESt5arrayIPcLm1EEEEviT0_T1_, .Lfunc_end136-_ZN2at6native29vectorized_elementwise_kernelILi16ENS0_11FillFunctorIN3c1015Float8_e4m3fnuzEEESt5arrayIPcLm1EEEEviT0_T1_
                                        ; -- End function
	.set _ZN2at6native29vectorized_elementwise_kernelILi16ENS0_11FillFunctorIN3c1015Float8_e4m3fnuzEEESt5arrayIPcLm1EEEEviT0_T1_.num_vgpr, 6
	.set _ZN2at6native29vectorized_elementwise_kernelILi16ENS0_11FillFunctorIN3c1015Float8_e4m3fnuzEEESt5arrayIPcLm1EEEEviT0_T1_.num_agpr, 0
	.set _ZN2at6native29vectorized_elementwise_kernelILi16ENS0_11FillFunctorIN3c1015Float8_e4m3fnuzEEESt5arrayIPcLm1EEEEviT0_T1_.numbered_sgpr, 9
	.set _ZN2at6native29vectorized_elementwise_kernelILi16ENS0_11FillFunctorIN3c1015Float8_e4m3fnuzEEESt5arrayIPcLm1EEEEviT0_T1_.num_named_barrier, 0
	.set _ZN2at6native29vectorized_elementwise_kernelILi16ENS0_11FillFunctorIN3c1015Float8_e4m3fnuzEEESt5arrayIPcLm1EEEEviT0_T1_.private_seg_size, 0
	.set _ZN2at6native29vectorized_elementwise_kernelILi16ENS0_11FillFunctorIN3c1015Float8_e4m3fnuzEEESt5arrayIPcLm1EEEEviT0_T1_.uses_vcc, 1
	.set _ZN2at6native29vectorized_elementwise_kernelILi16ENS0_11FillFunctorIN3c1015Float8_e4m3fnuzEEESt5arrayIPcLm1EEEEviT0_T1_.uses_flat_scratch, 0
	.set _ZN2at6native29vectorized_elementwise_kernelILi16ENS0_11FillFunctorIN3c1015Float8_e4m3fnuzEEESt5arrayIPcLm1EEEEviT0_T1_.has_dyn_sized_stack, 0
	.set _ZN2at6native29vectorized_elementwise_kernelILi16ENS0_11FillFunctorIN3c1015Float8_e4m3fnuzEEESt5arrayIPcLm1EEEEviT0_T1_.has_recursion, 0
	.set _ZN2at6native29vectorized_elementwise_kernelILi16ENS0_11FillFunctorIN3c1015Float8_e4m3fnuzEEESt5arrayIPcLm1EEEEviT0_T1_.has_indirect_call, 0
	.section	.AMDGPU.csdata,"",@progbits
; Kernel info:
; codeLenInByte = 996
; TotalNumSgprs: 13
; NumVgprs: 6
; ScratchSize: 0
; MemoryBound: 0
; FloatMode: 240
; IeeeMode: 1
; LDSByteSize: 0 bytes/workgroup (compile time only)
; SGPRBlocks: 1
; VGPRBlocks: 1
; NumSGPRsForWavesPerEU: 13
; NumVGPRsForWavesPerEU: 6
; Occupancy: 10
; WaveLimiterHint : 0
; COMPUTE_PGM_RSRC2:SCRATCH_EN: 0
; COMPUTE_PGM_RSRC2:USER_SGPR: 6
; COMPUTE_PGM_RSRC2:TRAP_HANDLER: 0
; COMPUTE_PGM_RSRC2:TGID_X_EN: 1
; COMPUTE_PGM_RSRC2:TGID_Y_EN: 0
; COMPUTE_PGM_RSRC2:TGID_Z_EN: 0
; COMPUTE_PGM_RSRC2:TIDIG_COMP_CNT: 0
	.section	.text._ZN2at6native29vectorized_elementwise_kernelILi8ENS0_11FillFunctorIN3c1015Float8_e4m3fnuzEEESt5arrayIPcLm1EEEEviT0_T1_,"axG",@progbits,_ZN2at6native29vectorized_elementwise_kernelILi8ENS0_11FillFunctorIN3c1015Float8_e4m3fnuzEEESt5arrayIPcLm1EEEEviT0_T1_,comdat
	.protected	_ZN2at6native29vectorized_elementwise_kernelILi8ENS0_11FillFunctorIN3c1015Float8_e4m3fnuzEEESt5arrayIPcLm1EEEEviT0_T1_ ; -- Begin function _ZN2at6native29vectorized_elementwise_kernelILi8ENS0_11FillFunctorIN3c1015Float8_e4m3fnuzEEESt5arrayIPcLm1EEEEviT0_T1_
	.globl	_ZN2at6native29vectorized_elementwise_kernelILi8ENS0_11FillFunctorIN3c1015Float8_e4m3fnuzEEESt5arrayIPcLm1EEEEviT0_T1_
	.p2align	8
	.type	_ZN2at6native29vectorized_elementwise_kernelILi8ENS0_11FillFunctorIN3c1015Float8_e4m3fnuzEEESt5arrayIPcLm1EEEEviT0_T1_,@function
_ZN2at6native29vectorized_elementwise_kernelILi8ENS0_11FillFunctorIN3c1015Float8_e4m3fnuzEEESt5arrayIPcLm1EEEEviT0_T1_: ; @_ZN2at6native29vectorized_elementwise_kernelILi8ENS0_11FillFunctorIN3c1015Float8_e4m3fnuzEEESt5arrayIPcLm1EEEEviT0_T1_
; %bb.0:
	s_load_dwordx4 s[0:3], s[4:5], 0x0
	s_lshl_b32 s6, s6, 12
	s_mov_b64 s[4:5], -1
	s_waitcnt lgkmcnt(0)
	s_sub_i32 s0, s0, s6
	s_cmpk_gt_i32 s0, 0xfff
	s_cbranch_scc0 .LBB137_2
; %bb.1:
	s_and_b32 s4, s1, 0xff
	s_mul_i32 s4, s4, 0x1010101
	s_ashr_i32 s7, s6, 31
	s_mov_b32 s5, s4
	s_add_u32 s8, s2, s6
	v_mov_b32_e32 v1, s4
	s_addc_u32 s9, s3, s7
	v_lshlrev_b32_e32 v3, 3, v0
	v_mov_b32_e32 v2, s5
	global_store_dwordx2 v3, v[1:2], s[8:9]
	global_store_dwordx2 v3, v[1:2], s[8:9] offset:2048
	s_mov_b64 s[4:5], 0
.LBB137_2:
	s_andn2_b64 vcc, exec, s[4:5]
	s_cbranch_vccnz .LBB137_20
; %bb.3:
	v_cmp_gt_i32_e32 vcc, s0, v0
	s_and_saveexec_b64 s[4:5], vcc
	s_cbranch_execnz .LBB137_21
; %bb.4:
	s_or_b64 exec, exec, s[4:5]
	v_cmp_gt_i32_e32 vcc, s0, v0
	s_and_saveexec_b64 s[4:5], vcc
	s_cbranch_execnz .LBB137_22
.LBB137_5:
	s_or_b64 exec, exec, s[4:5]
	v_cmp_gt_i32_e32 vcc, s0, v0
	s_and_saveexec_b64 s[4:5], vcc
	s_cbranch_execnz .LBB137_23
.LBB137_6:
	s_or_b64 exec, exec, s[4:5]
	v_cmp_gt_i32_e32 vcc, s0, v0
	s_and_saveexec_b64 s[4:5], vcc
	s_cbranch_execnz .LBB137_24
.LBB137_7:
	s_or_b64 exec, exec, s[4:5]
	v_cmp_gt_i32_e32 vcc, s0, v0
	s_and_saveexec_b64 s[4:5], vcc
	s_cbranch_execnz .LBB137_25
.LBB137_8:
	s_or_b64 exec, exec, s[4:5]
	v_cmp_gt_i32_e32 vcc, s0, v0
	s_and_saveexec_b64 s[4:5], vcc
	s_cbranch_execnz .LBB137_26
.LBB137_9:
	s_or_b64 exec, exec, s[4:5]
	v_cmp_gt_i32_e32 vcc, s0, v0
	s_and_saveexec_b64 s[4:5], vcc
	s_cbranch_execnz .LBB137_27
.LBB137_10:
	s_or_b64 exec, exec, s[4:5]
	v_cmp_gt_i32_e32 vcc, s0, v0
	s_and_saveexec_b64 s[4:5], vcc
	s_cbranch_execnz .LBB137_28
.LBB137_11:
	s_or_b64 exec, exec, s[4:5]
	v_cmp_gt_i32_e32 vcc, s0, v0
	s_and_saveexec_b64 s[4:5], vcc
	s_cbranch_execnz .LBB137_29
.LBB137_12:
	s_or_b64 exec, exec, s[4:5]
	v_cmp_gt_i32_e32 vcc, s0, v0
	s_and_saveexec_b64 s[4:5], vcc
	s_cbranch_execnz .LBB137_30
.LBB137_13:
	s_or_b64 exec, exec, s[4:5]
	v_cmp_gt_i32_e32 vcc, s0, v0
	s_and_saveexec_b64 s[4:5], vcc
	s_cbranch_execnz .LBB137_31
.LBB137_14:
	s_or_b64 exec, exec, s[4:5]
	v_cmp_gt_i32_e32 vcc, s0, v0
	s_and_saveexec_b64 s[4:5], vcc
	s_cbranch_execnz .LBB137_32
.LBB137_15:
	s_or_b64 exec, exec, s[4:5]
	v_cmp_gt_i32_e32 vcc, s0, v0
	s_and_saveexec_b64 s[4:5], vcc
	s_cbranch_execnz .LBB137_33
.LBB137_16:
	s_or_b64 exec, exec, s[4:5]
	v_cmp_gt_i32_e32 vcc, s0, v0
	s_and_saveexec_b64 s[4:5], vcc
	s_cbranch_execnz .LBB137_34
.LBB137_17:
	s_or_b64 exec, exec, s[4:5]
	v_cmp_gt_i32_e32 vcc, s0, v0
	s_and_saveexec_b64 s[4:5], vcc
	s_cbranch_execnz .LBB137_35
.LBB137_18:
	s_or_b64 exec, exec, s[4:5]
	v_cmp_gt_i32_e32 vcc, s0, v0
	s_and_saveexec_b64 s[4:5], vcc
	s_cbranch_execz .LBB137_20
.LBB137_19:
	v_add_u32_e32 v0, s6, v0
	v_mov_b32_e32 v1, s1
	global_store_byte v0, v1, s[2:3]
.LBB137_20:
	s_endpgm
.LBB137_21:
	v_or_b32_e32 v1, 0x100, v0
	v_or_b32_e32 v0, s6, v0
	v_mov_b32_e32 v2, s1
	global_store_byte v0, v2, s[2:3]
	v_mov_b32_e32 v0, v1
	s_or_b64 exec, exec, s[4:5]
	v_cmp_gt_i32_e32 vcc, s0, v0
	s_and_saveexec_b64 s[4:5], vcc
	s_cbranch_execz .LBB137_5
.LBB137_22:
	v_add_u32_e32 v1, s6, v0
	v_add_u32_e32 v0, 0x100, v0
	v_mov_b32_e32 v2, s1
	global_store_byte v1, v2, s[2:3]
	s_or_b64 exec, exec, s[4:5]
	v_cmp_gt_i32_e32 vcc, s0, v0
	s_and_saveexec_b64 s[4:5], vcc
	s_cbranch_execz .LBB137_6
.LBB137_23:
	v_add_u32_e32 v1, s6, v0
	v_add_u32_e32 v0, 0x100, v0
	v_mov_b32_e32 v2, s1
	global_store_byte v1, v2, s[2:3]
	s_or_b64 exec, exec, s[4:5]
	v_cmp_gt_i32_e32 vcc, s0, v0
	s_and_saveexec_b64 s[4:5], vcc
	s_cbranch_execz .LBB137_7
.LBB137_24:
	v_add_u32_e32 v1, s6, v0
	v_add_u32_e32 v0, 0x100, v0
	v_mov_b32_e32 v2, s1
	global_store_byte v1, v2, s[2:3]
	s_or_b64 exec, exec, s[4:5]
	v_cmp_gt_i32_e32 vcc, s0, v0
	s_and_saveexec_b64 s[4:5], vcc
	s_cbranch_execz .LBB137_8
.LBB137_25:
	v_add_u32_e32 v1, s6, v0
	v_add_u32_e32 v0, 0x100, v0
	v_mov_b32_e32 v2, s1
	global_store_byte v1, v2, s[2:3]
	s_or_b64 exec, exec, s[4:5]
	v_cmp_gt_i32_e32 vcc, s0, v0
	s_and_saveexec_b64 s[4:5], vcc
	s_cbranch_execz .LBB137_9
.LBB137_26:
	v_add_u32_e32 v1, s6, v0
	v_add_u32_e32 v0, 0x100, v0
	v_mov_b32_e32 v2, s1
	global_store_byte v1, v2, s[2:3]
	s_or_b64 exec, exec, s[4:5]
	v_cmp_gt_i32_e32 vcc, s0, v0
	s_and_saveexec_b64 s[4:5], vcc
	s_cbranch_execz .LBB137_10
.LBB137_27:
	v_add_u32_e32 v1, s6, v0
	v_add_u32_e32 v0, 0x100, v0
	v_mov_b32_e32 v2, s1
	global_store_byte v1, v2, s[2:3]
	s_or_b64 exec, exec, s[4:5]
	v_cmp_gt_i32_e32 vcc, s0, v0
	s_and_saveexec_b64 s[4:5], vcc
	s_cbranch_execz .LBB137_11
.LBB137_28:
	v_add_u32_e32 v1, s6, v0
	v_add_u32_e32 v0, 0x100, v0
	v_mov_b32_e32 v2, s1
	global_store_byte v1, v2, s[2:3]
	s_or_b64 exec, exec, s[4:5]
	v_cmp_gt_i32_e32 vcc, s0, v0
	s_and_saveexec_b64 s[4:5], vcc
	s_cbranch_execz .LBB137_12
.LBB137_29:
	v_add_u32_e32 v1, s6, v0
	v_add_u32_e32 v0, 0x100, v0
	v_mov_b32_e32 v2, s1
	global_store_byte v1, v2, s[2:3]
	s_or_b64 exec, exec, s[4:5]
	v_cmp_gt_i32_e32 vcc, s0, v0
	s_and_saveexec_b64 s[4:5], vcc
	s_cbranch_execz .LBB137_13
.LBB137_30:
	v_add_u32_e32 v1, s6, v0
	v_add_u32_e32 v0, 0x100, v0
	v_mov_b32_e32 v2, s1
	global_store_byte v1, v2, s[2:3]
	s_or_b64 exec, exec, s[4:5]
	v_cmp_gt_i32_e32 vcc, s0, v0
	s_and_saveexec_b64 s[4:5], vcc
	s_cbranch_execz .LBB137_14
.LBB137_31:
	v_add_u32_e32 v1, s6, v0
	v_add_u32_e32 v0, 0x100, v0
	v_mov_b32_e32 v2, s1
	global_store_byte v1, v2, s[2:3]
	s_or_b64 exec, exec, s[4:5]
	v_cmp_gt_i32_e32 vcc, s0, v0
	s_and_saveexec_b64 s[4:5], vcc
	s_cbranch_execz .LBB137_15
.LBB137_32:
	v_add_u32_e32 v1, s6, v0
	v_add_u32_e32 v0, 0x100, v0
	v_mov_b32_e32 v2, s1
	global_store_byte v1, v2, s[2:3]
	s_or_b64 exec, exec, s[4:5]
	v_cmp_gt_i32_e32 vcc, s0, v0
	s_and_saveexec_b64 s[4:5], vcc
	s_cbranch_execz .LBB137_16
.LBB137_33:
	v_add_u32_e32 v1, s6, v0
	v_add_u32_e32 v0, 0x100, v0
	v_mov_b32_e32 v2, s1
	global_store_byte v1, v2, s[2:3]
	s_or_b64 exec, exec, s[4:5]
	v_cmp_gt_i32_e32 vcc, s0, v0
	s_and_saveexec_b64 s[4:5], vcc
	s_cbranch_execz .LBB137_17
.LBB137_34:
	v_add_u32_e32 v1, s6, v0
	v_add_u32_e32 v0, 0x100, v0
	v_mov_b32_e32 v2, s1
	global_store_byte v1, v2, s[2:3]
	s_or_b64 exec, exec, s[4:5]
	v_cmp_gt_i32_e32 vcc, s0, v0
	s_and_saveexec_b64 s[4:5], vcc
	s_cbranch_execz .LBB137_18
.LBB137_35:
	v_add_u32_e32 v1, s6, v0
	v_add_u32_e32 v0, 0x100, v0
	v_mov_b32_e32 v2, s1
	global_store_byte v1, v2, s[2:3]
	s_or_b64 exec, exec, s[4:5]
	v_cmp_gt_i32_e32 vcc, s0, v0
	s_and_saveexec_b64 s[4:5], vcc
	s_cbranch_execnz .LBB137_19
	s_branch .LBB137_20
	.section	.rodata,"a",@progbits
	.p2align	6, 0x0
	.amdhsa_kernel _ZN2at6native29vectorized_elementwise_kernelILi8ENS0_11FillFunctorIN3c1015Float8_e4m3fnuzEEESt5arrayIPcLm1EEEEviT0_T1_
		.amdhsa_group_segment_fixed_size 0
		.amdhsa_private_segment_fixed_size 0
		.amdhsa_kernarg_size 16
		.amdhsa_user_sgpr_count 6
		.amdhsa_user_sgpr_private_segment_buffer 1
		.amdhsa_user_sgpr_dispatch_ptr 0
		.amdhsa_user_sgpr_queue_ptr 0
		.amdhsa_user_sgpr_kernarg_segment_ptr 1
		.amdhsa_user_sgpr_dispatch_id 0
		.amdhsa_user_sgpr_flat_scratch_init 0
		.amdhsa_user_sgpr_private_segment_size 0
		.amdhsa_uses_dynamic_stack 0
		.amdhsa_system_sgpr_private_segment_wavefront_offset 0
		.amdhsa_system_sgpr_workgroup_id_x 1
		.amdhsa_system_sgpr_workgroup_id_y 0
		.amdhsa_system_sgpr_workgroup_id_z 0
		.amdhsa_system_sgpr_workgroup_info 0
		.amdhsa_system_vgpr_workitem_id 0
		.amdhsa_next_free_vgpr 4
		.amdhsa_next_free_sgpr 10
		.amdhsa_reserve_vcc 1
		.amdhsa_reserve_flat_scratch 0
		.amdhsa_float_round_mode_32 0
		.amdhsa_float_round_mode_16_64 0
		.amdhsa_float_denorm_mode_32 3
		.amdhsa_float_denorm_mode_16_64 3
		.amdhsa_dx10_clamp 1
		.amdhsa_ieee_mode 1
		.amdhsa_fp16_overflow 0
		.amdhsa_exception_fp_ieee_invalid_op 0
		.amdhsa_exception_fp_denorm_src 0
		.amdhsa_exception_fp_ieee_div_zero 0
		.amdhsa_exception_fp_ieee_overflow 0
		.amdhsa_exception_fp_ieee_underflow 0
		.amdhsa_exception_fp_ieee_inexact 0
		.amdhsa_exception_int_div_zero 0
	.end_amdhsa_kernel
	.section	.text._ZN2at6native29vectorized_elementwise_kernelILi8ENS0_11FillFunctorIN3c1015Float8_e4m3fnuzEEESt5arrayIPcLm1EEEEviT0_T1_,"axG",@progbits,_ZN2at6native29vectorized_elementwise_kernelILi8ENS0_11FillFunctorIN3c1015Float8_e4m3fnuzEEESt5arrayIPcLm1EEEEviT0_T1_,comdat
.Lfunc_end137:
	.size	_ZN2at6native29vectorized_elementwise_kernelILi8ENS0_11FillFunctorIN3c1015Float8_e4m3fnuzEEESt5arrayIPcLm1EEEEviT0_T1_, .Lfunc_end137-_ZN2at6native29vectorized_elementwise_kernelILi8ENS0_11FillFunctorIN3c1015Float8_e4m3fnuzEEESt5arrayIPcLm1EEEEviT0_T1_
                                        ; -- End function
	.set _ZN2at6native29vectorized_elementwise_kernelILi8ENS0_11FillFunctorIN3c1015Float8_e4m3fnuzEEESt5arrayIPcLm1EEEEviT0_T1_.num_vgpr, 4
	.set _ZN2at6native29vectorized_elementwise_kernelILi8ENS0_11FillFunctorIN3c1015Float8_e4m3fnuzEEESt5arrayIPcLm1EEEEviT0_T1_.num_agpr, 0
	.set _ZN2at6native29vectorized_elementwise_kernelILi8ENS0_11FillFunctorIN3c1015Float8_e4m3fnuzEEESt5arrayIPcLm1EEEEviT0_T1_.numbered_sgpr, 10
	.set _ZN2at6native29vectorized_elementwise_kernelILi8ENS0_11FillFunctorIN3c1015Float8_e4m3fnuzEEESt5arrayIPcLm1EEEEviT0_T1_.num_named_barrier, 0
	.set _ZN2at6native29vectorized_elementwise_kernelILi8ENS0_11FillFunctorIN3c1015Float8_e4m3fnuzEEESt5arrayIPcLm1EEEEviT0_T1_.private_seg_size, 0
	.set _ZN2at6native29vectorized_elementwise_kernelILi8ENS0_11FillFunctorIN3c1015Float8_e4m3fnuzEEESt5arrayIPcLm1EEEEviT0_T1_.uses_vcc, 1
	.set _ZN2at6native29vectorized_elementwise_kernelILi8ENS0_11FillFunctorIN3c1015Float8_e4m3fnuzEEESt5arrayIPcLm1EEEEviT0_T1_.uses_flat_scratch, 0
	.set _ZN2at6native29vectorized_elementwise_kernelILi8ENS0_11FillFunctorIN3c1015Float8_e4m3fnuzEEESt5arrayIPcLm1EEEEviT0_T1_.has_dyn_sized_stack, 0
	.set _ZN2at6native29vectorized_elementwise_kernelILi8ENS0_11FillFunctorIN3c1015Float8_e4m3fnuzEEESt5arrayIPcLm1EEEEviT0_T1_.has_recursion, 0
	.set _ZN2at6native29vectorized_elementwise_kernelILi8ENS0_11FillFunctorIN3c1015Float8_e4m3fnuzEEESt5arrayIPcLm1EEEEviT0_T1_.has_indirect_call, 0
	.section	.AMDGPU.csdata,"",@progbits
; Kernel info:
; codeLenInByte = 984
; TotalNumSgprs: 14
; NumVgprs: 4
; ScratchSize: 0
; MemoryBound: 0
; FloatMode: 240
; IeeeMode: 1
; LDSByteSize: 0 bytes/workgroup (compile time only)
; SGPRBlocks: 1
; VGPRBlocks: 0
; NumSGPRsForWavesPerEU: 14
; NumVGPRsForWavesPerEU: 4
; Occupancy: 10
; WaveLimiterHint : 1
; COMPUTE_PGM_RSRC2:SCRATCH_EN: 0
; COMPUTE_PGM_RSRC2:USER_SGPR: 6
; COMPUTE_PGM_RSRC2:TRAP_HANDLER: 0
; COMPUTE_PGM_RSRC2:TGID_X_EN: 1
; COMPUTE_PGM_RSRC2:TGID_Y_EN: 0
; COMPUTE_PGM_RSRC2:TGID_Z_EN: 0
; COMPUTE_PGM_RSRC2:TIDIG_COMP_CNT: 0
	.section	.text._ZN2at6native29vectorized_elementwise_kernelILi4ENS0_11FillFunctorIN3c1015Float8_e4m3fnuzEEESt5arrayIPcLm1EEEEviT0_T1_,"axG",@progbits,_ZN2at6native29vectorized_elementwise_kernelILi4ENS0_11FillFunctorIN3c1015Float8_e4m3fnuzEEESt5arrayIPcLm1EEEEviT0_T1_,comdat
	.protected	_ZN2at6native29vectorized_elementwise_kernelILi4ENS0_11FillFunctorIN3c1015Float8_e4m3fnuzEEESt5arrayIPcLm1EEEEviT0_T1_ ; -- Begin function _ZN2at6native29vectorized_elementwise_kernelILi4ENS0_11FillFunctorIN3c1015Float8_e4m3fnuzEEESt5arrayIPcLm1EEEEviT0_T1_
	.globl	_ZN2at6native29vectorized_elementwise_kernelILi4ENS0_11FillFunctorIN3c1015Float8_e4m3fnuzEEESt5arrayIPcLm1EEEEviT0_T1_
	.p2align	8
	.type	_ZN2at6native29vectorized_elementwise_kernelILi4ENS0_11FillFunctorIN3c1015Float8_e4m3fnuzEEESt5arrayIPcLm1EEEEviT0_T1_,@function
_ZN2at6native29vectorized_elementwise_kernelILi4ENS0_11FillFunctorIN3c1015Float8_e4m3fnuzEEESt5arrayIPcLm1EEEEviT0_T1_: ; @_ZN2at6native29vectorized_elementwise_kernelILi4ENS0_11FillFunctorIN3c1015Float8_e4m3fnuzEEESt5arrayIPcLm1EEEEviT0_T1_
; %bb.0:
	s_load_dwordx4 s[0:3], s[4:5], 0x0
	s_lshl_b32 s6, s6, 12
	s_mov_b64 s[4:5], -1
	s_waitcnt lgkmcnt(0)
	s_sub_i32 s0, s0, s6
	s_cmpk_gt_i32 s0, 0xfff
	s_cbranch_scc0 .LBB138_2
; %bb.1:
	s_and_b32 s4, s1, 0xff
	s_ashr_i32 s5, s6, 31
	s_mul_i32 s7, s4, 0x1010101
	s_add_u32 s4, s2, s6
	s_addc_u32 s5, s3, s5
	v_lshlrev_b32_e32 v1, 2, v0
	v_mov_b32_e32 v2, s7
	global_store_dword v1, v2, s[4:5]
	global_store_dword v1, v2, s[4:5] offset:1024
	global_store_dword v1, v2, s[4:5] offset:2048
	global_store_dword v1, v2, s[4:5] offset:3072
	s_mov_b64 s[4:5], 0
.LBB138_2:
	s_andn2_b64 vcc, exec, s[4:5]
	s_cbranch_vccnz .LBB138_20
; %bb.3:
	v_cmp_gt_i32_e32 vcc, s0, v0
	s_and_saveexec_b64 s[4:5], vcc
	s_cbranch_execnz .LBB138_21
; %bb.4:
	s_or_b64 exec, exec, s[4:5]
	v_cmp_gt_i32_e32 vcc, s0, v0
	s_and_saveexec_b64 s[4:5], vcc
	s_cbranch_execnz .LBB138_22
.LBB138_5:
	s_or_b64 exec, exec, s[4:5]
	v_cmp_gt_i32_e32 vcc, s0, v0
	s_and_saveexec_b64 s[4:5], vcc
	s_cbranch_execnz .LBB138_23
.LBB138_6:
	s_or_b64 exec, exec, s[4:5]
	v_cmp_gt_i32_e32 vcc, s0, v0
	s_and_saveexec_b64 s[4:5], vcc
	s_cbranch_execnz .LBB138_24
.LBB138_7:
	s_or_b64 exec, exec, s[4:5]
	v_cmp_gt_i32_e32 vcc, s0, v0
	s_and_saveexec_b64 s[4:5], vcc
	s_cbranch_execnz .LBB138_25
.LBB138_8:
	s_or_b64 exec, exec, s[4:5]
	v_cmp_gt_i32_e32 vcc, s0, v0
	s_and_saveexec_b64 s[4:5], vcc
	s_cbranch_execnz .LBB138_26
.LBB138_9:
	s_or_b64 exec, exec, s[4:5]
	v_cmp_gt_i32_e32 vcc, s0, v0
	s_and_saveexec_b64 s[4:5], vcc
	s_cbranch_execnz .LBB138_27
.LBB138_10:
	s_or_b64 exec, exec, s[4:5]
	v_cmp_gt_i32_e32 vcc, s0, v0
	s_and_saveexec_b64 s[4:5], vcc
	s_cbranch_execnz .LBB138_28
.LBB138_11:
	s_or_b64 exec, exec, s[4:5]
	v_cmp_gt_i32_e32 vcc, s0, v0
	s_and_saveexec_b64 s[4:5], vcc
	s_cbranch_execnz .LBB138_29
.LBB138_12:
	s_or_b64 exec, exec, s[4:5]
	v_cmp_gt_i32_e32 vcc, s0, v0
	s_and_saveexec_b64 s[4:5], vcc
	s_cbranch_execnz .LBB138_30
.LBB138_13:
	s_or_b64 exec, exec, s[4:5]
	v_cmp_gt_i32_e32 vcc, s0, v0
	s_and_saveexec_b64 s[4:5], vcc
	s_cbranch_execnz .LBB138_31
.LBB138_14:
	s_or_b64 exec, exec, s[4:5]
	v_cmp_gt_i32_e32 vcc, s0, v0
	s_and_saveexec_b64 s[4:5], vcc
	s_cbranch_execnz .LBB138_32
.LBB138_15:
	s_or_b64 exec, exec, s[4:5]
	v_cmp_gt_i32_e32 vcc, s0, v0
	s_and_saveexec_b64 s[4:5], vcc
	s_cbranch_execnz .LBB138_33
.LBB138_16:
	s_or_b64 exec, exec, s[4:5]
	v_cmp_gt_i32_e32 vcc, s0, v0
	s_and_saveexec_b64 s[4:5], vcc
	s_cbranch_execnz .LBB138_34
.LBB138_17:
	s_or_b64 exec, exec, s[4:5]
	v_cmp_gt_i32_e32 vcc, s0, v0
	s_and_saveexec_b64 s[4:5], vcc
	s_cbranch_execnz .LBB138_35
.LBB138_18:
	s_or_b64 exec, exec, s[4:5]
	v_cmp_gt_i32_e32 vcc, s0, v0
	s_and_saveexec_b64 s[4:5], vcc
	s_cbranch_execz .LBB138_20
.LBB138_19:
	v_add_u32_e32 v0, s6, v0
	v_mov_b32_e32 v1, s1
	global_store_byte v0, v1, s[2:3]
.LBB138_20:
	s_endpgm
.LBB138_21:
	v_or_b32_e32 v1, 0x100, v0
	v_or_b32_e32 v0, s6, v0
	v_mov_b32_e32 v2, s1
	global_store_byte v0, v2, s[2:3]
	v_mov_b32_e32 v0, v1
	s_or_b64 exec, exec, s[4:5]
	v_cmp_gt_i32_e32 vcc, s0, v0
	s_and_saveexec_b64 s[4:5], vcc
	s_cbranch_execz .LBB138_5
.LBB138_22:
	v_add_u32_e32 v1, s6, v0
	v_add_u32_e32 v0, 0x100, v0
	v_mov_b32_e32 v2, s1
	global_store_byte v1, v2, s[2:3]
	s_or_b64 exec, exec, s[4:5]
	v_cmp_gt_i32_e32 vcc, s0, v0
	s_and_saveexec_b64 s[4:5], vcc
	s_cbranch_execz .LBB138_6
.LBB138_23:
	v_add_u32_e32 v1, s6, v0
	v_add_u32_e32 v0, 0x100, v0
	v_mov_b32_e32 v2, s1
	global_store_byte v1, v2, s[2:3]
	s_or_b64 exec, exec, s[4:5]
	v_cmp_gt_i32_e32 vcc, s0, v0
	s_and_saveexec_b64 s[4:5], vcc
	s_cbranch_execz .LBB138_7
.LBB138_24:
	v_add_u32_e32 v1, s6, v0
	v_add_u32_e32 v0, 0x100, v0
	v_mov_b32_e32 v2, s1
	global_store_byte v1, v2, s[2:3]
	s_or_b64 exec, exec, s[4:5]
	v_cmp_gt_i32_e32 vcc, s0, v0
	s_and_saveexec_b64 s[4:5], vcc
	s_cbranch_execz .LBB138_8
.LBB138_25:
	v_add_u32_e32 v1, s6, v0
	v_add_u32_e32 v0, 0x100, v0
	v_mov_b32_e32 v2, s1
	global_store_byte v1, v2, s[2:3]
	s_or_b64 exec, exec, s[4:5]
	v_cmp_gt_i32_e32 vcc, s0, v0
	s_and_saveexec_b64 s[4:5], vcc
	s_cbranch_execz .LBB138_9
.LBB138_26:
	v_add_u32_e32 v1, s6, v0
	v_add_u32_e32 v0, 0x100, v0
	v_mov_b32_e32 v2, s1
	global_store_byte v1, v2, s[2:3]
	s_or_b64 exec, exec, s[4:5]
	v_cmp_gt_i32_e32 vcc, s0, v0
	s_and_saveexec_b64 s[4:5], vcc
	s_cbranch_execz .LBB138_10
.LBB138_27:
	v_add_u32_e32 v1, s6, v0
	v_add_u32_e32 v0, 0x100, v0
	v_mov_b32_e32 v2, s1
	global_store_byte v1, v2, s[2:3]
	s_or_b64 exec, exec, s[4:5]
	v_cmp_gt_i32_e32 vcc, s0, v0
	s_and_saveexec_b64 s[4:5], vcc
	s_cbranch_execz .LBB138_11
.LBB138_28:
	v_add_u32_e32 v1, s6, v0
	v_add_u32_e32 v0, 0x100, v0
	v_mov_b32_e32 v2, s1
	global_store_byte v1, v2, s[2:3]
	s_or_b64 exec, exec, s[4:5]
	v_cmp_gt_i32_e32 vcc, s0, v0
	s_and_saveexec_b64 s[4:5], vcc
	s_cbranch_execz .LBB138_12
.LBB138_29:
	v_add_u32_e32 v1, s6, v0
	v_add_u32_e32 v0, 0x100, v0
	v_mov_b32_e32 v2, s1
	global_store_byte v1, v2, s[2:3]
	s_or_b64 exec, exec, s[4:5]
	v_cmp_gt_i32_e32 vcc, s0, v0
	s_and_saveexec_b64 s[4:5], vcc
	s_cbranch_execz .LBB138_13
.LBB138_30:
	v_add_u32_e32 v1, s6, v0
	v_add_u32_e32 v0, 0x100, v0
	v_mov_b32_e32 v2, s1
	global_store_byte v1, v2, s[2:3]
	s_or_b64 exec, exec, s[4:5]
	v_cmp_gt_i32_e32 vcc, s0, v0
	s_and_saveexec_b64 s[4:5], vcc
	s_cbranch_execz .LBB138_14
.LBB138_31:
	v_add_u32_e32 v1, s6, v0
	v_add_u32_e32 v0, 0x100, v0
	v_mov_b32_e32 v2, s1
	global_store_byte v1, v2, s[2:3]
	s_or_b64 exec, exec, s[4:5]
	v_cmp_gt_i32_e32 vcc, s0, v0
	s_and_saveexec_b64 s[4:5], vcc
	s_cbranch_execz .LBB138_15
.LBB138_32:
	v_add_u32_e32 v1, s6, v0
	v_add_u32_e32 v0, 0x100, v0
	v_mov_b32_e32 v2, s1
	global_store_byte v1, v2, s[2:3]
	s_or_b64 exec, exec, s[4:5]
	v_cmp_gt_i32_e32 vcc, s0, v0
	s_and_saveexec_b64 s[4:5], vcc
	s_cbranch_execz .LBB138_16
.LBB138_33:
	v_add_u32_e32 v1, s6, v0
	v_add_u32_e32 v0, 0x100, v0
	v_mov_b32_e32 v2, s1
	global_store_byte v1, v2, s[2:3]
	s_or_b64 exec, exec, s[4:5]
	v_cmp_gt_i32_e32 vcc, s0, v0
	s_and_saveexec_b64 s[4:5], vcc
	s_cbranch_execz .LBB138_17
.LBB138_34:
	v_add_u32_e32 v1, s6, v0
	v_add_u32_e32 v0, 0x100, v0
	v_mov_b32_e32 v2, s1
	global_store_byte v1, v2, s[2:3]
	s_or_b64 exec, exec, s[4:5]
	v_cmp_gt_i32_e32 vcc, s0, v0
	s_and_saveexec_b64 s[4:5], vcc
	s_cbranch_execz .LBB138_18
.LBB138_35:
	v_add_u32_e32 v1, s6, v0
	v_add_u32_e32 v0, 0x100, v0
	v_mov_b32_e32 v2, s1
	global_store_byte v1, v2, s[2:3]
	s_or_b64 exec, exec, s[4:5]
	v_cmp_gt_i32_e32 vcc, s0, v0
	s_and_saveexec_b64 s[4:5], vcc
	s_cbranch_execnz .LBB138_19
	s_branch .LBB138_20
	.section	.rodata,"a",@progbits
	.p2align	6, 0x0
	.amdhsa_kernel _ZN2at6native29vectorized_elementwise_kernelILi4ENS0_11FillFunctorIN3c1015Float8_e4m3fnuzEEESt5arrayIPcLm1EEEEviT0_T1_
		.amdhsa_group_segment_fixed_size 0
		.amdhsa_private_segment_fixed_size 0
		.amdhsa_kernarg_size 16
		.amdhsa_user_sgpr_count 6
		.amdhsa_user_sgpr_private_segment_buffer 1
		.amdhsa_user_sgpr_dispatch_ptr 0
		.amdhsa_user_sgpr_queue_ptr 0
		.amdhsa_user_sgpr_kernarg_segment_ptr 1
		.amdhsa_user_sgpr_dispatch_id 0
		.amdhsa_user_sgpr_flat_scratch_init 0
		.amdhsa_user_sgpr_private_segment_size 0
		.amdhsa_uses_dynamic_stack 0
		.amdhsa_system_sgpr_private_segment_wavefront_offset 0
		.amdhsa_system_sgpr_workgroup_id_x 1
		.amdhsa_system_sgpr_workgroup_id_y 0
		.amdhsa_system_sgpr_workgroup_id_z 0
		.amdhsa_system_sgpr_workgroup_info 0
		.amdhsa_system_vgpr_workitem_id 0
		.amdhsa_next_free_vgpr 3
		.amdhsa_next_free_sgpr 8
		.amdhsa_reserve_vcc 1
		.amdhsa_reserve_flat_scratch 0
		.amdhsa_float_round_mode_32 0
		.amdhsa_float_round_mode_16_64 0
		.amdhsa_float_denorm_mode_32 3
		.amdhsa_float_denorm_mode_16_64 3
		.amdhsa_dx10_clamp 1
		.amdhsa_ieee_mode 1
		.amdhsa_fp16_overflow 0
		.amdhsa_exception_fp_ieee_invalid_op 0
		.amdhsa_exception_fp_denorm_src 0
		.amdhsa_exception_fp_ieee_div_zero 0
		.amdhsa_exception_fp_ieee_overflow 0
		.amdhsa_exception_fp_ieee_underflow 0
		.amdhsa_exception_fp_ieee_inexact 0
		.amdhsa_exception_int_div_zero 0
	.end_amdhsa_kernel
	.section	.text._ZN2at6native29vectorized_elementwise_kernelILi4ENS0_11FillFunctorIN3c1015Float8_e4m3fnuzEEESt5arrayIPcLm1EEEEviT0_T1_,"axG",@progbits,_ZN2at6native29vectorized_elementwise_kernelILi4ENS0_11FillFunctorIN3c1015Float8_e4m3fnuzEEESt5arrayIPcLm1EEEEviT0_T1_,comdat
.Lfunc_end138:
	.size	_ZN2at6native29vectorized_elementwise_kernelILi4ENS0_11FillFunctorIN3c1015Float8_e4m3fnuzEEESt5arrayIPcLm1EEEEviT0_T1_, .Lfunc_end138-_ZN2at6native29vectorized_elementwise_kernelILi4ENS0_11FillFunctorIN3c1015Float8_e4m3fnuzEEESt5arrayIPcLm1EEEEviT0_T1_
                                        ; -- End function
	.set _ZN2at6native29vectorized_elementwise_kernelILi4ENS0_11FillFunctorIN3c1015Float8_e4m3fnuzEEESt5arrayIPcLm1EEEEviT0_T1_.num_vgpr, 3
	.set _ZN2at6native29vectorized_elementwise_kernelILi4ENS0_11FillFunctorIN3c1015Float8_e4m3fnuzEEESt5arrayIPcLm1EEEEviT0_T1_.num_agpr, 0
	.set _ZN2at6native29vectorized_elementwise_kernelILi4ENS0_11FillFunctorIN3c1015Float8_e4m3fnuzEEESt5arrayIPcLm1EEEEviT0_T1_.numbered_sgpr, 8
	.set _ZN2at6native29vectorized_elementwise_kernelILi4ENS0_11FillFunctorIN3c1015Float8_e4m3fnuzEEESt5arrayIPcLm1EEEEviT0_T1_.num_named_barrier, 0
	.set _ZN2at6native29vectorized_elementwise_kernelILi4ENS0_11FillFunctorIN3c1015Float8_e4m3fnuzEEESt5arrayIPcLm1EEEEviT0_T1_.private_seg_size, 0
	.set _ZN2at6native29vectorized_elementwise_kernelILi4ENS0_11FillFunctorIN3c1015Float8_e4m3fnuzEEESt5arrayIPcLm1EEEEviT0_T1_.uses_vcc, 1
	.set _ZN2at6native29vectorized_elementwise_kernelILi4ENS0_11FillFunctorIN3c1015Float8_e4m3fnuzEEESt5arrayIPcLm1EEEEviT0_T1_.uses_flat_scratch, 0
	.set _ZN2at6native29vectorized_elementwise_kernelILi4ENS0_11FillFunctorIN3c1015Float8_e4m3fnuzEEESt5arrayIPcLm1EEEEviT0_T1_.has_dyn_sized_stack, 0
	.set _ZN2at6native29vectorized_elementwise_kernelILi4ENS0_11FillFunctorIN3c1015Float8_e4m3fnuzEEESt5arrayIPcLm1EEEEviT0_T1_.has_recursion, 0
	.set _ZN2at6native29vectorized_elementwise_kernelILi4ENS0_11FillFunctorIN3c1015Float8_e4m3fnuzEEESt5arrayIPcLm1EEEEviT0_T1_.has_indirect_call, 0
	.section	.AMDGPU.csdata,"",@progbits
; Kernel info:
; codeLenInByte = 992
; TotalNumSgprs: 12
; NumVgprs: 3
; ScratchSize: 0
; MemoryBound: 0
; FloatMode: 240
; IeeeMode: 1
; LDSByteSize: 0 bytes/workgroup (compile time only)
; SGPRBlocks: 1
; VGPRBlocks: 0
; NumSGPRsForWavesPerEU: 12
; NumVGPRsForWavesPerEU: 3
; Occupancy: 10
; WaveLimiterHint : 1
; COMPUTE_PGM_RSRC2:SCRATCH_EN: 0
; COMPUTE_PGM_RSRC2:USER_SGPR: 6
; COMPUTE_PGM_RSRC2:TRAP_HANDLER: 0
; COMPUTE_PGM_RSRC2:TGID_X_EN: 1
; COMPUTE_PGM_RSRC2:TGID_Y_EN: 0
; COMPUTE_PGM_RSRC2:TGID_Z_EN: 0
; COMPUTE_PGM_RSRC2:TIDIG_COMP_CNT: 0
	.section	.text._ZN2at6native29vectorized_elementwise_kernelILi2ENS0_11FillFunctorIN3c1015Float8_e4m3fnuzEEESt5arrayIPcLm1EEEEviT0_T1_,"axG",@progbits,_ZN2at6native29vectorized_elementwise_kernelILi2ENS0_11FillFunctorIN3c1015Float8_e4m3fnuzEEESt5arrayIPcLm1EEEEviT0_T1_,comdat
	.protected	_ZN2at6native29vectorized_elementwise_kernelILi2ENS0_11FillFunctorIN3c1015Float8_e4m3fnuzEEESt5arrayIPcLm1EEEEviT0_T1_ ; -- Begin function _ZN2at6native29vectorized_elementwise_kernelILi2ENS0_11FillFunctorIN3c1015Float8_e4m3fnuzEEESt5arrayIPcLm1EEEEviT0_T1_
	.globl	_ZN2at6native29vectorized_elementwise_kernelILi2ENS0_11FillFunctorIN3c1015Float8_e4m3fnuzEEESt5arrayIPcLm1EEEEviT0_T1_
	.p2align	8
	.type	_ZN2at6native29vectorized_elementwise_kernelILi2ENS0_11FillFunctorIN3c1015Float8_e4m3fnuzEEESt5arrayIPcLm1EEEEviT0_T1_,@function
_ZN2at6native29vectorized_elementwise_kernelILi2ENS0_11FillFunctorIN3c1015Float8_e4m3fnuzEEESt5arrayIPcLm1EEEEviT0_T1_: ; @_ZN2at6native29vectorized_elementwise_kernelILi2ENS0_11FillFunctorIN3c1015Float8_e4m3fnuzEEESt5arrayIPcLm1EEEEviT0_T1_
; %bb.0:
	s_load_dwordx4 s[0:3], s[4:5], 0x0
	s_lshl_b32 s6, s6, 12
	s_mov_b64 s[4:5], -1
	s_waitcnt lgkmcnt(0)
	s_sub_i32 s0, s0, s6
	s_cmpk_gt_i32 s0, 0xfff
	s_cbranch_scc0 .LBB139_2
; %bb.1:
	s_and_b32 s4, s1, 0xff
	s_ashr_i32 s5, s6, 31
	s_mul_i32 s7, s4, 0x101
	s_add_u32 s4, s2, s6
	s_addc_u32 s5, s3, s5
	v_lshlrev_b32_e32 v1, 1, v0
	v_mov_b32_e32 v2, s7
	global_store_short v1, v2, s[4:5]
	global_store_short v1, v2, s[4:5] offset:512
	global_store_short v1, v2, s[4:5] offset:1024
	;; [unrolled: 1-line block ×7, first 2 shown]
	s_mov_b64 s[4:5], 0
.LBB139_2:
	s_andn2_b64 vcc, exec, s[4:5]
	s_cbranch_vccnz .LBB139_20
; %bb.3:
	v_cmp_gt_i32_e32 vcc, s0, v0
	s_and_saveexec_b64 s[4:5], vcc
	s_cbranch_execnz .LBB139_21
; %bb.4:
	s_or_b64 exec, exec, s[4:5]
	v_cmp_gt_i32_e32 vcc, s0, v0
	s_and_saveexec_b64 s[4:5], vcc
	s_cbranch_execnz .LBB139_22
.LBB139_5:
	s_or_b64 exec, exec, s[4:5]
	v_cmp_gt_i32_e32 vcc, s0, v0
	s_and_saveexec_b64 s[4:5], vcc
	s_cbranch_execnz .LBB139_23
.LBB139_6:
	s_or_b64 exec, exec, s[4:5]
	v_cmp_gt_i32_e32 vcc, s0, v0
	s_and_saveexec_b64 s[4:5], vcc
	s_cbranch_execnz .LBB139_24
.LBB139_7:
	s_or_b64 exec, exec, s[4:5]
	v_cmp_gt_i32_e32 vcc, s0, v0
	s_and_saveexec_b64 s[4:5], vcc
	s_cbranch_execnz .LBB139_25
.LBB139_8:
	s_or_b64 exec, exec, s[4:5]
	v_cmp_gt_i32_e32 vcc, s0, v0
	s_and_saveexec_b64 s[4:5], vcc
	s_cbranch_execnz .LBB139_26
.LBB139_9:
	s_or_b64 exec, exec, s[4:5]
	v_cmp_gt_i32_e32 vcc, s0, v0
	s_and_saveexec_b64 s[4:5], vcc
	s_cbranch_execnz .LBB139_27
.LBB139_10:
	s_or_b64 exec, exec, s[4:5]
	v_cmp_gt_i32_e32 vcc, s0, v0
	s_and_saveexec_b64 s[4:5], vcc
	s_cbranch_execnz .LBB139_28
.LBB139_11:
	s_or_b64 exec, exec, s[4:5]
	v_cmp_gt_i32_e32 vcc, s0, v0
	s_and_saveexec_b64 s[4:5], vcc
	s_cbranch_execnz .LBB139_29
.LBB139_12:
	s_or_b64 exec, exec, s[4:5]
	v_cmp_gt_i32_e32 vcc, s0, v0
	s_and_saveexec_b64 s[4:5], vcc
	s_cbranch_execnz .LBB139_30
.LBB139_13:
	s_or_b64 exec, exec, s[4:5]
	v_cmp_gt_i32_e32 vcc, s0, v0
	s_and_saveexec_b64 s[4:5], vcc
	s_cbranch_execnz .LBB139_31
.LBB139_14:
	s_or_b64 exec, exec, s[4:5]
	v_cmp_gt_i32_e32 vcc, s0, v0
	s_and_saveexec_b64 s[4:5], vcc
	s_cbranch_execnz .LBB139_32
.LBB139_15:
	s_or_b64 exec, exec, s[4:5]
	v_cmp_gt_i32_e32 vcc, s0, v0
	s_and_saveexec_b64 s[4:5], vcc
	s_cbranch_execnz .LBB139_33
.LBB139_16:
	s_or_b64 exec, exec, s[4:5]
	v_cmp_gt_i32_e32 vcc, s0, v0
	s_and_saveexec_b64 s[4:5], vcc
	s_cbranch_execnz .LBB139_34
.LBB139_17:
	s_or_b64 exec, exec, s[4:5]
	v_cmp_gt_i32_e32 vcc, s0, v0
	s_and_saveexec_b64 s[4:5], vcc
	s_cbranch_execnz .LBB139_35
.LBB139_18:
	s_or_b64 exec, exec, s[4:5]
	v_cmp_gt_i32_e32 vcc, s0, v0
	s_and_saveexec_b64 s[4:5], vcc
	s_cbranch_execz .LBB139_20
.LBB139_19:
	v_add_u32_e32 v0, s6, v0
	v_mov_b32_e32 v1, s1
	global_store_byte v0, v1, s[2:3]
.LBB139_20:
	s_endpgm
.LBB139_21:
	v_or_b32_e32 v1, 0x100, v0
	v_or_b32_e32 v0, s6, v0
	v_mov_b32_e32 v2, s1
	global_store_byte v0, v2, s[2:3]
	v_mov_b32_e32 v0, v1
	s_or_b64 exec, exec, s[4:5]
	v_cmp_gt_i32_e32 vcc, s0, v0
	s_and_saveexec_b64 s[4:5], vcc
	s_cbranch_execz .LBB139_5
.LBB139_22:
	v_add_u32_e32 v1, s6, v0
	v_add_u32_e32 v0, 0x100, v0
	v_mov_b32_e32 v2, s1
	global_store_byte v1, v2, s[2:3]
	s_or_b64 exec, exec, s[4:5]
	v_cmp_gt_i32_e32 vcc, s0, v0
	s_and_saveexec_b64 s[4:5], vcc
	s_cbranch_execz .LBB139_6
.LBB139_23:
	v_add_u32_e32 v1, s6, v0
	v_add_u32_e32 v0, 0x100, v0
	v_mov_b32_e32 v2, s1
	global_store_byte v1, v2, s[2:3]
	s_or_b64 exec, exec, s[4:5]
	v_cmp_gt_i32_e32 vcc, s0, v0
	s_and_saveexec_b64 s[4:5], vcc
	s_cbranch_execz .LBB139_7
.LBB139_24:
	v_add_u32_e32 v1, s6, v0
	v_add_u32_e32 v0, 0x100, v0
	v_mov_b32_e32 v2, s1
	global_store_byte v1, v2, s[2:3]
	s_or_b64 exec, exec, s[4:5]
	v_cmp_gt_i32_e32 vcc, s0, v0
	s_and_saveexec_b64 s[4:5], vcc
	s_cbranch_execz .LBB139_8
.LBB139_25:
	v_add_u32_e32 v1, s6, v0
	v_add_u32_e32 v0, 0x100, v0
	v_mov_b32_e32 v2, s1
	global_store_byte v1, v2, s[2:3]
	s_or_b64 exec, exec, s[4:5]
	v_cmp_gt_i32_e32 vcc, s0, v0
	s_and_saveexec_b64 s[4:5], vcc
	s_cbranch_execz .LBB139_9
.LBB139_26:
	v_add_u32_e32 v1, s6, v0
	v_add_u32_e32 v0, 0x100, v0
	v_mov_b32_e32 v2, s1
	global_store_byte v1, v2, s[2:3]
	s_or_b64 exec, exec, s[4:5]
	v_cmp_gt_i32_e32 vcc, s0, v0
	s_and_saveexec_b64 s[4:5], vcc
	s_cbranch_execz .LBB139_10
.LBB139_27:
	v_add_u32_e32 v1, s6, v0
	v_add_u32_e32 v0, 0x100, v0
	v_mov_b32_e32 v2, s1
	global_store_byte v1, v2, s[2:3]
	s_or_b64 exec, exec, s[4:5]
	v_cmp_gt_i32_e32 vcc, s0, v0
	s_and_saveexec_b64 s[4:5], vcc
	s_cbranch_execz .LBB139_11
.LBB139_28:
	v_add_u32_e32 v1, s6, v0
	v_add_u32_e32 v0, 0x100, v0
	v_mov_b32_e32 v2, s1
	global_store_byte v1, v2, s[2:3]
	s_or_b64 exec, exec, s[4:5]
	v_cmp_gt_i32_e32 vcc, s0, v0
	s_and_saveexec_b64 s[4:5], vcc
	s_cbranch_execz .LBB139_12
.LBB139_29:
	v_add_u32_e32 v1, s6, v0
	v_add_u32_e32 v0, 0x100, v0
	v_mov_b32_e32 v2, s1
	global_store_byte v1, v2, s[2:3]
	s_or_b64 exec, exec, s[4:5]
	v_cmp_gt_i32_e32 vcc, s0, v0
	s_and_saveexec_b64 s[4:5], vcc
	s_cbranch_execz .LBB139_13
.LBB139_30:
	v_add_u32_e32 v1, s6, v0
	v_add_u32_e32 v0, 0x100, v0
	v_mov_b32_e32 v2, s1
	global_store_byte v1, v2, s[2:3]
	s_or_b64 exec, exec, s[4:5]
	v_cmp_gt_i32_e32 vcc, s0, v0
	s_and_saveexec_b64 s[4:5], vcc
	s_cbranch_execz .LBB139_14
.LBB139_31:
	v_add_u32_e32 v1, s6, v0
	v_add_u32_e32 v0, 0x100, v0
	v_mov_b32_e32 v2, s1
	global_store_byte v1, v2, s[2:3]
	s_or_b64 exec, exec, s[4:5]
	v_cmp_gt_i32_e32 vcc, s0, v0
	s_and_saveexec_b64 s[4:5], vcc
	s_cbranch_execz .LBB139_15
.LBB139_32:
	v_add_u32_e32 v1, s6, v0
	v_add_u32_e32 v0, 0x100, v0
	v_mov_b32_e32 v2, s1
	global_store_byte v1, v2, s[2:3]
	s_or_b64 exec, exec, s[4:5]
	v_cmp_gt_i32_e32 vcc, s0, v0
	s_and_saveexec_b64 s[4:5], vcc
	s_cbranch_execz .LBB139_16
.LBB139_33:
	v_add_u32_e32 v1, s6, v0
	v_add_u32_e32 v0, 0x100, v0
	v_mov_b32_e32 v2, s1
	global_store_byte v1, v2, s[2:3]
	s_or_b64 exec, exec, s[4:5]
	v_cmp_gt_i32_e32 vcc, s0, v0
	s_and_saveexec_b64 s[4:5], vcc
	s_cbranch_execz .LBB139_17
.LBB139_34:
	v_add_u32_e32 v1, s6, v0
	v_add_u32_e32 v0, 0x100, v0
	v_mov_b32_e32 v2, s1
	global_store_byte v1, v2, s[2:3]
	s_or_b64 exec, exec, s[4:5]
	v_cmp_gt_i32_e32 vcc, s0, v0
	s_and_saveexec_b64 s[4:5], vcc
	s_cbranch_execz .LBB139_18
.LBB139_35:
	v_add_u32_e32 v1, s6, v0
	v_add_u32_e32 v0, 0x100, v0
	v_mov_b32_e32 v2, s1
	global_store_byte v1, v2, s[2:3]
	s_or_b64 exec, exec, s[4:5]
	v_cmp_gt_i32_e32 vcc, s0, v0
	s_and_saveexec_b64 s[4:5], vcc
	s_cbranch_execnz .LBB139_19
	s_branch .LBB139_20
	.section	.rodata,"a",@progbits
	.p2align	6, 0x0
	.amdhsa_kernel _ZN2at6native29vectorized_elementwise_kernelILi2ENS0_11FillFunctorIN3c1015Float8_e4m3fnuzEEESt5arrayIPcLm1EEEEviT0_T1_
		.amdhsa_group_segment_fixed_size 0
		.amdhsa_private_segment_fixed_size 0
		.amdhsa_kernarg_size 16
		.amdhsa_user_sgpr_count 6
		.amdhsa_user_sgpr_private_segment_buffer 1
		.amdhsa_user_sgpr_dispatch_ptr 0
		.amdhsa_user_sgpr_queue_ptr 0
		.amdhsa_user_sgpr_kernarg_segment_ptr 1
		.amdhsa_user_sgpr_dispatch_id 0
		.amdhsa_user_sgpr_flat_scratch_init 0
		.amdhsa_user_sgpr_private_segment_size 0
		.amdhsa_uses_dynamic_stack 0
		.amdhsa_system_sgpr_private_segment_wavefront_offset 0
		.amdhsa_system_sgpr_workgroup_id_x 1
		.amdhsa_system_sgpr_workgroup_id_y 0
		.amdhsa_system_sgpr_workgroup_id_z 0
		.amdhsa_system_sgpr_workgroup_info 0
		.amdhsa_system_vgpr_workitem_id 0
		.amdhsa_next_free_vgpr 3
		.amdhsa_next_free_sgpr 8
		.amdhsa_reserve_vcc 1
		.amdhsa_reserve_flat_scratch 0
		.amdhsa_float_round_mode_32 0
		.amdhsa_float_round_mode_16_64 0
		.amdhsa_float_denorm_mode_32 3
		.amdhsa_float_denorm_mode_16_64 3
		.amdhsa_dx10_clamp 1
		.amdhsa_ieee_mode 1
		.amdhsa_fp16_overflow 0
		.amdhsa_exception_fp_ieee_invalid_op 0
		.amdhsa_exception_fp_denorm_src 0
		.amdhsa_exception_fp_ieee_div_zero 0
		.amdhsa_exception_fp_ieee_overflow 0
		.amdhsa_exception_fp_ieee_underflow 0
		.amdhsa_exception_fp_ieee_inexact 0
		.amdhsa_exception_int_div_zero 0
	.end_amdhsa_kernel
	.section	.text._ZN2at6native29vectorized_elementwise_kernelILi2ENS0_11FillFunctorIN3c1015Float8_e4m3fnuzEEESt5arrayIPcLm1EEEEviT0_T1_,"axG",@progbits,_ZN2at6native29vectorized_elementwise_kernelILi2ENS0_11FillFunctorIN3c1015Float8_e4m3fnuzEEESt5arrayIPcLm1EEEEviT0_T1_,comdat
.Lfunc_end139:
	.size	_ZN2at6native29vectorized_elementwise_kernelILi2ENS0_11FillFunctorIN3c1015Float8_e4m3fnuzEEESt5arrayIPcLm1EEEEviT0_T1_, .Lfunc_end139-_ZN2at6native29vectorized_elementwise_kernelILi2ENS0_11FillFunctorIN3c1015Float8_e4m3fnuzEEESt5arrayIPcLm1EEEEviT0_T1_
                                        ; -- End function
	.set _ZN2at6native29vectorized_elementwise_kernelILi2ENS0_11FillFunctorIN3c1015Float8_e4m3fnuzEEESt5arrayIPcLm1EEEEviT0_T1_.num_vgpr, 3
	.set _ZN2at6native29vectorized_elementwise_kernelILi2ENS0_11FillFunctorIN3c1015Float8_e4m3fnuzEEESt5arrayIPcLm1EEEEviT0_T1_.num_agpr, 0
	.set _ZN2at6native29vectorized_elementwise_kernelILi2ENS0_11FillFunctorIN3c1015Float8_e4m3fnuzEEESt5arrayIPcLm1EEEEviT0_T1_.numbered_sgpr, 8
	.set _ZN2at6native29vectorized_elementwise_kernelILi2ENS0_11FillFunctorIN3c1015Float8_e4m3fnuzEEESt5arrayIPcLm1EEEEviT0_T1_.num_named_barrier, 0
	.set _ZN2at6native29vectorized_elementwise_kernelILi2ENS0_11FillFunctorIN3c1015Float8_e4m3fnuzEEESt5arrayIPcLm1EEEEviT0_T1_.private_seg_size, 0
	.set _ZN2at6native29vectorized_elementwise_kernelILi2ENS0_11FillFunctorIN3c1015Float8_e4m3fnuzEEESt5arrayIPcLm1EEEEviT0_T1_.uses_vcc, 1
	.set _ZN2at6native29vectorized_elementwise_kernelILi2ENS0_11FillFunctorIN3c1015Float8_e4m3fnuzEEESt5arrayIPcLm1EEEEviT0_T1_.uses_flat_scratch, 0
	.set _ZN2at6native29vectorized_elementwise_kernelILi2ENS0_11FillFunctorIN3c1015Float8_e4m3fnuzEEESt5arrayIPcLm1EEEEviT0_T1_.has_dyn_sized_stack, 0
	.set _ZN2at6native29vectorized_elementwise_kernelILi2ENS0_11FillFunctorIN3c1015Float8_e4m3fnuzEEESt5arrayIPcLm1EEEEviT0_T1_.has_recursion, 0
	.set _ZN2at6native29vectorized_elementwise_kernelILi2ENS0_11FillFunctorIN3c1015Float8_e4m3fnuzEEESt5arrayIPcLm1EEEEviT0_T1_.has_indirect_call, 0
	.section	.AMDGPU.csdata,"",@progbits
; Kernel info:
; codeLenInByte = 1024
; TotalNumSgprs: 12
; NumVgprs: 3
; ScratchSize: 0
; MemoryBound: 0
; FloatMode: 240
; IeeeMode: 1
; LDSByteSize: 0 bytes/workgroup (compile time only)
; SGPRBlocks: 1
; VGPRBlocks: 0
; NumSGPRsForWavesPerEU: 12
; NumVGPRsForWavesPerEU: 3
; Occupancy: 10
; WaveLimiterHint : 1
; COMPUTE_PGM_RSRC2:SCRATCH_EN: 0
; COMPUTE_PGM_RSRC2:USER_SGPR: 6
; COMPUTE_PGM_RSRC2:TRAP_HANDLER: 0
; COMPUTE_PGM_RSRC2:TGID_X_EN: 1
; COMPUTE_PGM_RSRC2:TGID_Y_EN: 0
; COMPUTE_PGM_RSRC2:TGID_Z_EN: 0
; COMPUTE_PGM_RSRC2:TIDIG_COMP_CNT: 0
	.section	.text._ZN2at6native27unrolled_elementwise_kernelINS0_11FillFunctorIN3c1015Float8_e4m3fnuzEEESt5arrayIPcLm1EELi4E23TrivialOffsetCalculatorILi0EjES9_ILi1EjENS0_6memory15LoadWithoutCastENSC_16StoreWithoutCastEEEviT_T0_T2_T3_T4_T5_,"axG",@progbits,_ZN2at6native27unrolled_elementwise_kernelINS0_11FillFunctorIN3c1015Float8_e4m3fnuzEEESt5arrayIPcLm1EELi4E23TrivialOffsetCalculatorILi0EjES9_ILi1EjENS0_6memory15LoadWithoutCastENSC_16StoreWithoutCastEEEviT_T0_T2_T3_T4_T5_,comdat
	.protected	_ZN2at6native27unrolled_elementwise_kernelINS0_11FillFunctorIN3c1015Float8_e4m3fnuzEEESt5arrayIPcLm1EELi4E23TrivialOffsetCalculatorILi0EjES9_ILi1EjENS0_6memory15LoadWithoutCastENSC_16StoreWithoutCastEEEviT_T0_T2_T3_T4_T5_ ; -- Begin function _ZN2at6native27unrolled_elementwise_kernelINS0_11FillFunctorIN3c1015Float8_e4m3fnuzEEESt5arrayIPcLm1EELi4E23TrivialOffsetCalculatorILi0EjES9_ILi1EjENS0_6memory15LoadWithoutCastENSC_16StoreWithoutCastEEEviT_T0_T2_T3_T4_T5_
	.globl	_ZN2at6native27unrolled_elementwise_kernelINS0_11FillFunctorIN3c1015Float8_e4m3fnuzEEESt5arrayIPcLm1EELi4E23TrivialOffsetCalculatorILi0EjES9_ILi1EjENS0_6memory15LoadWithoutCastENSC_16StoreWithoutCastEEEviT_T0_T2_T3_T4_T5_
	.p2align	8
	.type	_ZN2at6native27unrolled_elementwise_kernelINS0_11FillFunctorIN3c1015Float8_e4m3fnuzEEESt5arrayIPcLm1EELi4E23TrivialOffsetCalculatorILi0EjES9_ILi1EjENS0_6memory15LoadWithoutCastENSC_16StoreWithoutCastEEEviT_T0_T2_T3_T4_T5_,@function
_ZN2at6native27unrolled_elementwise_kernelINS0_11FillFunctorIN3c1015Float8_e4m3fnuzEEESt5arrayIPcLm1EELi4E23TrivialOffsetCalculatorILi0EjES9_ILi1EjENS0_6memory15LoadWithoutCastENSC_16StoreWithoutCastEEEviT_T0_T2_T3_T4_T5_: ; @_ZN2at6native27unrolled_elementwise_kernelINS0_11FillFunctorIN3c1015Float8_e4m3fnuzEEESt5arrayIPcLm1EELi4E23TrivialOffsetCalculatorILi0EjES9_ILi1EjENS0_6memory15LoadWithoutCastENSC_16StoreWithoutCastEEEviT_T0_T2_T3_T4_T5_
; %bb.0:
	s_load_dwordx4 s[0:3], s[4:5], 0x0
	s_lshl_b32 s6, s6, 10
	s_waitcnt lgkmcnt(0)
	s_sub_i32 s0, s0, s6
	v_cmp_gt_i32_e32 vcc, s0, v0
	s_and_saveexec_b64 s[4:5], vcc
	s_cbranch_execnz .LBB140_5
; %bb.1:
	s_or_b64 exec, exec, s[4:5]
	v_cmp_gt_i32_e32 vcc, s0, v0
	s_and_saveexec_b64 s[4:5], vcc
	s_cbranch_execnz .LBB140_6
.LBB140_2:
	s_or_b64 exec, exec, s[4:5]
	v_cmp_gt_i32_e32 vcc, s0, v0
	s_and_saveexec_b64 s[4:5], vcc
	s_cbranch_execnz .LBB140_7
.LBB140_3:
	s_or_b64 exec, exec, s[4:5]
	v_cmp_gt_i32_e32 vcc, s0, v0
	s_and_saveexec_b64 s[4:5], vcc
	s_cbranch_execnz .LBB140_8
.LBB140_4:
	s_endpgm
.LBB140_5:
	v_or_b32_e32 v1, s6, v0
	v_or_b32_e32 v0, 0x100, v0
	v_mov_b32_e32 v2, s1
	global_store_byte v1, v2, s[2:3]
	s_or_b64 exec, exec, s[4:5]
	v_cmp_gt_i32_e32 vcc, s0, v0
	s_and_saveexec_b64 s[4:5], vcc
	s_cbranch_execz .LBB140_2
.LBB140_6:
	v_add_u32_e32 v1, 0x100, v0
	v_add_u32_e32 v0, s6, v0
	v_mov_b32_e32 v2, s1
	global_store_byte v0, v2, s[2:3]
	v_mov_b32_e32 v0, v1
	s_or_b64 exec, exec, s[4:5]
	v_cmp_gt_i32_e32 vcc, s0, v0
	s_and_saveexec_b64 s[4:5], vcc
	s_cbranch_execz .LBB140_3
.LBB140_7:
	v_add_u32_e32 v1, 0x100, v0
	v_add_u32_e32 v0, s6, v0
	v_mov_b32_e32 v2, s1
	global_store_byte v0, v2, s[2:3]
	v_mov_b32_e32 v0, v1
	s_or_b64 exec, exec, s[4:5]
	v_cmp_gt_i32_e32 vcc, s0, v0
	s_and_saveexec_b64 s[4:5], vcc
	s_cbranch_execz .LBB140_4
.LBB140_8:
	v_add_u32_e32 v0, s6, v0
	v_mov_b32_e32 v1, s1
	global_store_byte v0, v1, s[2:3]
	s_endpgm
	.section	.rodata,"a",@progbits
	.p2align	6, 0x0
	.amdhsa_kernel _ZN2at6native27unrolled_elementwise_kernelINS0_11FillFunctorIN3c1015Float8_e4m3fnuzEEESt5arrayIPcLm1EELi4E23TrivialOffsetCalculatorILi0EjES9_ILi1EjENS0_6memory15LoadWithoutCastENSC_16StoreWithoutCastEEEviT_T0_T2_T3_T4_T5_
		.amdhsa_group_segment_fixed_size 0
		.amdhsa_private_segment_fixed_size 0
		.amdhsa_kernarg_size 20
		.amdhsa_user_sgpr_count 6
		.amdhsa_user_sgpr_private_segment_buffer 1
		.amdhsa_user_sgpr_dispatch_ptr 0
		.amdhsa_user_sgpr_queue_ptr 0
		.amdhsa_user_sgpr_kernarg_segment_ptr 1
		.amdhsa_user_sgpr_dispatch_id 0
		.amdhsa_user_sgpr_flat_scratch_init 0
		.amdhsa_user_sgpr_private_segment_size 0
		.amdhsa_uses_dynamic_stack 0
		.amdhsa_system_sgpr_private_segment_wavefront_offset 0
		.amdhsa_system_sgpr_workgroup_id_x 1
		.amdhsa_system_sgpr_workgroup_id_y 0
		.amdhsa_system_sgpr_workgroup_id_z 0
		.amdhsa_system_sgpr_workgroup_info 0
		.amdhsa_system_vgpr_workitem_id 0
		.amdhsa_next_free_vgpr 3
		.amdhsa_next_free_sgpr 7
		.amdhsa_reserve_vcc 1
		.amdhsa_reserve_flat_scratch 0
		.amdhsa_float_round_mode_32 0
		.amdhsa_float_round_mode_16_64 0
		.amdhsa_float_denorm_mode_32 3
		.amdhsa_float_denorm_mode_16_64 3
		.amdhsa_dx10_clamp 1
		.amdhsa_ieee_mode 1
		.amdhsa_fp16_overflow 0
		.amdhsa_exception_fp_ieee_invalid_op 0
		.amdhsa_exception_fp_denorm_src 0
		.amdhsa_exception_fp_ieee_div_zero 0
		.amdhsa_exception_fp_ieee_overflow 0
		.amdhsa_exception_fp_ieee_underflow 0
		.amdhsa_exception_fp_ieee_inexact 0
		.amdhsa_exception_int_div_zero 0
	.end_amdhsa_kernel
	.section	.text._ZN2at6native27unrolled_elementwise_kernelINS0_11FillFunctorIN3c1015Float8_e4m3fnuzEEESt5arrayIPcLm1EELi4E23TrivialOffsetCalculatorILi0EjES9_ILi1EjENS0_6memory15LoadWithoutCastENSC_16StoreWithoutCastEEEviT_T0_T2_T3_T4_T5_,"axG",@progbits,_ZN2at6native27unrolled_elementwise_kernelINS0_11FillFunctorIN3c1015Float8_e4m3fnuzEEESt5arrayIPcLm1EELi4E23TrivialOffsetCalculatorILi0EjES9_ILi1EjENS0_6memory15LoadWithoutCastENSC_16StoreWithoutCastEEEviT_T0_T2_T3_T4_T5_,comdat
.Lfunc_end140:
	.size	_ZN2at6native27unrolled_elementwise_kernelINS0_11FillFunctorIN3c1015Float8_e4m3fnuzEEESt5arrayIPcLm1EELi4E23TrivialOffsetCalculatorILi0EjES9_ILi1EjENS0_6memory15LoadWithoutCastENSC_16StoreWithoutCastEEEviT_T0_T2_T3_T4_T5_, .Lfunc_end140-_ZN2at6native27unrolled_elementwise_kernelINS0_11FillFunctorIN3c1015Float8_e4m3fnuzEEESt5arrayIPcLm1EELi4E23TrivialOffsetCalculatorILi0EjES9_ILi1EjENS0_6memory15LoadWithoutCastENSC_16StoreWithoutCastEEEviT_T0_T2_T3_T4_T5_
                                        ; -- End function
	.set _ZN2at6native27unrolled_elementwise_kernelINS0_11FillFunctorIN3c1015Float8_e4m3fnuzEEESt5arrayIPcLm1EELi4E23TrivialOffsetCalculatorILi0EjES9_ILi1EjENS0_6memory15LoadWithoutCastENSC_16StoreWithoutCastEEEviT_T0_T2_T3_T4_T5_.num_vgpr, 3
	.set _ZN2at6native27unrolled_elementwise_kernelINS0_11FillFunctorIN3c1015Float8_e4m3fnuzEEESt5arrayIPcLm1EELi4E23TrivialOffsetCalculatorILi0EjES9_ILi1EjENS0_6memory15LoadWithoutCastENSC_16StoreWithoutCastEEEviT_T0_T2_T3_T4_T5_.num_agpr, 0
	.set _ZN2at6native27unrolled_elementwise_kernelINS0_11FillFunctorIN3c1015Float8_e4m3fnuzEEESt5arrayIPcLm1EELi4E23TrivialOffsetCalculatorILi0EjES9_ILi1EjENS0_6memory15LoadWithoutCastENSC_16StoreWithoutCastEEEviT_T0_T2_T3_T4_T5_.numbered_sgpr, 7
	.set _ZN2at6native27unrolled_elementwise_kernelINS0_11FillFunctorIN3c1015Float8_e4m3fnuzEEESt5arrayIPcLm1EELi4E23TrivialOffsetCalculatorILi0EjES9_ILi1EjENS0_6memory15LoadWithoutCastENSC_16StoreWithoutCastEEEviT_T0_T2_T3_T4_T5_.num_named_barrier, 0
	.set _ZN2at6native27unrolled_elementwise_kernelINS0_11FillFunctorIN3c1015Float8_e4m3fnuzEEESt5arrayIPcLm1EELi4E23TrivialOffsetCalculatorILi0EjES9_ILi1EjENS0_6memory15LoadWithoutCastENSC_16StoreWithoutCastEEEviT_T0_T2_T3_T4_T5_.private_seg_size, 0
	.set _ZN2at6native27unrolled_elementwise_kernelINS0_11FillFunctorIN3c1015Float8_e4m3fnuzEEESt5arrayIPcLm1EELi4E23TrivialOffsetCalculatorILi0EjES9_ILi1EjENS0_6memory15LoadWithoutCastENSC_16StoreWithoutCastEEEviT_T0_T2_T3_T4_T5_.uses_vcc, 1
	.set _ZN2at6native27unrolled_elementwise_kernelINS0_11FillFunctorIN3c1015Float8_e4m3fnuzEEESt5arrayIPcLm1EELi4E23TrivialOffsetCalculatorILi0EjES9_ILi1EjENS0_6memory15LoadWithoutCastENSC_16StoreWithoutCastEEEviT_T0_T2_T3_T4_T5_.uses_flat_scratch, 0
	.set _ZN2at6native27unrolled_elementwise_kernelINS0_11FillFunctorIN3c1015Float8_e4m3fnuzEEESt5arrayIPcLm1EELi4E23TrivialOffsetCalculatorILi0EjES9_ILi1EjENS0_6memory15LoadWithoutCastENSC_16StoreWithoutCastEEEviT_T0_T2_T3_T4_T5_.has_dyn_sized_stack, 0
	.set _ZN2at6native27unrolled_elementwise_kernelINS0_11FillFunctorIN3c1015Float8_e4m3fnuzEEESt5arrayIPcLm1EELi4E23TrivialOffsetCalculatorILi0EjES9_ILi1EjENS0_6memory15LoadWithoutCastENSC_16StoreWithoutCastEEEviT_T0_T2_T3_T4_T5_.has_recursion, 0
	.set _ZN2at6native27unrolled_elementwise_kernelINS0_11FillFunctorIN3c1015Float8_e4m3fnuzEEESt5arrayIPcLm1EELi4E23TrivialOffsetCalculatorILi0EjES9_ILi1EjENS0_6memory15LoadWithoutCastENSC_16StoreWithoutCastEEEviT_T0_T2_T3_T4_T5_.has_indirect_call, 0
	.section	.AMDGPU.csdata,"",@progbits
; Kernel info:
; codeLenInByte = 232
; TotalNumSgprs: 11
; NumVgprs: 3
; ScratchSize: 0
; MemoryBound: 0
; FloatMode: 240
; IeeeMode: 1
; LDSByteSize: 0 bytes/workgroup (compile time only)
; SGPRBlocks: 1
; VGPRBlocks: 0
; NumSGPRsForWavesPerEU: 11
; NumVGPRsForWavesPerEU: 3
; Occupancy: 10
; WaveLimiterHint : 0
; COMPUTE_PGM_RSRC2:SCRATCH_EN: 0
; COMPUTE_PGM_RSRC2:USER_SGPR: 6
; COMPUTE_PGM_RSRC2:TRAP_HANDLER: 0
; COMPUTE_PGM_RSRC2:TGID_X_EN: 1
; COMPUTE_PGM_RSRC2:TGID_Y_EN: 0
; COMPUTE_PGM_RSRC2:TGID_Z_EN: 0
; COMPUTE_PGM_RSRC2:TIDIG_COMP_CNT: 0
	.section	.text._ZN2at6native32elementwise_kernel_manual_unrollILi128ELi8EZNS0_22gpu_kernel_impl_nocastINS0_11FillFunctorIN3c1015Float8_e4m3fnuzEEEEEvRNS_18TensorIteratorBaseERKT_EUlibE_EEviT1_,"axG",@progbits,_ZN2at6native32elementwise_kernel_manual_unrollILi128ELi8EZNS0_22gpu_kernel_impl_nocastINS0_11FillFunctorIN3c1015Float8_e4m3fnuzEEEEEvRNS_18TensorIteratorBaseERKT_EUlibE_EEviT1_,comdat
	.protected	_ZN2at6native32elementwise_kernel_manual_unrollILi128ELi8EZNS0_22gpu_kernel_impl_nocastINS0_11FillFunctorIN3c1015Float8_e4m3fnuzEEEEEvRNS_18TensorIteratorBaseERKT_EUlibE_EEviT1_ ; -- Begin function _ZN2at6native32elementwise_kernel_manual_unrollILi128ELi8EZNS0_22gpu_kernel_impl_nocastINS0_11FillFunctorIN3c1015Float8_e4m3fnuzEEEEEvRNS_18TensorIteratorBaseERKT_EUlibE_EEviT1_
	.globl	_ZN2at6native32elementwise_kernel_manual_unrollILi128ELi8EZNS0_22gpu_kernel_impl_nocastINS0_11FillFunctorIN3c1015Float8_e4m3fnuzEEEEEvRNS_18TensorIteratorBaseERKT_EUlibE_EEviT1_
	.p2align	8
	.type	_ZN2at6native32elementwise_kernel_manual_unrollILi128ELi8EZNS0_22gpu_kernel_impl_nocastINS0_11FillFunctorIN3c1015Float8_e4m3fnuzEEEEEvRNS_18TensorIteratorBaseERKT_EUlibE_EEviT1_,@function
_ZN2at6native32elementwise_kernel_manual_unrollILi128ELi8EZNS0_22gpu_kernel_impl_nocastINS0_11FillFunctorIN3c1015Float8_e4m3fnuzEEEEEvRNS_18TensorIteratorBaseERKT_EUlibE_EEviT1_: ; @_ZN2at6native32elementwise_kernel_manual_unrollILi128ELi8EZNS0_22gpu_kernel_impl_nocastINS0_11FillFunctorIN3c1015Float8_e4m3fnuzEEEEEvRNS_18TensorIteratorBaseERKT_EUlibE_EEviT1_
; %bb.0:
	s_load_dword s48, s[4:5], 0x0
	s_load_dword s33, s[4:5], 0x8
	s_add_u32 s20, s4, 8
	s_addc_u32 s21, s5, 0
	v_lshl_or_b32 v7, s6, 10, v0
	v_or_b32_e32 v9, 0x380, v7
	s_waitcnt lgkmcnt(0)
	s_add_i32 s46, s33, -1
	s_cmp_gt_u32 s46, 1
	v_cmp_le_i32_e32 vcc, s48, v9
	s_cselect_b64 s[22:23], -1, 0
	s_and_saveexec_b64 s[0:1], vcc
	s_xor_b64 s[24:25], exec, s[0:1]
	s_cbranch_execz .LBB141_7
; %bb.1:
	s_load_dwordx4 s[8:11], s[20:21], 0x4
	s_load_dwordx2 s[30:31], s[20:21], 0x14
	s_load_dwordx2 s[28:29], s[20:21], 0xc4
	;; [unrolled: 1-line block ×3, first 2 shown]
	s_load_dword s47, s[20:21], 0x110
	s_cmp_lg_u32 s33, 0
	s_cselect_b64 s[38:39], -1, 0
	s_add_u32 s36, s20, 0xc4
	s_addc_u32 s37, s21, 0
	s_min_u32 s49, s46, 15
	s_cmp_gt_u32 s33, 1
	s_cselect_b64 s[34:35], -1, 0
	v_cmp_gt_i32_e32 vcc, s48, v7
	s_and_saveexec_b64 s[40:41], vcc
	s_cbranch_execz .LBB141_14
; %bb.2:
	s_andn2_b64 vcc, exec, s[22:23]
	s_cbranch_vccnz .LBB141_21
; %bb.3:
	s_andn2_b64 vcc, exec, s[38:39]
	s_cbranch_vccnz .LBB141_129
; %bb.4:
	s_add_i32 s51, s49, 1
	s_cmp_eq_u32 s46, 2
	s_cbranch_scc1 .LBB141_131
; %bb.5:
	s_and_b32 s50, s51, 28
	s_mov_b32 s52, 0
	v_mov_b32_e32 v0, 0
	s_mov_b64 s[42:43], s[20:21]
	s_mov_b64 s[44:45], s[36:37]
	v_mov_b32_e32 v1, v7
.LBB141_6:                              ; =>This Inner Loop Header: Depth=1
	s_load_dwordx8 s[0:7], s[42:43], 0x4
	s_load_dwordx4 s[12:15], s[42:43], 0x24
	s_load_dwordx4 s[16:19], s[44:45], 0x0
	s_add_u32 s42, s42, 48
	s_addc_u32 s43, s43, 0
	s_waitcnt lgkmcnt(0)
	v_mul_hi_u32 v2, s1, v1
	s_add_i32 s52, s52, 4
	s_add_u32 s44, s44, 16
	s_addc_u32 s45, s45, 0
	v_add_u32_e32 v2, v1, v2
	v_lshrrev_b32_e32 v2, s2, v2
	v_mul_lo_u32 v3, v2, s0
	v_mul_hi_u32 v4, s4, v2
	s_cmp_lg_u32 s50, s52
	v_sub_u32_e32 v1, v1, v3
	v_add_u32_e32 v3, v2, v4
	v_lshrrev_b32_e32 v3, s5, v3
	v_mul_lo_u32 v4, v1, s16
	v_mul_hi_u32 v1, s7, v3
	v_mul_lo_u32 v6, v3, s3
	v_add_u32_e32 v1, v3, v1
	v_lshrrev_b32_e32 v5, s12, v1
	v_mul_hi_u32 v1, s14, v5
	v_sub_u32_e32 v2, v2, v6
	v_mul_lo_u32 v6, v5, s6
	v_mul_lo_u32 v2, v2, s17
	v_add_u32_e32 v1, v5, v1
	v_lshrrev_b32_e32 v1, s15, v1
	v_mul_lo_u32 v8, v1, s13
	v_sub_u32_e32 v3, v3, v6
	v_mul_lo_u32 v3, v3, s18
	v_add3_u32 v0, v4, v0, v2
	v_sub_u32_e32 v5, v5, v8
	v_mul_lo_u32 v5, v5, s19
	v_add3_u32 v0, v3, v0, v5
	s_cbranch_scc1 .LBB141_6
	s_branch .LBB141_132
.LBB141_7:
	s_andn2_saveexec_b64 s[0:1], s[24:25]
	s_cbranch_execz .LBB141_221
.LBB141_8:
	v_cndmask_b32_e64 v0, 0, 1, s[22:23]
	v_cmp_ne_u32_e64 s[0:1], 1, v0
	s_andn2_b64 vcc, exec, s[22:23]
	s_cbranch_vccnz .LBB141_20
; %bb.9:
	s_cmp_lg_u32 s33, 0
	s_mov_b32 s24, 0
	s_cbranch_scc0 .LBB141_23
; %bb.10:
	s_min_u32 s25, s46, 15
	s_add_i32 s25, s25, 1
	s_cmp_eq_u32 s46, 2
	s_cbranch_scc1 .LBB141_24
; %bb.11:
	s_and_b32 s24, s25, 28
	s_add_u32 s2, s20, 0xc4
	s_addc_u32 s3, s21, 0
	s_waitcnt lgkmcnt(0)
	s_mov_b32 s26, 0
	v_mov_b32_e32 v0, 0
	s_mov_b64 s[22:23], s[20:21]
	v_mov_b32_e32 v1, v7
.LBB141_12:                             ; =>This Inner Loop Header: Depth=1
	s_load_dwordx8 s[4:11], s[22:23], 0x4
	s_load_dwordx4 s[12:15], s[22:23], 0x24
	s_load_dwordx4 s[16:19], s[2:3], 0x0
	s_add_u32 s22, s22, 48
	s_addc_u32 s23, s23, 0
	s_waitcnt lgkmcnt(0)
	v_mul_hi_u32 v2, s5, v1
	s_add_i32 s26, s26, 4
	s_add_u32 s2, s2, 16
	s_addc_u32 s3, s3, 0
	v_add_u32_e32 v2, v1, v2
	v_lshrrev_b32_e32 v2, s6, v2
	v_mul_lo_u32 v3, v2, s4
	v_mul_hi_u32 v4, s8, v2
	s_cmp_lg_u32 s24, s26
	v_sub_u32_e32 v1, v1, v3
	v_add_u32_e32 v3, v2, v4
	v_lshrrev_b32_e32 v3, s9, v3
	v_mul_lo_u32 v4, v1, s16
	v_mul_hi_u32 v1, s11, v3
	v_mul_lo_u32 v6, v3, s7
	v_add_u32_e32 v1, v3, v1
	v_lshrrev_b32_e32 v5, s12, v1
	v_mul_hi_u32 v1, s14, v5
	v_sub_u32_e32 v2, v2, v6
	v_mul_lo_u32 v6, v5, s10
	v_mul_lo_u32 v2, v2, s17
	v_add_u32_e32 v1, v5, v1
	v_lshrrev_b32_e32 v1, s15, v1
	v_mul_lo_u32 v8, v1, s13
	v_sub_u32_e32 v3, v3, v6
	v_mul_lo_u32 v3, v3, s18
	v_add3_u32 v0, v4, v0, v2
	v_sub_u32_e32 v5, v5, v8
	v_mul_lo_u32 v5, v5, s19
	v_add3_u32 v0, v3, v0, v5
	s_cbranch_scc1 .LBB141_12
; %bb.13:
	s_and_b32 s6, s25, 3
	s_cmp_eq_u32 s6, 0
	s_cbranch_scc0 .LBB141_25
	s_branch .LBB141_27
.LBB141_14:
	s_or_b64 exec, exec, s[40:41]
	v_cmp_gt_i32_e32 vcc, s48, v7
	s_and_saveexec_b64 s[40:41], vcc
	s_cbranch_execz .LBB141_139
.LBB141_15:
	s_andn2_b64 vcc, exec, s[22:23]
	s_cbranch_vccnz .LBB141_22
; %bb.16:
	s_andn2_b64 vcc, exec, s[38:39]
	s_cbranch_vccnz .LBB141_130
; %bb.17:
	s_add_i32 s51, s49, 1
	s_cmp_eq_u32 s46, 2
	s_cbranch_scc1 .LBB141_147
; %bb.18:
	s_and_b32 s50, s51, 28
	s_mov_b32 s52, 0
	v_mov_b32_e32 v0, 0
	s_mov_b64 s[42:43], s[20:21]
	s_mov_b64 s[44:45], s[36:37]
	v_mov_b32_e32 v1, v7
.LBB141_19:                             ; =>This Inner Loop Header: Depth=1
	s_load_dwordx8 s[0:7], s[42:43], 0x4
	s_load_dwordx4 s[12:15], s[42:43], 0x24
	s_load_dwordx4 s[16:19], s[44:45], 0x0
	s_add_u32 s42, s42, 48
	s_addc_u32 s43, s43, 0
	s_waitcnt lgkmcnt(0)
	v_mul_hi_u32 v2, s1, v1
	s_add_i32 s52, s52, 4
	s_add_u32 s44, s44, 16
	s_addc_u32 s45, s45, 0
	v_add_u32_e32 v2, v1, v2
	v_lshrrev_b32_e32 v2, s2, v2
	v_mul_lo_u32 v3, v2, s0
	v_mul_hi_u32 v4, s4, v2
	s_cmp_eq_u32 s50, s52
	v_sub_u32_e32 v1, v1, v3
	v_add_u32_e32 v3, v2, v4
	v_lshrrev_b32_e32 v3, s5, v3
	v_mul_lo_u32 v4, v1, s16
	v_mul_hi_u32 v1, s7, v3
	v_mul_lo_u32 v6, v3, s3
	v_add_u32_e32 v1, v3, v1
	v_lshrrev_b32_e32 v5, s12, v1
	v_mul_hi_u32 v1, s14, v5
	v_sub_u32_e32 v2, v2, v6
	v_mul_lo_u32 v6, v5, s6
	v_mul_lo_u32 v2, v2, s17
	v_add_u32_e32 v1, v5, v1
	v_lshrrev_b32_e32 v1, s15, v1
	v_mul_lo_u32 v8, v1, s13
	v_sub_u32_e32 v3, v3, v6
	v_mul_lo_u32 v3, v3, s18
	v_add3_u32 v0, v4, v0, v2
	v_sub_u32_e32 v5, v5, v8
	v_mul_lo_u32 v5, v5, s19
	v_add3_u32 v0, v3, v0, v5
	s_cbranch_scc0 .LBB141_19
	s_branch .LBB141_148
.LBB141_20:
                                        ; implicit-def: $vgpr0
	s_branch .LBB141_28
.LBB141_21:
                                        ; implicit-def: $vgpr0
	s_branch .LBB141_136
.LBB141_22:
                                        ; implicit-def: $vgpr0
	s_branch .LBB141_152
.LBB141_23:
	v_mov_b32_e32 v0, 0
	s_branch .LBB141_27
.LBB141_24:
	v_mov_b32_e32 v0, 0
	v_mov_b32_e32 v1, v7
	s_and_b32 s6, s25, 3
	s_cmp_eq_u32 s6, 0
	s_cbranch_scc1 .LBB141_27
.LBB141_25:
	s_lshl_b32 s2, s24, 2
	s_add_u32 s2, s20, s2
	s_addc_u32 s3, s21, 0
	s_add_u32 s2, s2, 0xc4
	s_addc_u32 s3, s3, 0
	s_mul_i32 s4, s24, 12
	s_add_u32 s4, s20, s4
	s_addc_u32 s5, s21, 0
.LBB141_26:                             ; =>This Inner Loop Header: Depth=1
	s_waitcnt lgkmcnt(0)
	s_load_dwordx2 s[8:9], s[4:5], 0x4
	s_load_dword s7, s[4:5], 0xc
	s_add_u32 s4, s4, 12
	s_addc_u32 s5, s5, 0
	s_waitcnt lgkmcnt(0)
	v_mul_hi_u32 v2, s9, v1
	s_load_dword s9, s[2:3], 0x0
	s_add_u32 s2, s2, 4
	s_addc_u32 s3, s3, 0
	v_add_u32_e32 v2, v1, v2
	v_lshrrev_b32_e32 v2, s7, v2
	v_mul_lo_u32 v3, v2, s8
	s_add_i32 s6, s6, -1
	s_cmp_lg_u32 s6, 0
	v_sub_u32_e32 v1, v1, v3
	s_waitcnt lgkmcnt(0)
	v_mad_u64_u32 v[0:1], s[8:9], v1, s9, v[0:1]
	v_mov_b32_e32 v1, v2
	s_cbranch_scc1 .LBB141_26
.LBB141_27:
	s_cbranch_execnz .LBB141_30
.LBB141_28:
	s_load_dwordx4 s[4:7], s[20:21], 0x4
	s_load_dword s2, s[20:21], 0xc4
	s_cmp_lt_u32 s33, 2
	s_waitcnt lgkmcnt(0)
	v_mul_hi_u32 v0, s5, v7
	v_add_u32_e32 v0, v7, v0
	v_lshrrev_b32_e32 v1, s6, v0
	v_mul_lo_u32 v0, v1, s4
	v_sub_u32_e32 v0, v7, v0
	v_mul_lo_u32 v0, v0, s2
	s_cbranch_scc1 .LBB141_30
; %bb.29:
	s_load_dwordx4 s[4:7], s[20:21], 0x10
	s_load_dword s2, s[20:21], 0xc8
	s_waitcnt lgkmcnt(0)
	v_mul_hi_u32 v2, s5, v1
	v_add_u32_e32 v2, v1, v2
	v_lshrrev_b32_e32 v2, s6, v2
	v_mul_lo_u32 v2, v2, s4
	v_sub_u32_e32 v1, v1, v2
	v_mad_u64_u32 v[0:1], s[2:3], v1, s2, v[0:1]
.LBB141_30:
	s_and_b64 vcc, exec, s[0:1]
	v_add_u32_e32 v3, 0x80, v7
	s_cbranch_vccnz .LBB141_36
; %bb.31:
	s_cmp_lg_u32 s33, 0
	s_mov_b32 s24, 0
	s_cbranch_scc0 .LBB141_37
; %bb.32:
	s_min_u32 s25, s46, 15
	s_add_i32 s25, s25, 1
	s_cmp_eq_u32 s46, 2
	s_cbranch_scc1 .LBB141_38
; %bb.33:
	s_and_b32 s24, s25, 28
	s_add_u32 s2, s20, 0xc4
	s_addc_u32 s3, s21, 0
	s_waitcnt lgkmcnt(0)
	s_mov_b32 s26, 0
	v_mov_b32_e32 v1, 0
	s_mov_b64 s[22:23], s[20:21]
	v_mov_b32_e32 v2, v3
.LBB141_34:                             ; =>This Inner Loop Header: Depth=1
	s_load_dwordx8 s[4:11], s[22:23], 0x4
	s_load_dwordx4 s[12:15], s[22:23], 0x24
	s_load_dwordx4 s[16:19], s[2:3], 0x0
	s_add_u32 s22, s22, 48
	s_addc_u32 s23, s23, 0
	s_waitcnt lgkmcnt(0)
	v_mul_hi_u32 v4, s5, v2
	s_add_i32 s26, s26, 4
	s_add_u32 s2, s2, 16
	s_addc_u32 s3, s3, 0
	v_add_u32_e32 v4, v2, v4
	v_lshrrev_b32_e32 v4, s6, v4
	v_mul_lo_u32 v5, v4, s4
	v_mul_hi_u32 v6, s8, v4
	s_cmp_lg_u32 s24, s26
	v_sub_u32_e32 v2, v2, v5
	v_add_u32_e32 v5, v4, v6
	v_lshrrev_b32_e32 v5, s9, v5
	v_mul_lo_u32 v6, v2, s16
	v_mul_hi_u32 v2, s11, v5
	v_mul_lo_u32 v10, v5, s7
	v_add_u32_e32 v2, v5, v2
	v_lshrrev_b32_e32 v8, s12, v2
	v_mul_hi_u32 v2, s14, v8
	v_sub_u32_e32 v4, v4, v10
	v_mul_lo_u32 v10, v8, s10
	v_mul_lo_u32 v4, v4, s17
	v_add_u32_e32 v2, v8, v2
	v_lshrrev_b32_e32 v2, s15, v2
	v_mul_lo_u32 v11, v2, s13
	v_sub_u32_e32 v5, v5, v10
	v_mul_lo_u32 v5, v5, s18
	v_add3_u32 v1, v6, v1, v4
	v_sub_u32_e32 v8, v8, v11
	v_mul_lo_u32 v8, v8, s19
	v_add3_u32 v1, v5, v1, v8
	s_cbranch_scc1 .LBB141_34
; %bb.35:
	s_and_b32 s6, s25, 3
	s_cmp_eq_u32 s6, 0
	s_cbranch_scc0 .LBB141_39
	s_branch .LBB141_41
.LBB141_36:
                                        ; implicit-def: $vgpr1
	s_branch .LBB141_42
.LBB141_37:
	v_mov_b32_e32 v1, 0
	s_branch .LBB141_41
.LBB141_38:
	v_mov_b32_e32 v1, 0
	v_mov_b32_e32 v2, v3
	s_and_b32 s6, s25, 3
	s_cmp_eq_u32 s6, 0
	s_cbranch_scc1 .LBB141_41
.LBB141_39:
	s_lshl_b32 s2, s24, 2
	s_add_u32 s2, s20, s2
	s_addc_u32 s3, s21, 0
	s_add_u32 s2, s2, 0xc4
	s_addc_u32 s3, s3, 0
	s_mul_i32 s4, s24, 12
	s_add_u32 s4, s20, s4
	s_addc_u32 s5, s21, 0
.LBB141_40:                             ; =>This Inner Loop Header: Depth=1
	s_waitcnt lgkmcnt(0)
	s_load_dwordx2 s[8:9], s[4:5], 0x4
	s_load_dword s7, s[4:5], 0xc
	s_add_u32 s4, s4, 12
	s_addc_u32 s5, s5, 0
	s_waitcnt lgkmcnt(0)
	v_mul_hi_u32 v4, s9, v2
	s_load_dword s9, s[2:3], 0x0
	s_add_u32 s2, s2, 4
	s_addc_u32 s3, s3, 0
	v_add_u32_e32 v4, v2, v4
	v_lshrrev_b32_e32 v4, s7, v4
	v_mul_lo_u32 v5, v4, s8
	s_add_i32 s6, s6, -1
	s_cmp_lg_u32 s6, 0
	v_sub_u32_e32 v2, v2, v5
	s_waitcnt lgkmcnt(0)
	v_mad_u64_u32 v[1:2], s[8:9], v2, s9, v[1:2]
	v_mov_b32_e32 v2, v4
	s_cbranch_scc1 .LBB141_40
.LBB141_41:
	s_cbranch_execnz .LBB141_44
.LBB141_42:
	s_load_dwordx4 s[4:7], s[20:21], 0x4
	s_load_dword s2, s[20:21], 0xc4
	s_cmp_lt_u32 s33, 2
	s_waitcnt lgkmcnt(0)
	v_mul_hi_u32 v1, s5, v3
	v_add_u32_e32 v1, v3, v1
	v_lshrrev_b32_e32 v2, s6, v1
	v_mul_lo_u32 v1, v2, s4
	v_sub_u32_e32 v1, v3, v1
	v_mul_lo_u32 v1, v1, s2
	s_cbranch_scc1 .LBB141_44
; %bb.43:
	s_load_dwordx4 s[4:7], s[20:21], 0x10
	s_load_dword s2, s[20:21], 0xc8
	s_waitcnt lgkmcnt(0)
	v_mul_hi_u32 v3, s5, v2
	v_add_u32_e32 v3, v2, v3
	v_lshrrev_b32_e32 v3, s6, v3
	v_mul_lo_u32 v3, v3, s4
	v_sub_u32_e32 v2, v2, v3
	v_mad_u64_u32 v[1:2], s[2:3], v2, s2, v[1:2]
.LBB141_44:
	s_and_b64 vcc, exec, s[0:1]
	v_add_u32_e32 v4, 0x100, v7
	s_cbranch_vccnz .LBB141_50
; %bb.45:
	s_cmp_lg_u32 s33, 0
	s_mov_b32 s24, 0
	s_cbranch_scc0 .LBB141_51
; %bb.46:
	s_min_u32 s25, s46, 15
	s_add_i32 s25, s25, 1
	s_cmp_eq_u32 s46, 2
	s_cbranch_scc1 .LBB141_52
; %bb.47:
	s_and_b32 s24, s25, 28
	s_add_u32 s2, s20, 0xc4
	s_addc_u32 s3, s21, 0
	s_waitcnt lgkmcnt(0)
	s_mov_b32 s26, 0
	v_mov_b32_e32 v2, 0
	s_mov_b64 s[22:23], s[20:21]
	v_mov_b32_e32 v3, v4
.LBB141_48:                             ; =>This Inner Loop Header: Depth=1
	s_load_dwordx8 s[4:11], s[22:23], 0x4
	s_load_dwordx4 s[12:15], s[22:23], 0x24
	s_load_dwordx4 s[16:19], s[2:3], 0x0
	s_add_u32 s22, s22, 48
	s_addc_u32 s23, s23, 0
	s_waitcnt lgkmcnt(0)
	v_mul_hi_u32 v5, s5, v3
	s_add_i32 s26, s26, 4
	s_add_u32 s2, s2, 16
	s_addc_u32 s3, s3, 0
	v_add_u32_e32 v5, v3, v5
	v_lshrrev_b32_e32 v5, s6, v5
	v_mul_lo_u32 v6, v5, s4
	v_mul_hi_u32 v8, s8, v5
	s_cmp_lg_u32 s24, s26
	v_sub_u32_e32 v3, v3, v6
	v_add_u32_e32 v6, v5, v8
	v_lshrrev_b32_e32 v6, s9, v6
	v_mul_lo_u32 v8, v3, s16
	v_mul_hi_u32 v3, s11, v6
	v_mul_lo_u32 v11, v6, s7
	v_add_u32_e32 v3, v6, v3
	v_lshrrev_b32_e32 v10, s12, v3
	v_mul_hi_u32 v3, s14, v10
	v_sub_u32_e32 v5, v5, v11
	v_mul_lo_u32 v11, v10, s10
	v_mul_lo_u32 v5, v5, s17
	v_add_u32_e32 v3, v10, v3
	v_lshrrev_b32_e32 v3, s15, v3
	v_mul_lo_u32 v12, v3, s13
	v_sub_u32_e32 v6, v6, v11
	v_mul_lo_u32 v6, v6, s18
	v_add3_u32 v2, v8, v2, v5
	v_sub_u32_e32 v10, v10, v12
	v_mul_lo_u32 v10, v10, s19
	v_add3_u32 v2, v6, v2, v10
	s_cbranch_scc1 .LBB141_48
; %bb.49:
	s_and_b32 s6, s25, 3
	s_cmp_eq_u32 s6, 0
	s_cbranch_scc0 .LBB141_53
	s_branch .LBB141_55
.LBB141_50:
                                        ; implicit-def: $vgpr2
	s_branch .LBB141_56
.LBB141_51:
	v_mov_b32_e32 v2, 0
	s_branch .LBB141_55
.LBB141_52:
	v_mov_b32_e32 v2, 0
	v_mov_b32_e32 v3, v4
	s_and_b32 s6, s25, 3
	s_cmp_eq_u32 s6, 0
	s_cbranch_scc1 .LBB141_55
.LBB141_53:
	s_lshl_b32 s2, s24, 2
	s_add_u32 s2, s20, s2
	s_addc_u32 s3, s21, 0
	s_add_u32 s2, s2, 0xc4
	s_addc_u32 s3, s3, 0
	s_mul_i32 s4, s24, 12
	s_add_u32 s4, s20, s4
	s_addc_u32 s5, s21, 0
.LBB141_54:                             ; =>This Inner Loop Header: Depth=1
	s_waitcnt lgkmcnt(0)
	s_load_dwordx2 s[8:9], s[4:5], 0x4
	s_load_dword s7, s[4:5], 0xc
	s_add_u32 s4, s4, 12
	s_addc_u32 s5, s5, 0
	s_waitcnt lgkmcnt(0)
	v_mul_hi_u32 v5, s9, v3
	s_load_dword s9, s[2:3], 0x0
	s_add_u32 s2, s2, 4
	s_addc_u32 s3, s3, 0
	v_add_u32_e32 v5, v3, v5
	v_lshrrev_b32_e32 v5, s7, v5
	v_mul_lo_u32 v6, v5, s8
	s_add_i32 s6, s6, -1
	s_cmp_lg_u32 s6, 0
	v_sub_u32_e32 v3, v3, v6
	s_waitcnt lgkmcnt(0)
	v_mad_u64_u32 v[2:3], s[8:9], v3, s9, v[2:3]
	v_mov_b32_e32 v3, v5
	s_cbranch_scc1 .LBB141_54
.LBB141_55:
	s_cbranch_execnz .LBB141_58
.LBB141_56:
	s_load_dwordx4 s[4:7], s[20:21], 0x4
	s_load_dword s2, s[20:21], 0xc4
	s_cmp_lt_u32 s33, 2
	s_waitcnt lgkmcnt(0)
	v_mul_hi_u32 v2, s5, v4
	v_add_u32_e32 v2, v4, v2
	v_lshrrev_b32_e32 v3, s6, v2
	v_mul_lo_u32 v2, v3, s4
	v_sub_u32_e32 v2, v4, v2
	v_mul_lo_u32 v2, v2, s2
	s_cbranch_scc1 .LBB141_58
; %bb.57:
	s_load_dwordx4 s[4:7], s[20:21], 0x10
	s_load_dword s2, s[20:21], 0xc8
	s_waitcnt lgkmcnt(0)
	v_mul_hi_u32 v4, s5, v3
	v_add_u32_e32 v4, v3, v4
	v_lshrrev_b32_e32 v4, s6, v4
	v_mul_lo_u32 v4, v4, s4
	v_sub_u32_e32 v3, v3, v4
	v_mad_u64_u32 v[2:3], s[2:3], v3, s2, v[2:3]
.LBB141_58:
	s_and_b64 vcc, exec, s[0:1]
	v_add_u32_e32 v5, 0x180, v7
	s_cbranch_vccnz .LBB141_64
; %bb.59:
	s_cmp_lg_u32 s33, 0
	s_mov_b32 s24, 0
	s_cbranch_scc0 .LBB141_65
; %bb.60:
	s_min_u32 s25, s46, 15
	s_add_i32 s25, s25, 1
	s_cmp_eq_u32 s46, 2
	s_cbranch_scc1 .LBB141_66
; %bb.61:
	s_and_b32 s24, s25, 28
	s_add_u32 s2, s20, 0xc4
	s_addc_u32 s3, s21, 0
	s_waitcnt lgkmcnt(0)
	s_mov_b32 s26, 0
	v_mov_b32_e32 v3, 0
	s_mov_b64 s[22:23], s[20:21]
	v_mov_b32_e32 v4, v5
.LBB141_62:                             ; =>This Inner Loop Header: Depth=1
	s_load_dwordx8 s[4:11], s[22:23], 0x4
	s_load_dwordx4 s[12:15], s[22:23], 0x24
	s_load_dwordx4 s[16:19], s[2:3], 0x0
	s_add_u32 s22, s22, 48
	s_addc_u32 s23, s23, 0
	s_waitcnt lgkmcnt(0)
	v_mul_hi_u32 v6, s5, v4
	s_add_i32 s26, s26, 4
	s_add_u32 s2, s2, 16
	s_addc_u32 s3, s3, 0
	v_add_u32_e32 v6, v4, v6
	v_lshrrev_b32_e32 v6, s6, v6
	v_mul_lo_u32 v8, v6, s4
	v_mul_hi_u32 v10, s8, v6
	s_cmp_lg_u32 s24, s26
	v_sub_u32_e32 v4, v4, v8
	v_add_u32_e32 v8, v6, v10
	v_lshrrev_b32_e32 v8, s9, v8
	v_mul_lo_u32 v10, v4, s16
	v_mul_hi_u32 v4, s11, v8
	v_mul_lo_u32 v12, v8, s7
	v_add_u32_e32 v4, v8, v4
	v_lshrrev_b32_e32 v11, s12, v4
	v_mul_hi_u32 v4, s14, v11
	v_sub_u32_e32 v6, v6, v12
	v_mul_lo_u32 v12, v11, s10
	v_mul_lo_u32 v6, v6, s17
	v_add_u32_e32 v4, v11, v4
	v_lshrrev_b32_e32 v4, s15, v4
	v_mul_lo_u32 v13, v4, s13
	v_sub_u32_e32 v8, v8, v12
	v_mul_lo_u32 v8, v8, s18
	v_add3_u32 v3, v10, v3, v6
	v_sub_u32_e32 v11, v11, v13
	v_mul_lo_u32 v11, v11, s19
	v_add3_u32 v3, v8, v3, v11
	s_cbranch_scc1 .LBB141_62
; %bb.63:
	s_and_b32 s6, s25, 3
	s_cmp_eq_u32 s6, 0
	s_cbranch_scc0 .LBB141_67
	s_branch .LBB141_69
.LBB141_64:
                                        ; implicit-def: $vgpr3
	s_branch .LBB141_70
.LBB141_65:
	v_mov_b32_e32 v3, 0
	s_branch .LBB141_69
.LBB141_66:
	v_mov_b32_e32 v3, 0
	v_mov_b32_e32 v4, v5
	s_and_b32 s6, s25, 3
	s_cmp_eq_u32 s6, 0
	s_cbranch_scc1 .LBB141_69
.LBB141_67:
	s_lshl_b32 s2, s24, 2
	s_add_u32 s2, s20, s2
	s_addc_u32 s3, s21, 0
	s_add_u32 s2, s2, 0xc4
	s_addc_u32 s3, s3, 0
	s_mul_i32 s4, s24, 12
	s_add_u32 s4, s20, s4
	s_addc_u32 s5, s21, 0
.LBB141_68:                             ; =>This Inner Loop Header: Depth=1
	s_waitcnt lgkmcnt(0)
	s_load_dwordx2 s[8:9], s[4:5], 0x4
	s_load_dword s7, s[4:5], 0xc
	s_add_u32 s4, s4, 12
	s_addc_u32 s5, s5, 0
	s_waitcnt lgkmcnt(0)
	v_mul_hi_u32 v6, s9, v4
	s_load_dword s9, s[2:3], 0x0
	s_add_u32 s2, s2, 4
	s_addc_u32 s3, s3, 0
	v_add_u32_e32 v6, v4, v6
	v_lshrrev_b32_e32 v6, s7, v6
	v_mul_lo_u32 v8, v6, s8
	s_add_i32 s6, s6, -1
	s_cmp_lg_u32 s6, 0
	v_sub_u32_e32 v4, v4, v8
	s_waitcnt lgkmcnt(0)
	v_mad_u64_u32 v[3:4], s[8:9], v4, s9, v[3:4]
	v_mov_b32_e32 v4, v6
	s_cbranch_scc1 .LBB141_68
.LBB141_69:
	s_cbranch_execnz .LBB141_72
.LBB141_70:
	s_load_dwordx4 s[4:7], s[20:21], 0x4
	s_load_dword s2, s[20:21], 0xc4
	s_cmp_lt_u32 s33, 2
	s_waitcnt lgkmcnt(0)
	v_mul_hi_u32 v3, s5, v5
	v_add_u32_e32 v3, v5, v3
	v_lshrrev_b32_e32 v4, s6, v3
	v_mul_lo_u32 v3, v4, s4
	v_sub_u32_e32 v3, v5, v3
	v_mul_lo_u32 v3, v3, s2
	s_cbranch_scc1 .LBB141_72
; %bb.71:
	s_load_dwordx4 s[4:7], s[20:21], 0x10
	s_load_dword s2, s[20:21], 0xc8
	s_waitcnt lgkmcnt(0)
	v_mul_hi_u32 v5, s5, v4
	v_add_u32_e32 v5, v4, v5
	v_lshrrev_b32_e32 v5, s6, v5
	v_mul_lo_u32 v5, v5, s4
	v_sub_u32_e32 v4, v4, v5
	v_mad_u64_u32 v[3:4], s[2:3], v4, s2, v[3:4]
.LBB141_72:
	s_and_b64 vcc, exec, s[0:1]
	v_add_u32_e32 v6, 0x200, v7
	s_cbranch_vccnz .LBB141_78
; %bb.73:
	s_cmp_lg_u32 s33, 0
	s_mov_b32 s24, 0
	s_cbranch_scc0 .LBB141_79
; %bb.74:
	s_min_u32 s25, s46, 15
	s_add_i32 s25, s25, 1
	s_cmp_eq_u32 s46, 2
	s_cbranch_scc1 .LBB141_80
; %bb.75:
	s_and_b32 s24, s25, 28
	s_add_u32 s2, s20, 0xc4
	s_addc_u32 s3, s21, 0
	s_waitcnt lgkmcnt(0)
	s_mov_b32 s26, 0
	v_mov_b32_e32 v4, 0
	s_mov_b64 s[22:23], s[20:21]
	v_mov_b32_e32 v5, v6
.LBB141_76:                             ; =>This Inner Loop Header: Depth=1
	s_load_dwordx8 s[4:11], s[22:23], 0x4
	s_load_dwordx4 s[12:15], s[22:23], 0x24
	s_load_dwordx4 s[16:19], s[2:3], 0x0
	s_add_u32 s22, s22, 48
	s_addc_u32 s23, s23, 0
	s_waitcnt lgkmcnt(0)
	v_mul_hi_u32 v8, s5, v5
	s_add_i32 s26, s26, 4
	s_add_u32 s2, s2, 16
	s_addc_u32 s3, s3, 0
	v_add_u32_e32 v8, v5, v8
	v_lshrrev_b32_e32 v8, s6, v8
	v_mul_lo_u32 v10, v8, s4
	v_mul_hi_u32 v11, s8, v8
	s_cmp_lg_u32 s24, s26
	v_sub_u32_e32 v5, v5, v10
	v_add_u32_e32 v10, v8, v11
	v_lshrrev_b32_e32 v10, s9, v10
	v_mul_lo_u32 v11, v5, s16
	v_mul_hi_u32 v5, s11, v10
	v_mul_lo_u32 v13, v10, s7
	v_add_u32_e32 v5, v10, v5
	v_lshrrev_b32_e32 v12, s12, v5
	v_mul_hi_u32 v5, s14, v12
	v_sub_u32_e32 v8, v8, v13
	v_mul_lo_u32 v13, v12, s10
	v_mul_lo_u32 v8, v8, s17
	v_add_u32_e32 v5, v12, v5
	v_lshrrev_b32_e32 v5, s15, v5
	v_mul_lo_u32 v14, v5, s13
	v_sub_u32_e32 v10, v10, v13
	v_mul_lo_u32 v10, v10, s18
	v_add3_u32 v4, v11, v4, v8
	v_sub_u32_e32 v12, v12, v14
	v_mul_lo_u32 v12, v12, s19
	v_add3_u32 v4, v10, v4, v12
	s_cbranch_scc1 .LBB141_76
; %bb.77:
	s_and_b32 s6, s25, 3
	s_cmp_eq_u32 s6, 0
	s_cbranch_scc0 .LBB141_81
	s_branch .LBB141_83
.LBB141_78:
                                        ; implicit-def: $vgpr4
	s_branch .LBB141_84
.LBB141_79:
	v_mov_b32_e32 v4, 0
	s_branch .LBB141_83
.LBB141_80:
	v_mov_b32_e32 v4, 0
	v_mov_b32_e32 v5, v6
	s_and_b32 s6, s25, 3
	s_cmp_eq_u32 s6, 0
	s_cbranch_scc1 .LBB141_83
.LBB141_81:
	s_lshl_b32 s2, s24, 2
	s_add_u32 s2, s20, s2
	s_addc_u32 s3, s21, 0
	s_add_u32 s2, s2, 0xc4
	s_addc_u32 s3, s3, 0
	s_mul_i32 s4, s24, 12
	s_add_u32 s4, s20, s4
	s_addc_u32 s5, s21, 0
.LBB141_82:                             ; =>This Inner Loop Header: Depth=1
	s_waitcnt lgkmcnt(0)
	s_load_dwordx2 s[8:9], s[4:5], 0x4
	s_load_dword s7, s[4:5], 0xc
	s_add_u32 s4, s4, 12
	s_addc_u32 s5, s5, 0
	s_waitcnt lgkmcnt(0)
	v_mul_hi_u32 v8, s9, v5
	s_load_dword s9, s[2:3], 0x0
	s_add_u32 s2, s2, 4
	s_addc_u32 s3, s3, 0
	v_add_u32_e32 v8, v5, v8
	v_lshrrev_b32_e32 v8, s7, v8
	v_mul_lo_u32 v10, v8, s8
	s_add_i32 s6, s6, -1
	s_cmp_lg_u32 s6, 0
	v_sub_u32_e32 v5, v5, v10
	s_waitcnt lgkmcnt(0)
	v_mad_u64_u32 v[4:5], s[8:9], v5, s9, v[4:5]
	v_mov_b32_e32 v5, v8
	s_cbranch_scc1 .LBB141_82
.LBB141_83:
	s_cbranch_execnz .LBB141_86
.LBB141_84:
	s_load_dwordx4 s[4:7], s[20:21], 0x4
	s_load_dword s2, s[20:21], 0xc4
	s_cmp_lt_u32 s33, 2
	s_waitcnt lgkmcnt(0)
	v_mul_hi_u32 v4, s5, v6
	v_add_u32_e32 v4, v6, v4
	v_lshrrev_b32_e32 v5, s6, v4
	v_mul_lo_u32 v4, v5, s4
	v_sub_u32_e32 v4, v6, v4
	v_mul_lo_u32 v4, v4, s2
	s_cbranch_scc1 .LBB141_86
; %bb.85:
	s_load_dwordx4 s[4:7], s[20:21], 0x10
	s_load_dword s2, s[20:21], 0xc8
	s_waitcnt lgkmcnt(0)
	v_mul_hi_u32 v6, s5, v5
	v_add_u32_e32 v6, v5, v6
	v_lshrrev_b32_e32 v6, s6, v6
	v_mul_lo_u32 v6, v6, s4
	v_sub_u32_e32 v5, v5, v6
	v_mad_u64_u32 v[4:5], s[2:3], v5, s2, v[4:5]
.LBB141_86:
	s_and_b64 vcc, exec, s[0:1]
	v_add_u32_e32 v8, 0x280, v7
	s_cbranch_vccnz .LBB141_92
; %bb.87:
	s_cmp_lg_u32 s33, 0
	s_mov_b32 s24, 0
	s_cbranch_scc0 .LBB141_93
; %bb.88:
	s_min_u32 s25, s46, 15
	s_add_i32 s25, s25, 1
	s_cmp_eq_u32 s46, 2
	s_cbranch_scc1 .LBB141_94
; %bb.89:
	s_and_b32 s24, s25, 28
	s_add_u32 s2, s20, 0xc4
	s_addc_u32 s3, s21, 0
	s_waitcnt lgkmcnt(0)
	s_mov_b32 s26, 0
	v_mov_b32_e32 v5, 0
	s_mov_b64 s[22:23], s[20:21]
	v_mov_b32_e32 v6, v8
.LBB141_90:                             ; =>This Inner Loop Header: Depth=1
	s_load_dwordx8 s[4:11], s[22:23], 0x4
	s_load_dwordx4 s[12:15], s[22:23], 0x24
	s_load_dwordx4 s[16:19], s[2:3], 0x0
	s_add_u32 s22, s22, 48
	s_addc_u32 s23, s23, 0
	s_waitcnt lgkmcnt(0)
	v_mul_hi_u32 v10, s5, v6
	s_add_i32 s26, s26, 4
	s_add_u32 s2, s2, 16
	s_addc_u32 s3, s3, 0
	v_add_u32_e32 v10, v6, v10
	v_lshrrev_b32_e32 v10, s6, v10
	v_mul_lo_u32 v11, v10, s4
	v_mul_hi_u32 v12, s8, v10
	s_cmp_lg_u32 s24, s26
	v_sub_u32_e32 v6, v6, v11
	v_add_u32_e32 v11, v10, v12
	v_lshrrev_b32_e32 v11, s9, v11
	v_mul_lo_u32 v12, v6, s16
	v_mul_hi_u32 v6, s11, v11
	v_mul_lo_u32 v14, v11, s7
	v_add_u32_e32 v6, v11, v6
	v_lshrrev_b32_e32 v13, s12, v6
	v_mul_hi_u32 v6, s14, v13
	v_sub_u32_e32 v10, v10, v14
	v_mul_lo_u32 v14, v13, s10
	v_mul_lo_u32 v10, v10, s17
	v_add_u32_e32 v6, v13, v6
	v_lshrrev_b32_e32 v6, s15, v6
	v_mul_lo_u32 v15, v6, s13
	v_sub_u32_e32 v11, v11, v14
	v_mul_lo_u32 v11, v11, s18
	v_add3_u32 v5, v12, v5, v10
	v_sub_u32_e32 v13, v13, v15
	v_mul_lo_u32 v13, v13, s19
	v_add3_u32 v5, v11, v5, v13
	s_cbranch_scc1 .LBB141_90
; %bb.91:
	s_and_b32 s6, s25, 3
	s_cmp_eq_u32 s6, 0
	s_cbranch_scc0 .LBB141_95
	s_branch .LBB141_97
.LBB141_92:
                                        ; implicit-def: $vgpr5
	s_branch .LBB141_98
.LBB141_93:
	v_mov_b32_e32 v5, 0
	s_branch .LBB141_97
.LBB141_94:
	v_mov_b32_e32 v5, 0
	v_mov_b32_e32 v6, v8
	s_and_b32 s6, s25, 3
	s_cmp_eq_u32 s6, 0
	s_cbranch_scc1 .LBB141_97
.LBB141_95:
	s_lshl_b32 s2, s24, 2
	s_add_u32 s2, s20, s2
	s_addc_u32 s3, s21, 0
	s_add_u32 s2, s2, 0xc4
	s_addc_u32 s3, s3, 0
	s_mul_i32 s4, s24, 12
	s_add_u32 s4, s20, s4
	s_addc_u32 s5, s21, 0
.LBB141_96:                             ; =>This Inner Loop Header: Depth=1
	s_waitcnt lgkmcnt(0)
	s_load_dwordx2 s[8:9], s[4:5], 0x4
	s_load_dword s7, s[4:5], 0xc
	s_add_u32 s4, s4, 12
	s_addc_u32 s5, s5, 0
	s_waitcnt lgkmcnt(0)
	v_mul_hi_u32 v10, s9, v6
	s_load_dword s9, s[2:3], 0x0
	s_add_u32 s2, s2, 4
	s_addc_u32 s3, s3, 0
	v_add_u32_e32 v10, v6, v10
	v_lshrrev_b32_e32 v10, s7, v10
	v_mul_lo_u32 v11, v10, s8
	s_add_i32 s6, s6, -1
	s_cmp_lg_u32 s6, 0
	v_sub_u32_e32 v6, v6, v11
	s_waitcnt lgkmcnt(0)
	v_mad_u64_u32 v[5:6], s[8:9], v6, s9, v[5:6]
	v_mov_b32_e32 v6, v10
	s_cbranch_scc1 .LBB141_96
.LBB141_97:
	s_cbranch_execnz .LBB141_100
.LBB141_98:
	s_load_dwordx4 s[4:7], s[20:21], 0x4
	s_load_dword s2, s[20:21], 0xc4
	s_cmp_lt_u32 s33, 2
	s_waitcnt lgkmcnt(0)
	v_mul_hi_u32 v5, s5, v8
	v_add_u32_e32 v5, v8, v5
	v_lshrrev_b32_e32 v6, s6, v5
	v_mul_lo_u32 v5, v6, s4
	v_sub_u32_e32 v5, v8, v5
	v_mul_lo_u32 v5, v5, s2
	s_cbranch_scc1 .LBB141_100
; %bb.99:
	s_load_dwordx4 s[4:7], s[20:21], 0x10
	s_load_dword s2, s[20:21], 0xc8
	s_waitcnt lgkmcnt(0)
	v_mul_hi_u32 v8, s5, v6
	v_add_u32_e32 v8, v6, v8
	v_lshrrev_b32_e32 v8, s6, v8
	v_mul_lo_u32 v8, v8, s4
	v_sub_u32_e32 v6, v6, v8
	v_mad_u64_u32 v[5:6], s[2:3], v6, s2, v[5:6]
.LBB141_100:
	s_and_b64 vcc, exec, s[0:1]
	v_add_u32_e32 v8, 0x300, v7
	s_cbranch_vccnz .LBB141_106
; %bb.101:
	s_cmp_lg_u32 s33, 0
	s_mov_b32 s24, 0
	s_cbranch_scc0 .LBB141_107
; %bb.102:
	s_min_u32 s25, s46, 15
	s_add_i32 s25, s25, 1
	s_cmp_eq_u32 s46, 2
	s_cbranch_scc1 .LBB141_108
; %bb.103:
	s_and_b32 s24, s25, 28
	s_add_u32 s2, s20, 0xc4
	s_addc_u32 s3, s21, 0
	s_waitcnt lgkmcnt(0)
	s_mov_b32 s26, 0
	v_mov_b32_e32 v6, 0
	s_mov_b64 s[22:23], s[20:21]
	v_mov_b32_e32 v7, v8
.LBB141_104:                            ; =>This Inner Loop Header: Depth=1
	s_load_dwordx8 s[4:11], s[22:23], 0x4
	s_load_dwordx4 s[12:15], s[22:23], 0x24
	s_load_dwordx4 s[16:19], s[2:3], 0x0
	s_add_u32 s22, s22, 48
	s_addc_u32 s23, s23, 0
	s_waitcnt lgkmcnt(0)
	v_mul_hi_u32 v10, s5, v7
	s_add_i32 s26, s26, 4
	s_add_u32 s2, s2, 16
	s_addc_u32 s3, s3, 0
	v_add_u32_e32 v10, v7, v10
	v_lshrrev_b32_e32 v10, s6, v10
	v_mul_lo_u32 v11, v10, s4
	v_mul_hi_u32 v12, s8, v10
	s_cmp_lg_u32 s24, s26
	v_sub_u32_e32 v7, v7, v11
	v_add_u32_e32 v11, v10, v12
	v_lshrrev_b32_e32 v11, s9, v11
	v_mul_lo_u32 v12, v7, s16
	v_mul_hi_u32 v7, s11, v11
	v_mul_lo_u32 v14, v11, s7
	v_add_u32_e32 v7, v11, v7
	v_lshrrev_b32_e32 v13, s12, v7
	v_mul_hi_u32 v7, s14, v13
	v_sub_u32_e32 v10, v10, v14
	v_mul_lo_u32 v14, v13, s10
	v_mul_lo_u32 v10, v10, s17
	v_add_u32_e32 v7, v13, v7
	v_lshrrev_b32_e32 v7, s15, v7
	v_mul_lo_u32 v15, v7, s13
	v_sub_u32_e32 v11, v11, v14
	v_mul_lo_u32 v11, v11, s18
	v_add3_u32 v6, v12, v6, v10
	v_sub_u32_e32 v13, v13, v15
	v_mul_lo_u32 v13, v13, s19
	v_add3_u32 v6, v11, v6, v13
	s_cbranch_scc1 .LBB141_104
; %bb.105:
	s_and_b32 s6, s25, 3
	s_cmp_eq_u32 s6, 0
	s_cbranch_scc0 .LBB141_109
	s_branch .LBB141_111
.LBB141_106:
                                        ; implicit-def: $vgpr6
	s_branch .LBB141_112
.LBB141_107:
	v_mov_b32_e32 v6, 0
	s_branch .LBB141_111
.LBB141_108:
	v_mov_b32_e32 v6, 0
	v_mov_b32_e32 v7, v8
	s_and_b32 s6, s25, 3
	s_cmp_eq_u32 s6, 0
	s_cbranch_scc1 .LBB141_111
.LBB141_109:
	s_lshl_b32 s2, s24, 2
	s_add_u32 s2, s20, s2
	s_addc_u32 s3, s21, 0
	s_add_u32 s2, s2, 0xc4
	s_addc_u32 s3, s3, 0
	s_mul_i32 s4, s24, 12
	s_add_u32 s4, s20, s4
	s_addc_u32 s5, s21, 0
.LBB141_110:                            ; =>This Inner Loop Header: Depth=1
	s_waitcnt lgkmcnt(0)
	s_load_dwordx2 s[8:9], s[4:5], 0x4
	s_load_dword s7, s[4:5], 0xc
	s_add_u32 s4, s4, 12
	s_addc_u32 s5, s5, 0
	s_waitcnt lgkmcnt(0)
	v_mul_hi_u32 v10, s9, v7
	s_load_dword s9, s[2:3], 0x0
	s_add_u32 s2, s2, 4
	s_addc_u32 s3, s3, 0
	v_add_u32_e32 v10, v7, v10
	v_lshrrev_b32_e32 v10, s7, v10
	v_mul_lo_u32 v11, v10, s8
	s_add_i32 s6, s6, -1
	s_cmp_lg_u32 s6, 0
	v_sub_u32_e32 v7, v7, v11
	s_waitcnt lgkmcnt(0)
	v_mad_u64_u32 v[6:7], s[8:9], v7, s9, v[6:7]
	v_mov_b32_e32 v7, v10
	s_cbranch_scc1 .LBB141_110
.LBB141_111:
	s_cbranch_execnz .LBB141_114
.LBB141_112:
	s_load_dwordx4 s[4:7], s[20:21], 0x4
	s_load_dword s2, s[20:21], 0xc4
	s_cmp_lt_u32 s33, 2
	s_waitcnt lgkmcnt(0)
	v_mul_hi_u32 v6, s5, v8
	v_add_u32_e32 v6, v8, v6
	v_lshrrev_b32_e32 v7, s6, v6
	v_mul_lo_u32 v6, v7, s4
	v_sub_u32_e32 v6, v8, v6
	v_mul_lo_u32 v6, v6, s2
	s_cbranch_scc1 .LBB141_114
; %bb.113:
	s_load_dwordx4 s[4:7], s[20:21], 0x10
	s_load_dword s2, s[20:21], 0xc8
	s_waitcnt lgkmcnt(0)
	v_mul_hi_u32 v8, s5, v7
	v_add_u32_e32 v8, v7, v8
	v_lshrrev_b32_e32 v8, s6, v8
	v_mul_lo_u32 v8, v8, s4
	v_sub_u32_e32 v7, v7, v8
	v_mad_u64_u32 v[6:7], s[2:3], v7, s2, v[6:7]
.LBB141_114:
	s_and_b64 vcc, exec, s[0:1]
	s_cbranch_vccnz .LBB141_120
; %bb.115:
	s_cmp_lg_u32 s33, 0
	s_mov_b32 s22, 0
	s_cbranch_scc0 .LBB141_121
; %bb.116:
	s_min_u32 s23, s46, 15
	s_add_i32 s23, s23, 1
	s_cmp_eq_u32 s46, 2
	s_cbranch_scc1 .LBB141_122
; %bb.117:
	s_and_b32 s22, s23, 28
	s_add_u32 s16, s20, 0xc4
	s_addc_u32 s17, s21, 0
	s_mov_b32 s24, 0
	v_mov_b32_e32 v7, 0
	s_mov_b64 s[18:19], s[20:21]
	v_mov_b32_e32 v8, v9
.LBB141_118:                            ; =>This Inner Loop Header: Depth=1
	s_load_dwordx8 s[0:7], s[18:19], 0x4
	s_waitcnt lgkmcnt(0)
	s_load_dwordx4 s[8:11], s[18:19], 0x24
	s_load_dwordx4 s[12:15], s[16:17], 0x0
	s_add_u32 s18, s18, 48
	s_addc_u32 s19, s19, 0
	v_mul_hi_u32 v10, s1, v8
	s_add_i32 s24, s24, 4
	s_add_u32 s16, s16, 16
	s_addc_u32 s17, s17, 0
	v_add_u32_e32 v10, v8, v10
	v_lshrrev_b32_e32 v10, s2, v10
	v_mul_lo_u32 v11, v10, s0
	v_mul_hi_u32 v12, s4, v10
	s_cmp_lg_u32 s22, s24
	v_sub_u32_e32 v8, v8, v11
	v_add_u32_e32 v11, v10, v12
	v_lshrrev_b32_e32 v11, s5, v11
	s_waitcnt lgkmcnt(0)
	v_mul_lo_u32 v12, v8, s12
	v_mul_hi_u32 v8, s7, v11
	v_mul_lo_u32 v14, v11, s3
	v_add_u32_e32 v8, v11, v8
	v_lshrrev_b32_e32 v13, s8, v8
	v_mul_hi_u32 v8, s10, v13
	v_sub_u32_e32 v10, v10, v14
	v_mul_lo_u32 v14, v13, s6
	v_mul_lo_u32 v10, v10, s13
	v_add_u32_e32 v8, v13, v8
	v_lshrrev_b32_e32 v8, s11, v8
	v_mul_lo_u32 v15, v8, s9
	v_sub_u32_e32 v11, v11, v14
	v_mul_lo_u32 v11, v11, s14
	v_add3_u32 v7, v12, v7, v10
	v_sub_u32_e32 v13, v13, v15
	v_mul_lo_u32 v13, v13, s15
	v_add3_u32 v7, v11, v7, v13
	s_cbranch_scc1 .LBB141_118
; %bb.119:
	s_and_b32 s4, s23, 3
	s_cmp_eq_u32 s4, 0
	s_cbranch_scc0 .LBB141_123
	s_branch .LBB141_125
.LBB141_120:
                                        ; implicit-def: $vgpr7
	s_branch .LBB141_126
.LBB141_121:
	v_mov_b32_e32 v7, 0
	s_branch .LBB141_125
.LBB141_122:
	v_mov_b32_e32 v7, 0
	v_mov_b32_e32 v8, v9
	s_and_b32 s4, s23, 3
	s_cmp_eq_u32 s4, 0
	s_cbranch_scc1 .LBB141_125
.LBB141_123:
	s_lshl_b32 s0, s22, 2
	s_add_u32 s0, s20, s0
	s_addc_u32 s1, s21, 0
	s_add_u32 s0, s0, 0xc4
	s_addc_u32 s1, s1, 0
	s_mul_i32 s2, s22, 12
	s_add_u32 s2, s20, s2
	s_addc_u32 s3, s21, 0
.LBB141_124:                            ; =>This Inner Loop Header: Depth=1
	s_load_dwordx2 s[6:7], s[2:3], 0x4
	s_load_dword s5, s[2:3], 0xc
	s_add_u32 s2, s2, 12
	s_addc_u32 s3, s3, 0
	s_waitcnt lgkmcnt(0)
	v_mul_hi_u32 v10, s7, v8
	s_load_dword s7, s[0:1], 0x0
	s_add_u32 s0, s0, 4
	s_addc_u32 s1, s1, 0
	v_add_u32_e32 v10, v8, v10
	v_lshrrev_b32_e32 v10, s5, v10
	v_mul_lo_u32 v11, v10, s6
	s_add_i32 s4, s4, -1
	s_cmp_lg_u32 s4, 0
	v_sub_u32_e32 v8, v8, v11
	s_waitcnt lgkmcnt(0)
	v_mad_u64_u32 v[7:8], s[6:7], v8, s7, v[7:8]
	v_mov_b32_e32 v8, v10
	s_cbranch_scc1 .LBB141_124
.LBB141_125:
	s_cbranch_execnz .LBB141_128
.LBB141_126:
	s_load_dwordx4 s[0:3], s[20:21], 0x4
	s_waitcnt lgkmcnt(0)
	s_load_dword s3, s[20:21], 0xc4
	s_cmp_lt_u32 s33, 2
	v_mul_hi_u32 v7, s1, v9
	v_add_u32_e32 v7, v9, v7
	v_lshrrev_b32_e32 v8, s2, v7
	v_mul_lo_u32 v7, v8, s0
	v_sub_u32_e32 v7, v9, v7
	s_waitcnt lgkmcnt(0)
	v_mul_lo_u32 v7, v7, s3
	s_cbranch_scc1 .LBB141_128
; %bb.127:
	s_load_dwordx4 s[0:3], s[20:21], 0x10
	s_waitcnt lgkmcnt(0)
	s_load_dword s3, s[20:21], 0xc8
	v_mul_hi_u32 v9, s1, v8
	v_add_u32_e32 v9, v8, v9
	v_lshrrev_b32_e32 v9, s2, v9
	v_mul_lo_u32 v9, v9, s0
	v_sub_u32_e32 v8, v8, v9
	s_waitcnt lgkmcnt(0)
	v_mad_u64_u32 v[7:8], s[0:1], v8, s3, v[7:8]
.LBB141_128:
	s_load_dword s2, s[20:21], 0x110
	s_load_dwordx2 s[0:1], s[20:21], 0x108
	s_waitcnt lgkmcnt(0)
	v_mov_b32_e32 v8, s2
	s_nop 0
	global_store_byte v0, v8, s[0:1]
	global_store_byte v1, v8, s[0:1]
	;; [unrolled: 1-line block ×8, first 2 shown]
	s_endpgm
.LBB141_129:
	v_mov_b32_e32 v0, 0
	s_branch .LBB141_135
.LBB141_130:
	v_mov_b32_e32 v0, 0
	s_branch .LBB141_151
.LBB141_131:
	v_mov_b32_e32 v0, 0
	s_mov_b32 s50, 0
	v_mov_b32_e32 v1, v7
.LBB141_132:
	s_and_b32 s4, s51, 3
	s_cmp_eq_u32 s4, 0
	s_cbranch_scc1 .LBB141_135
; %bb.133:
	s_lshl_b32 s0, s50, 2
	s_add_u32 s0, s20, s0
	s_addc_u32 s1, s21, 0
	s_add_u32 s0, s0, 0xc4
	s_addc_u32 s1, s1, 0
	s_mul_i32 s2, s50, 12
	s_add_u32 s2, s20, s2
	s_addc_u32 s3, s21, 0
.LBB141_134:                            ; =>This Inner Loop Header: Depth=1
	s_load_dwordx2 s[6:7], s[2:3], 0x4
	s_load_dword s5, s[2:3], 0xc
	s_add_u32 s2, s2, 12
	s_addc_u32 s3, s3, 0
	s_waitcnt lgkmcnt(0)
	v_mul_hi_u32 v2, s7, v1
	s_load_dword s7, s[0:1], 0x0
	s_add_u32 s0, s0, 4
	s_addc_u32 s1, s1, 0
	v_add_u32_e32 v2, v1, v2
	v_lshrrev_b32_e32 v2, s5, v2
	v_mul_lo_u32 v3, v2, s6
	s_add_i32 s4, s4, -1
	s_cmp_lg_u32 s4, 0
	v_sub_u32_e32 v1, v1, v3
	s_waitcnt lgkmcnt(0)
	v_mad_u64_u32 v[0:1], s[6:7], v1, s7, v[0:1]
	v_mov_b32_e32 v1, v2
	s_cbranch_scc1 .LBB141_134
.LBB141_135:
	s_cbranch_execnz .LBB141_138
.LBB141_136:
	s_waitcnt lgkmcnt(0)
	v_mul_hi_u32 v0, s9, v7
	s_andn2_b64 vcc, exec, s[34:35]
	v_add_u32_e32 v0, v7, v0
	v_lshrrev_b32_e32 v1, s10, v0
	v_mul_lo_u32 v0, v1, s8
	v_sub_u32_e32 v0, v7, v0
	v_mul_lo_u32 v0, v0, s28
	s_cbranch_vccnz .LBB141_138
; %bb.137:
	v_mul_hi_u32 v2, s30, v1
	v_add_u32_e32 v2, v1, v2
	v_lshrrev_b32_e32 v2, s31, v2
	v_mul_lo_u32 v2, v2, s11
	v_sub_u32_e32 v1, v1, v2
	v_mad_u64_u32 v[0:1], s[0:1], v1, s29, v[0:1]
.LBB141_138:
	s_waitcnt lgkmcnt(0)
	v_mov_b32_e32 v1, s47
	v_add_u32_e32 v7, 0x80, v7
	global_store_byte v0, v1, s[26:27]
	s_or_b64 exec, exec, s[40:41]
	v_cmp_gt_i32_e32 vcc, s48, v7
	s_and_saveexec_b64 s[40:41], vcc
	s_cbranch_execnz .LBB141_15
.LBB141_139:
	s_or_b64 exec, exec, s[40:41]
	v_cmp_gt_i32_e32 vcc, s48, v7
	s_and_saveexec_b64 s[40:41], vcc
	s_cbranch_execz .LBB141_155
.LBB141_140:
	s_andn2_b64 vcc, exec, s[22:23]
	s_cbranch_vccnz .LBB141_145
; %bb.141:
	s_andn2_b64 vcc, exec, s[38:39]
	s_cbranch_vccnz .LBB141_146
; %bb.142:
	s_add_i32 s51, s49, 1
	s_cmp_eq_u32 s46, 2
	s_cbranch_scc1 .LBB141_163
; %bb.143:
	s_and_b32 s50, s51, 28
	s_mov_b32 s52, 0
	v_mov_b32_e32 v0, 0
	s_mov_b64 s[42:43], s[20:21]
	s_mov_b64 s[44:45], s[36:37]
	v_mov_b32_e32 v1, v7
.LBB141_144:                            ; =>This Inner Loop Header: Depth=1
	s_load_dwordx8 s[0:7], s[42:43], 0x4
	s_load_dwordx4 s[12:15], s[42:43], 0x24
	s_load_dwordx4 s[16:19], s[44:45], 0x0
	s_add_u32 s42, s42, 48
	s_addc_u32 s43, s43, 0
	s_waitcnt lgkmcnt(0)
	v_mul_hi_u32 v2, s1, v1
	s_add_i32 s52, s52, 4
	s_add_u32 s44, s44, 16
	s_addc_u32 s45, s45, 0
	v_add_u32_e32 v2, v1, v2
	v_lshrrev_b32_e32 v2, s2, v2
	v_mul_lo_u32 v3, v2, s0
	v_mul_hi_u32 v4, s4, v2
	s_cmp_eq_u32 s50, s52
	v_sub_u32_e32 v1, v1, v3
	v_add_u32_e32 v3, v2, v4
	v_lshrrev_b32_e32 v3, s5, v3
	v_mul_lo_u32 v4, v1, s16
	v_mul_hi_u32 v1, s7, v3
	v_mul_lo_u32 v6, v3, s3
	v_add_u32_e32 v1, v3, v1
	v_lshrrev_b32_e32 v5, s12, v1
	v_mul_hi_u32 v1, s14, v5
	v_sub_u32_e32 v2, v2, v6
	v_mul_lo_u32 v6, v5, s6
	v_mul_lo_u32 v2, v2, s17
	v_add_u32_e32 v1, v5, v1
	v_lshrrev_b32_e32 v1, s15, v1
	v_mul_lo_u32 v8, v1, s13
	v_sub_u32_e32 v3, v3, v6
	v_mul_lo_u32 v3, v3, s18
	v_add3_u32 v0, v4, v0, v2
	v_sub_u32_e32 v5, v5, v8
	v_mul_lo_u32 v5, v5, s19
	v_add3_u32 v0, v3, v0, v5
	s_cbranch_scc0 .LBB141_144
	s_branch .LBB141_164
.LBB141_145:
                                        ; implicit-def: $vgpr0
	s_branch .LBB141_168
.LBB141_146:
	v_mov_b32_e32 v0, 0
	s_branch .LBB141_167
.LBB141_147:
	v_mov_b32_e32 v0, 0
	s_mov_b32 s50, 0
	v_mov_b32_e32 v1, v7
.LBB141_148:
	s_and_b32 s4, s51, 3
	s_cmp_eq_u32 s4, 0
	s_cbranch_scc1 .LBB141_151
; %bb.149:
	s_lshl_b32 s0, s50, 2
	s_add_u32 s0, s20, s0
	s_addc_u32 s1, s21, 0
	s_add_u32 s0, s0, 0xc4
	s_addc_u32 s1, s1, 0
	s_mul_i32 s2, s50, 12
	s_add_u32 s2, s20, s2
	s_addc_u32 s3, s21, 0
.LBB141_150:                            ; =>This Inner Loop Header: Depth=1
	s_load_dwordx2 s[6:7], s[2:3], 0x4
	s_load_dword s5, s[2:3], 0xc
	s_add_u32 s2, s2, 12
	s_addc_u32 s3, s3, 0
	s_waitcnt lgkmcnt(0)
	v_mul_hi_u32 v2, s7, v1
	s_load_dword s7, s[0:1], 0x0
	s_add_u32 s0, s0, 4
	s_addc_u32 s1, s1, 0
	v_add_u32_e32 v2, v1, v2
	v_lshrrev_b32_e32 v2, s5, v2
	v_mul_lo_u32 v3, v2, s6
	s_add_i32 s4, s4, -1
	s_cmp_lg_u32 s4, 0
	v_sub_u32_e32 v1, v1, v3
	s_waitcnt lgkmcnt(0)
	v_mad_u64_u32 v[0:1], s[6:7], v1, s7, v[0:1]
	v_mov_b32_e32 v1, v2
	s_cbranch_scc1 .LBB141_150
.LBB141_151:
	s_cbranch_execnz .LBB141_154
.LBB141_152:
	s_waitcnt lgkmcnt(0)
	v_mul_hi_u32 v0, s9, v7
	s_andn2_b64 vcc, exec, s[34:35]
	v_add_u32_e32 v0, v7, v0
	v_lshrrev_b32_e32 v1, s10, v0
	v_mul_lo_u32 v0, v1, s8
	v_sub_u32_e32 v0, v7, v0
	v_mul_lo_u32 v0, v0, s28
	s_cbranch_vccnz .LBB141_154
; %bb.153:
	v_mul_hi_u32 v2, s30, v1
	v_add_u32_e32 v2, v1, v2
	v_lshrrev_b32_e32 v2, s31, v2
	v_mul_lo_u32 v2, v2, s11
	v_sub_u32_e32 v1, v1, v2
	v_mad_u64_u32 v[0:1], s[0:1], v1, s29, v[0:1]
.LBB141_154:
	s_waitcnt lgkmcnt(0)
	v_mov_b32_e32 v1, s47
	v_add_u32_e32 v7, 0x80, v7
	global_store_byte v0, v1, s[26:27]
	s_or_b64 exec, exec, s[40:41]
	v_cmp_gt_i32_e32 vcc, s48, v7
	s_and_saveexec_b64 s[40:41], vcc
	s_cbranch_execnz .LBB141_140
.LBB141_155:
	s_or_b64 exec, exec, s[40:41]
	v_cmp_gt_i32_e32 vcc, s48, v7
	s_and_saveexec_b64 s[40:41], vcc
	s_cbranch_execz .LBB141_171
.LBB141_156:
	s_andn2_b64 vcc, exec, s[22:23]
	s_cbranch_vccnz .LBB141_161
; %bb.157:
	s_andn2_b64 vcc, exec, s[38:39]
	s_cbranch_vccnz .LBB141_162
; %bb.158:
	s_add_i32 s51, s49, 1
	s_cmp_eq_u32 s46, 2
	s_cbranch_scc1 .LBB141_179
; %bb.159:
	s_and_b32 s50, s51, 28
	s_mov_b32 s52, 0
	v_mov_b32_e32 v0, 0
	s_mov_b64 s[42:43], s[20:21]
	s_mov_b64 s[44:45], s[36:37]
	v_mov_b32_e32 v1, v7
.LBB141_160:                            ; =>This Inner Loop Header: Depth=1
	s_load_dwordx8 s[0:7], s[42:43], 0x4
	s_load_dwordx4 s[12:15], s[42:43], 0x24
	s_load_dwordx4 s[16:19], s[44:45], 0x0
	s_add_u32 s42, s42, 48
	s_addc_u32 s43, s43, 0
	s_waitcnt lgkmcnt(0)
	v_mul_hi_u32 v2, s1, v1
	s_add_i32 s52, s52, 4
	s_add_u32 s44, s44, 16
	s_addc_u32 s45, s45, 0
	v_add_u32_e32 v2, v1, v2
	v_lshrrev_b32_e32 v2, s2, v2
	v_mul_lo_u32 v3, v2, s0
	v_mul_hi_u32 v4, s4, v2
	s_cmp_eq_u32 s50, s52
	v_sub_u32_e32 v1, v1, v3
	v_add_u32_e32 v3, v2, v4
	v_lshrrev_b32_e32 v3, s5, v3
	v_mul_lo_u32 v4, v1, s16
	v_mul_hi_u32 v1, s7, v3
	v_mul_lo_u32 v6, v3, s3
	v_add_u32_e32 v1, v3, v1
	v_lshrrev_b32_e32 v5, s12, v1
	v_mul_hi_u32 v1, s14, v5
	v_sub_u32_e32 v2, v2, v6
	v_mul_lo_u32 v6, v5, s6
	v_mul_lo_u32 v2, v2, s17
	v_add_u32_e32 v1, v5, v1
	v_lshrrev_b32_e32 v1, s15, v1
	v_mul_lo_u32 v8, v1, s13
	v_sub_u32_e32 v3, v3, v6
	v_mul_lo_u32 v3, v3, s18
	v_add3_u32 v0, v4, v0, v2
	v_sub_u32_e32 v5, v5, v8
	v_mul_lo_u32 v5, v5, s19
	v_add3_u32 v0, v3, v0, v5
	s_cbranch_scc0 .LBB141_160
	s_branch .LBB141_180
.LBB141_161:
                                        ; implicit-def: $vgpr0
	s_branch .LBB141_184
.LBB141_162:
	v_mov_b32_e32 v0, 0
	s_branch .LBB141_183
.LBB141_163:
	v_mov_b32_e32 v0, 0
	s_mov_b32 s50, 0
	v_mov_b32_e32 v1, v7
.LBB141_164:
	s_and_b32 s4, s51, 3
	s_cmp_eq_u32 s4, 0
	s_cbranch_scc1 .LBB141_167
; %bb.165:
	s_lshl_b32 s0, s50, 2
	s_add_u32 s0, s20, s0
	s_addc_u32 s1, s21, 0
	s_add_u32 s0, s0, 0xc4
	s_addc_u32 s1, s1, 0
	s_mul_i32 s2, s50, 12
	s_add_u32 s2, s20, s2
	s_addc_u32 s3, s21, 0
.LBB141_166:                            ; =>This Inner Loop Header: Depth=1
	s_load_dwordx2 s[6:7], s[2:3], 0x4
	s_load_dword s5, s[2:3], 0xc
	s_add_u32 s2, s2, 12
	s_addc_u32 s3, s3, 0
	s_waitcnt lgkmcnt(0)
	v_mul_hi_u32 v2, s7, v1
	s_load_dword s7, s[0:1], 0x0
	s_add_u32 s0, s0, 4
	s_addc_u32 s1, s1, 0
	v_add_u32_e32 v2, v1, v2
	v_lshrrev_b32_e32 v2, s5, v2
	v_mul_lo_u32 v3, v2, s6
	s_add_i32 s4, s4, -1
	s_cmp_lg_u32 s4, 0
	v_sub_u32_e32 v1, v1, v3
	s_waitcnt lgkmcnt(0)
	v_mad_u64_u32 v[0:1], s[6:7], v1, s7, v[0:1]
	v_mov_b32_e32 v1, v2
	s_cbranch_scc1 .LBB141_166
.LBB141_167:
	s_cbranch_execnz .LBB141_170
.LBB141_168:
	s_waitcnt lgkmcnt(0)
	v_mul_hi_u32 v0, s9, v7
	s_andn2_b64 vcc, exec, s[34:35]
	v_add_u32_e32 v0, v7, v0
	v_lshrrev_b32_e32 v1, s10, v0
	v_mul_lo_u32 v0, v1, s8
	v_sub_u32_e32 v0, v7, v0
	v_mul_lo_u32 v0, v0, s28
	s_cbranch_vccnz .LBB141_170
; %bb.169:
	v_mul_hi_u32 v2, s30, v1
	v_add_u32_e32 v2, v1, v2
	v_lshrrev_b32_e32 v2, s31, v2
	v_mul_lo_u32 v2, v2, s11
	v_sub_u32_e32 v1, v1, v2
	v_mad_u64_u32 v[0:1], s[0:1], v1, s29, v[0:1]
.LBB141_170:
	s_waitcnt lgkmcnt(0)
	v_mov_b32_e32 v1, s47
	v_add_u32_e32 v7, 0x80, v7
	global_store_byte v0, v1, s[26:27]
	s_or_b64 exec, exec, s[40:41]
	v_cmp_gt_i32_e32 vcc, s48, v7
	s_and_saveexec_b64 s[40:41], vcc
	s_cbranch_execnz .LBB141_156
.LBB141_171:
	s_or_b64 exec, exec, s[40:41]
	v_cmp_gt_i32_e32 vcc, s48, v7
	s_and_saveexec_b64 s[40:41], vcc
	s_cbranch_execz .LBB141_187
.LBB141_172:
	s_andn2_b64 vcc, exec, s[22:23]
	s_cbranch_vccnz .LBB141_177
; %bb.173:
	s_andn2_b64 vcc, exec, s[38:39]
	s_cbranch_vccnz .LBB141_178
; %bb.174:
	s_add_i32 s51, s49, 1
	s_cmp_eq_u32 s46, 2
	s_cbranch_scc1 .LBB141_195
; %bb.175:
	s_and_b32 s50, s51, 28
	s_mov_b32 s52, 0
	v_mov_b32_e32 v0, 0
	s_mov_b64 s[42:43], s[20:21]
	s_mov_b64 s[44:45], s[36:37]
	v_mov_b32_e32 v1, v7
.LBB141_176:                            ; =>This Inner Loop Header: Depth=1
	s_load_dwordx8 s[0:7], s[42:43], 0x4
	s_load_dwordx4 s[12:15], s[42:43], 0x24
	s_load_dwordx4 s[16:19], s[44:45], 0x0
	s_add_u32 s42, s42, 48
	s_addc_u32 s43, s43, 0
	s_waitcnt lgkmcnt(0)
	v_mul_hi_u32 v2, s1, v1
	s_add_i32 s52, s52, 4
	s_add_u32 s44, s44, 16
	s_addc_u32 s45, s45, 0
	v_add_u32_e32 v2, v1, v2
	v_lshrrev_b32_e32 v2, s2, v2
	v_mul_lo_u32 v3, v2, s0
	v_mul_hi_u32 v4, s4, v2
	s_cmp_eq_u32 s50, s52
	v_sub_u32_e32 v1, v1, v3
	v_add_u32_e32 v3, v2, v4
	v_lshrrev_b32_e32 v3, s5, v3
	v_mul_lo_u32 v4, v1, s16
	v_mul_hi_u32 v1, s7, v3
	v_mul_lo_u32 v6, v3, s3
	v_add_u32_e32 v1, v3, v1
	v_lshrrev_b32_e32 v5, s12, v1
	v_mul_hi_u32 v1, s14, v5
	v_sub_u32_e32 v2, v2, v6
	v_mul_lo_u32 v6, v5, s6
	v_mul_lo_u32 v2, v2, s17
	v_add_u32_e32 v1, v5, v1
	v_lshrrev_b32_e32 v1, s15, v1
	v_mul_lo_u32 v8, v1, s13
	v_sub_u32_e32 v3, v3, v6
	v_mul_lo_u32 v3, v3, s18
	v_add3_u32 v0, v4, v0, v2
	v_sub_u32_e32 v5, v5, v8
	v_mul_lo_u32 v5, v5, s19
	v_add3_u32 v0, v3, v0, v5
	s_cbranch_scc0 .LBB141_176
	s_branch .LBB141_196
.LBB141_177:
                                        ; implicit-def: $vgpr0
	s_branch .LBB141_200
.LBB141_178:
	v_mov_b32_e32 v0, 0
	s_branch .LBB141_199
.LBB141_179:
	v_mov_b32_e32 v0, 0
	s_mov_b32 s50, 0
	v_mov_b32_e32 v1, v7
.LBB141_180:
	s_and_b32 s4, s51, 3
	s_cmp_eq_u32 s4, 0
	s_cbranch_scc1 .LBB141_183
; %bb.181:
	s_lshl_b32 s0, s50, 2
	s_add_u32 s0, s20, s0
	s_addc_u32 s1, s21, 0
	s_add_u32 s0, s0, 0xc4
	s_addc_u32 s1, s1, 0
	s_mul_i32 s2, s50, 12
	s_add_u32 s2, s20, s2
	s_addc_u32 s3, s21, 0
.LBB141_182:                            ; =>This Inner Loop Header: Depth=1
	s_load_dwordx2 s[6:7], s[2:3], 0x4
	s_load_dword s5, s[2:3], 0xc
	s_add_u32 s2, s2, 12
	s_addc_u32 s3, s3, 0
	s_waitcnt lgkmcnt(0)
	v_mul_hi_u32 v2, s7, v1
	s_load_dword s7, s[0:1], 0x0
	s_add_u32 s0, s0, 4
	s_addc_u32 s1, s1, 0
	v_add_u32_e32 v2, v1, v2
	v_lshrrev_b32_e32 v2, s5, v2
	v_mul_lo_u32 v3, v2, s6
	s_add_i32 s4, s4, -1
	s_cmp_lg_u32 s4, 0
	v_sub_u32_e32 v1, v1, v3
	s_waitcnt lgkmcnt(0)
	v_mad_u64_u32 v[0:1], s[6:7], v1, s7, v[0:1]
	v_mov_b32_e32 v1, v2
	s_cbranch_scc1 .LBB141_182
.LBB141_183:
	s_cbranch_execnz .LBB141_186
.LBB141_184:
	s_waitcnt lgkmcnt(0)
	v_mul_hi_u32 v0, s9, v7
	s_andn2_b64 vcc, exec, s[34:35]
	v_add_u32_e32 v0, v7, v0
	v_lshrrev_b32_e32 v1, s10, v0
	v_mul_lo_u32 v0, v1, s8
	v_sub_u32_e32 v0, v7, v0
	v_mul_lo_u32 v0, v0, s28
	s_cbranch_vccnz .LBB141_186
; %bb.185:
	v_mul_hi_u32 v2, s30, v1
	v_add_u32_e32 v2, v1, v2
	v_lshrrev_b32_e32 v2, s31, v2
	v_mul_lo_u32 v2, v2, s11
	v_sub_u32_e32 v1, v1, v2
	v_mad_u64_u32 v[0:1], s[0:1], v1, s29, v[0:1]
.LBB141_186:
	s_waitcnt lgkmcnt(0)
	v_mov_b32_e32 v1, s47
	v_add_u32_e32 v7, 0x80, v7
	global_store_byte v0, v1, s[26:27]
	s_or_b64 exec, exec, s[40:41]
	v_cmp_gt_i32_e32 vcc, s48, v7
	s_and_saveexec_b64 s[40:41], vcc
	s_cbranch_execnz .LBB141_172
.LBB141_187:
	s_or_b64 exec, exec, s[40:41]
	v_cmp_gt_i32_e32 vcc, s48, v7
	s_and_saveexec_b64 s[40:41], vcc
	s_cbranch_execz .LBB141_203
.LBB141_188:
	s_andn2_b64 vcc, exec, s[22:23]
	s_cbranch_vccnz .LBB141_193
; %bb.189:
	s_andn2_b64 vcc, exec, s[38:39]
	s_cbranch_vccnz .LBB141_194
; %bb.190:
	s_add_i32 s51, s49, 1
	s_cmp_eq_u32 s46, 2
	s_cbranch_scc1 .LBB141_211
; %bb.191:
	s_and_b32 s50, s51, 28
	s_mov_b32 s52, 0
	v_mov_b32_e32 v0, 0
	s_mov_b64 s[42:43], s[20:21]
	s_mov_b64 s[44:45], s[36:37]
	v_mov_b32_e32 v1, v7
.LBB141_192:                            ; =>This Inner Loop Header: Depth=1
	s_load_dwordx8 s[0:7], s[42:43], 0x4
	s_load_dwordx4 s[12:15], s[42:43], 0x24
	s_load_dwordx4 s[16:19], s[44:45], 0x0
	s_add_u32 s42, s42, 48
	s_addc_u32 s43, s43, 0
	s_waitcnt lgkmcnt(0)
	v_mul_hi_u32 v2, s1, v1
	s_add_i32 s52, s52, 4
	s_add_u32 s44, s44, 16
	s_addc_u32 s45, s45, 0
	v_add_u32_e32 v2, v1, v2
	v_lshrrev_b32_e32 v2, s2, v2
	v_mul_lo_u32 v3, v2, s0
	v_mul_hi_u32 v4, s4, v2
	s_cmp_eq_u32 s50, s52
	v_sub_u32_e32 v1, v1, v3
	v_add_u32_e32 v3, v2, v4
	v_lshrrev_b32_e32 v3, s5, v3
	v_mul_lo_u32 v4, v1, s16
	v_mul_hi_u32 v1, s7, v3
	v_mul_lo_u32 v6, v3, s3
	v_add_u32_e32 v1, v3, v1
	v_lshrrev_b32_e32 v5, s12, v1
	v_mul_hi_u32 v1, s14, v5
	v_sub_u32_e32 v2, v2, v6
	v_mul_lo_u32 v6, v5, s6
	v_mul_lo_u32 v2, v2, s17
	v_add_u32_e32 v1, v5, v1
	v_lshrrev_b32_e32 v1, s15, v1
	v_mul_lo_u32 v8, v1, s13
	v_sub_u32_e32 v3, v3, v6
	v_mul_lo_u32 v3, v3, s18
	v_add3_u32 v0, v4, v0, v2
	v_sub_u32_e32 v5, v5, v8
	v_mul_lo_u32 v5, v5, s19
	v_add3_u32 v0, v3, v0, v5
	s_cbranch_scc0 .LBB141_192
	s_branch .LBB141_212
.LBB141_193:
                                        ; implicit-def: $vgpr0
	s_branch .LBB141_216
.LBB141_194:
	v_mov_b32_e32 v0, 0
	s_branch .LBB141_215
.LBB141_195:
	v_mov_b32_e32 v0, 0
	s_mov_b32 s50, 0
	v_mov_b32_e32 v1, v7
.LBB141_196:
	s_and_b32 s4, s51, 3
	s_cmp_eq_u32 s4, 0
	s_cbranch_scc1 .LBB141_199
; %bb.197:
	s_lshl_b32 s0, s50, 2
	s_add_u32 s0, s20, s0
	s_addc_u32 s1, s21, 0
	s_add_u32 s0, s0, 0xc4
	s_addc_u32 s1, s1, 0
	s_mul_i32 s2, s50, 12
	s_add_u32 s2, s20, s2
	s_addc_u32 s3, s21, 0
.LBB141_198:                            ; =>This Inner Loop Header: Depth=1
	s_load_dwordx2 s[6:7], s[2:3], 0x4
	s_load_dword s5, s[2:3], 0xc
	s_add_u32 s2, s2, 12
	s_addc_u32 s3, s3, 0
	s_waitcnt lgkmcnt(0)
	v_mul_hi_u32 v2, s7, v1
	s_load_dword s7, s[0:1], 0x0
	s_add_u32 s0, s0, 4
	s_addc_u32 s1, s1, 0
	v_add_u32_e32 v2, v1, v2
	v_lshrrev_b32_e32 v2, s5, v2
	v_mul_lo_u32 v3, v2, s6
	s_add_i32 s4, s4, -1
	s_cmp_lg_u32 s4, 0
	v_sub_u32_e32 v1, v1, v3
	s_waitcnt lgkmcnt(0)
	v_mad_u64_u32 v[0:1], s[6:7], v1, s7, v[0:1]
	v_mov_b32_e32 v1, v2
	s_cbranch_scc1 .LBB141_198
.LBB141_199:
	s_cbranch_execnz .LBB141_202
.LBB141_200:
	s_waitcnt lgkmcnt(0)
	v_mul_hi_u32 v0, s9, v7
	s_andn2_b64 vcc, exec, s[34:35]
	v_add_u32_e32 v0, v7, v0
	v_lshrrev_b32_e32 v1, s10, v0
	v_mul_lo_u32 v0, v1, s8
	v_sub_u32_e32 v0, v7, v0
	v_mul_lo_u32 v0, v0, s28
	s_cbranch_vccnz .LBB141_202
; %bb.201:
	v_mul_hi_u32 v2, s30, v1
	v_add_u32_e32 v2, v1, v2
	v_lshrrev_b32_e32 v2, s31, v2
	v_mul_lo_u32 v2, v2, s11
	v_sub_u32_e32 v1, v1, v2
	v_mad_u64_u32 v[0:1], s[0:1], v1, s29, v[0:1]
.LBB141_202:
	s_waitcnt lgkmcnt(0)
	v_mov_b32_e32 v1, s47
	v_add_u32_e32 v7, 0x80, v7
	global_store_byte v0, v1, s[26:27]
	s_or_b64 exec, exec, s[40:41]
	v_cmp_gt_i32_e32 vcc, s48, v7
	s_and_saveexec_b64 s[40:41], vcc
	s_cbranch_execnz .LBB141_188
.LBB141_203:
	s_or_b64 exec, exec, s[40:41]
	v_cmp_gt_i32_e32 vcc, s48, v7
	s_and_saveexec_b64 s[40:41], vcc
	s_cbranch_execz .LBB141_219
.LBB141_204:
	s_andn2_b64 vcc, exec, s[22:23]
	s_cbranch_vccnz .LBB141_209
; %bb.205:
	s_andn2_b64 vcc, exec, s[38:39]
	s_cbranch_vccnz .LBB141_210
; %bb.206:
	s_add_i32 s51, s49, 1
	s_cmp_eq_u32 s46, 2
	s_cbranch_scc1 .LBB141_222
; %bb.207:
	s_and_b32 s50, s51, 28
	s_mov_b32 s52, 0
	v_mov_b32_e32 v0, 0
	s_mov_b64 s[42:43], s[20:21]
	s_mov_b64 s[44:45], s[36:37]
	v_mov_b32_e32 v1, v7
.LBB141_208:                            ; =>This Inner Loop Header: Depth=1
	s_load_dwordx8 s[0:7], s[42:43], 0x4
	s_load_dwordx4 s[12:15], s[42:43], 0x24
	s_load_dwordx4 s[16:19], s[44:45], 0x0
	s_add_u32 s42, s42, 48
	s_addc_u32 s43, s43, 0
	s_waitcnt lgkmcnt(0)
	v_mul_hi_u32 v2, s1, v1
	s_add_i32 s52, s52, 4
	s_add_u32 s44, s44, 16
	s_addc_u32 s45, s45, 0
	v_add_u32_e32 v2, v1, v2
	v_lshrrev_b32_e32 v2, s2, v2
	v_mul_lo_u32 v3, v2, s0
	v_mul_hi_u32 v4, s4, v2
	s_cmp_eq_u32 s50, s52
	v_sub_u32_e32 v1, v1, v3
	v_add_u32_e32 v3, v2, v4
	v_lshrrev_b32_e32 v3, s5, v3
	v_mul_lo_u32 v4, v1, s16
	v_mul_hi_u32 v1, s7, v3
	v_mul_lo_u32 v6, v3, s3
	v_add_u32_e32 v1, v3, v1
	v_lshrrev_b32_e32 v5, s12, v1
	v_mul_hi_u32 v1, s14, v5
	v_sub_u32_e32 v2, v2, v6
	v_mul_lo_u32 v6, v5, s6
	v_mul_lo_u32 v2, v2, s17
	v_add_u32_e32 v1, v5, v1
	v_lshrrev_b32_e32 v1, s15, v1
	v_mul_lo_u32 v8, v1, s13
	v_sub_u32_e32 v3, v3, v6
	v_mul_lo_u32 v3, v3, s18
	v_add3_u32 v0, v4, v0, v2
	v_sub_u32_e32 v5, v5, v8
	v_mul_lo_u32 v5, v5, s19
	v_add3_u32 v0, v3, v0, v5
	s_cbranch_scc0 .LBB141_208
	s_branch .LBB141_223
.LBB141_209:
                                        ; implicit-def: $vgpr0
	s_branch .LBB141_227
.LBB141_210:
	v_mov_b32_e32 v0, 0
	s_branch .LBB141_226
.LBB141_211:
	v_mov_b32_e32 v0, 0
	s_mov_b32 s50, 0
	v_mov_b32_e32 v1, v7
.LBB141_212:
	s_and_b32 s4, s51, 3
	s_cmp_eq_u32 s4, 0
	s_cbranch_scc1 .LBB141_215
; %bb.213:
	s_lshl_b32 s0, s50, 2
	s_add_u32 s0, s20, s0
	s_addc_u32 s1, s21, 0
	s_add_u32 s0, s0, 0xc4
	s_addc_u32 s1, s1, 0
	s_mul_i32 s2, s50, 12
	s_add_u32 s2, s20, s2
	s_addc_u32 s3, s21, 0
.LBB141_214:                            ; =>This Inner Loop Header: Depth=1
	s_load_dwordx2 s[6:7], s[2:3], 0x4
	s_load_dword s5, s[2:3], 0xc
	s_add_u32 s2, s2, 12
	s_addc_u32 s3, s3, 0
	s_waitcnt lgkmcnt(0)
	v_mul_hi_u32 v2, s7, v1
	s_load_dword s7, s[0:1], 0x0
	s_add_u32 s0, s0, 4
	s_addc_u32 s1, s1, 0
	v_add_u32_e32 v2, v1, v2
	v_lshrrev_b32_e32 v2, s5, v2
	v_mul_lo_u32 v3, v2, s6
	s_add_i32 s4, s4, -1
	s_cmp_lg_u32 s4, 0
	v_sub_u32_e32 v1, v1, v3
	s_waitcnt lgkmcnt(0)
	v_mad_u64_u32 v[0:1], s[6:7], v1, s7, v[0:1]
	v_mov_b32_e32 v1, v2
	s_cbranch_scc1 .LBB141_214
.LBB141_215:
	s_cbranch_execnz .LBB141_218
.LBB141_216:
	s_waitcnt lgkmcnt(0)
	v_mul_hi_u32 v0, s9, v7
	s_andn2_b64 vcc, exec, s[34:35]
	v_add_u32_e32 v0, v7, v0
	v_lshrrev_b32_e32 v1, s10, v0
	v_mul_lo_u32 v0, v1, s8
	v_sub_u32_e32 v0, v7, v0
	v_mul_lo_u32 v0, v0, s28
	s_cbranch_vccnz .LBB141_218
; %bb.217:
	v_mul_hi_u32 v2, s30, v1
	v_add_u32_e32 v2, v1, v2
	v_lshrrev_b32_e32 v2, s31, v2
	v_mul_lo_u32 v2, v2, s11
	v_sub_u32_e32 v1, v1, v2
	v_mad_u64_u32 v[0:1], s[0:1], v1, s29, v[0:1]
.LBB141_218:
	s_waitcnt lgkmcnt(0)
	v_mov_b32_e32 v1, s47
	v_add_u32_e32 v7, 0x80, v7
	global_store_byte v0, v1, s[26:27]
	s_or_b64 exec, exec, s[40:41]
	v_cmp_gt_i32_e32 vcc, s48, v7
	s_and_saveexec_b64 s[40:41], vcc
	s_cbranch_execnz .LBB141_204
.LBB141_219:
	s_or_b64 exec, exec, s[40:41]
	v_cmp_gt_i32_e32 vcc, s48, v7
	s_and_saveexec_b64 s[40:41], vcc
	s_cbranch_execnz .LBB141_230
.LBB141_220:
	s_or_b64 exec, exec, s[40:41]
                                        ; implicit-def: $vgpr9
                                        ; implicit-def: $vgpr7
	s_andn2_saveexec_b64 s[0:1], s[24:25]
	s_cbranch_execnz .LBB141_8
.LBB141_221:
	s_endpgm
.LBB141_222:
	v_mov_b32_e32 v0, 0
	s_mov_b32 s50, 0
	v_mov_b32_e32 v1, v7
.LBB141_223:
	s_and_b32 s4, s51, 3
	s_cmp_eq_u32 s4, 0
	s_cbranch_scc1 .LBB141_226
; %bb.224:
	s_lshl_b32 s0, s50, 2
	s_add_u32 s0, s20, s0
	s_addc_u32 s1, s21, 0
	s_add_u32 s0, s0, 0xc4
	s_addc_u32 s1, s1, 0
	s_mul_i32 s2, s50, 12
	s_add_u32 s2, s20, s2
	s_addc_u32 s3, s21, 0
.LBB141_225:                            ; =>This Inner Loop Header: Depth=1
	s_load_dwordx2 s[6:7], s[2:3], 0x4
	s_load_dword s5, s[2:3], 0xc
	s_add_u32 s2, s2, 12
	s_addc_u32 s3, s3, 0
	s_waitcnt lgkmcnt(0)
	v_mul_hi_u32 v2, s7, v1
	s_load_dword s7, s[0:1], 0x0
	s_add_u32 s0, s0, 4
	s_addc_u32 s1, s1, 0
	v_add_u32_e32 v2, v1, v2
	v_lshrrev_b32_e32 v2, s5, v2
	v_mul_lo_u32 v3, v2, s6
	s_add_i32 s4, s4, -1
	s_cmp_lg_u32 s4, 0
	v_sub_u32_e32 v1, v1, v3
	s_waitcnt lgkmcnt(0)
	v_mad_u64_u32 v[0:1], s[6:7], v1, s7, v[0:1]
	v_mov_b32_e32 v1, v2
	s_cbranch_scc1 .LBB141_225
.LBB141_226:
	s_cbranch_execnz .LBB141_229
.LBB141_227:
	s_waitcnt lgkmcnt(0)
	v_mul_hi_u32 v0, s9, v7
	s_andn2_b64 vcc, exec, s[34:35]
	v_add_u32_e32 v0, v7, v0
	v_lshrrev_b32_e32 v1, s10, v0
	v_mul_lo_u32 v0, v1, s8
	v_sub_u32_e32 v0, v7, v0
	v_mul_lo_u32 v0, v0, s28
	s_cbranch_vccnz .LBB141_229
; %bb.228:
	v_mul_hi_u32 v2, s30, v1
	v_add_u32_e32 v2, v1, v2
	v_lshrrev_b32_e32 v2, s31, v2
	v_mul_lo_u32 v2, v2, s11
	v_sub_u32_e32 v1, v1, v2
	v_mad_u64_u32 v[0:1], s[0:1], v1, s29, v[0:1]
.LBB141_229:
	s_waitcnt lgkmcnt(0)
	v_mov_b32_e32 v1, s47
	v_add_u32_e32 v7, 0x80, v7
	global_store_byte v0, v1, s[26:27]
	s_or_b64 exec, exec, s[40:41]
	v_cmp_gt_i32_e32 vcc, s48, v7
	s_and_saveexec_b64 s[40:41], vcc
	s_cbranch_execz .LBB141_220
.LBB141_230:
	s_andn2_b64 vcc, exec, s[22:23]
	s_cbranch_vccnz .LBB141_235
; %bb.231:
	s_andn2_b64 vcc, exec, s[38:39]
	s_cbranch_vccnz .LBB141_236
; %bb.232:
	s_add_i32 s49, s49, 1
	s_cmp_eq_u32 s46, 2
	s_cbranch_scc1 .LBB141_237
; %bb.233:
	s_and_b32 s42, s49, 28
	s_mov_b32 s43, 0
	v_mov_b32_e32 v0, 0
	s_mov_b64 s[38:39], s[20:21]
	v_mov_b32_e32 v1, v7
.LBB141_234:                            ; =>This Inner Loop Header: Depth=1
	s_load_dwordx8 s[0:7], s[38:39], 0x4
	s_load_dwordx4 s[12:15], s[38:39], 0x24
	s_load_dwordx4 s[16:19], s[36:37], 0x0
	s_add_u32 s38, s38, 48
	s_addc_u32 s39, s39, 0
	s_waitcnt lgkmcnt(0)
	v_mul_hi_u32 v2, s1, v1
	s_add_i32 s43, s43, 4
	s_add_u32 s36, s36, 16
	s_addc_u32 s37, s37, 0
	v_add_u32_e32 v2, v1, v2
	v_lshrrev_b32_e32 v2, s2, v2
	v_mul_lo_u32 v3, v2, s0
	v_mul_hi_u32 v4, s4, v2
	s_cmp_eq_u32 s42, s43
	v_sub_u32_e32 v1, v1, v3
	v_add_u32_e32 v3, v2, v4
	v_lshrrev_b32_e32 v3, s5, v3
	v_mul_lo_u32 v4, v1, s16
	v_mul_hi_u32 v1, s7, v3
	v_mul_lo_u32 v6, v3, s3
	v_add_u32_e32 v1, v3, v1
	v_lshrrev_b32_e32 v5, s12, v1
	v_mul_hi_u32 v1, s14, v5
	v_sub_u32_e32 v2, v2, v6
	v_mul_lo_u32 v6, v5, s6
	v_mul_lo_u32 v2, v2, s17
	v_add_u32_e32 v1, v5, v1
	v_lshrrev_b32_e32 v1, s15, v1
	v_mul_lo_u32 v8, v1, s13
	v_sub_u32_e32 v3, v3, v6
	v_mul_lo_u32 v3, v3, s18
	v_add3_u32 v0, v4, v0, v2
	v_sub_u32_e32 v5, v5, v8
	v_mul_lo_u32 v5, v5, s19
	v_add3_u32 v0, v3, v0, v5
	s_cbranch_scc0 .LBB141_234
	s_branch .LBB141_238
.LBB141_235:
                                        ; implicit-def: $vgpr0
	s_branch .LBB141_242
.LBB141_236:
	v_mov_b32_e32 v0, 0
	s_branch .LBB141_241
.LBB141_237:
	v_mov_b32_e32 v0, 0
	s_mov_b32 s42, 0
	v_mov_b32_e32 v1, v7
.LBB141_238:
	s_and_b32 s4, s49, 3
	s_cmp_eq_u32 s4, 0
	s_cbranch_scc1 .LBB141_241
; %bb.239:
	s_lshl_b32 s0, s42, 2
	s_add_u32 s0, s20, s0
	s_addc_u32 s1, s21, 0
	s_add_u32 s0, s0, 0xc4
	s_addc_u32 s1, s1, 0
	s_mul_i32 s2, s42, 12
	s_add_u32 s2, s20, s2
	s_addc_u32 s3, s21, 0
.LBB141_240:                            ; =>This Inner Loop Header: Depth=1
	s_load_dwordx2 s[6:7], s[2:3], 0x4
	s_load_dword s5, s[2:3], 0xc
	s_add_u32 s2, s2, 12
	s_addc_u32 s3, s3, 0
	s_waitcnt lgkmcnt(0)
	v_mul_hi_u32 v2, s7, v1
	s_load_dword s7, s[0:1], 0x0
	s_add_u32 s0, s0, 4
	s_addc_u32 s1, s1, 0
	v_add_u32_e32 v2, v1, v2
	v_lshrrev_b32_e32 v2, s5, v2
	v_mul_lo_u32 v3, v2, s6
	s_add_i32 s4, s4, -1
	s_cmp_lg_u32 s4, 0
	v_sub_u32_e32 v1, v1, v3
	s_waitcnt lgkmcnt(0)
	v_mad_u64_u32 v[0:1], s[6:7], v1, s7, v[0:1]
	v_mov_b32_e32 v1, v2
	s_cbranch_scc1 .LBB141_240
.LBB141_241:
	s_cbranch_execnz .LBB141_244
.LBB141_242:
	s_waitcnt lgkmcnt(0)
	v_mul_hi_u32 v0, s9, v7
	s_andn2_b64 vcc, exec, s[34:35]
	v_add_u32_e32 v0, v7, v0
	v_lshrrev_b32_e32 v1, s10, v0
	v_mul_lo_u32 v0, v1, s8
	v_sub_u32_e32 v0, v7, v0
	v_mul_lo_u32 v0, v0, s28
	s_cbranch_vccnz .LBB141_244
; %bb.243:
	v_mul_hi_u32 v2, s30, v1
	v_add_u32_e32 v2, v1, v2
	v_lshrrev_b32_e32 v2, s31, v2
	v_mul_lo_u32 v2, v2, s11
	v_sub_u32_e32 v1, v1, v2
	v_mad_u64_u32 v[0:1], s[0:1], v1, s29, v[0:1]
.LBB141_244:
	s_waitcnt lgkmcnt(0)
	v_mov_b32_e32 v1, s47
	global_store_byte v0, v1, s[26:27]
	s_or_b64 exec, exec, s[40:41]
                                        ; implicit-def: $vgpr9
                                        ; implicit-def: $vgpr7
	s_andn2_saveexec_b64 s[0:1], s[24:25]
	s_cbranch_execz .LBB141_221
	s_branch .LBB141_8
	.section	.rodata,"a",@progbits
	.p2align	6, 0x0
	.amdhsa_kernel _ZN2at6native32elementwise_kernel_manual_unrollILi128ELi8EZNS0_22gpu_kernel_impl_nocastINS0_11FillFunctorIN3c1015Float8_e4m3fnuzEEEEEvRNS_18TensorIteratorBaseERKT_EUlibE_EEviT1_
		.amdhsa_group_segment_fixed_size 0
		.amdhsa_private_segment_fixed_size 0
		.amdhsa_kernarg_size 288
		.amdhsa_user_sgpr_count 6
		.amdhsa_user_sgpr_private_segment_buffer 1
		.amdhsa_user_sgpr_dispatch_ptr 0
		.amdhsa_user_sgpr_queue_ptr 0
		.amdhsa_user_sgpr_kernarg_segment_ptr 1
		.amdhsa_user_sgpr_dispatch_id 0
		.amdhsa_user_sgpr_flat_scratch_init 0
		.amdhsa_user_sgpr_private_segment_size 0
		.amdhsa_uses_dynamic_stack 0
		.amdhsa_system_sgpr_private_segment_wavefront_offset 0
		.amdhsa_system_sgpr_workgroup_id_x 1
		.amdhsa_system_sgpr_workgroup_id_y 0
		.amdhsa_system_sgpr_workgroup_id_z 0
		.amdhsa_system_sgpr_workgroup_info 0
		.amdhsa_system_vgpr_workitem_id 0
		.amdhsa_next_free_vgpr 16
		.amdhsa_next_free_sgpr 53
		.amdhsa_reserve_vcc 1
		.amdhsa_reserve_flat_scratch 0
		.amdhsa_float_round_mode_32 0
		.amdhsa_float_round_mode_16_64 0
		.amdhsa_float_denorm_mode_32 3
		.amdhsa_float_denorm_mode_16_64 3
		.amdhsa_dx10_clamp 1
		.amdhsa_ieee_mode 1
		.amdhsa_fp16_overflow 0
		.amdhsa_exception_fp_ieee_invalid_op 0
		.amdhsa_exception_fp_denorm_src 0
		.amdhsa_exception_fp_ieee_div_zero 0
		.amdhsa_exception_fp_ieee_overflow 0
		.amdhsa_exception_fp_ieee_underflow 0
		.amdhsa_exception_fp_ieee_inexact 0
		.amdhsa_exception_int_div_zero 0
	.end_amdhsa_kernel
	.section	.text._ZN2at6native32elementwise_kernel_manual_unrollILi128ELi8EZNS0_22gpu_kernel_impl_nocastINS0_11FillFunctorIN3c1015Float8_e4m3fnuzEEEEEvRNS_18TensorIteratorBaseERKT_EUlibE_EEviT1_,"axG",@progbits,_ZN2at6native32elementwise_kernel_manual_unrollILi128ELi8EZNS0_22gpu_kernel_impl_nocastINS0_11FillFunctorIN3c1015Float8_e4m3fnuzEEEEEvRNS_18TensorIteratorBaseERKT_EUlibE_EEviT1_,comdat
.Lfunc_end141:
	.size	_ZN2at6native32elementwise_kernel_manual_unrollILi128ELi8EZNS0_22gpu_kernel_impl_nocastINS0_11FillFunctorIN3c1015Float8_e4m3fnuzEEEEEvRNS_18TensorIteratorBaseERKT_EUlibE_EEviT1_, .Lfunc_end141-_ZN2at6native32elementwise_kernel_manual_unrollILi128ELi8EZNS0_22gpu_kernel_impl_nocastINS0_11FillFunctorIN3c1015Float8_e4m3fnuzEEEEEvRNS_18TensorIteratorBaseERKT_EUlibE_EEviT1_
                                        ; -- End function
	.set _ZN2at6native32elementwise_kernel_manual_unrollILi128ELi8EZNS0_22gpu_kernel_impl_nocastINS0_11FillFunctorIN3c1015Float8_e4m3fnuzEEEEEvRNS_18TensorIteratorBaseERKT_EUlibE_EEviT1_.num_vgpr, 16
	.set _ZN2at6native32elementwise_kernel_manual_unrollILi128ELi8EZNS0_22gpu_kernel_impl_nocastINS0_11FillFunctorIN3c1015Float8_e4m3fnuzEEEEEvRNS_18TensorIteratorBaseERKT_EUlibE_EEviT1_.num_agpr, 0
	.set _ZN2at6native32elementwise_kernel_manual_unrollILi128ELi8EZNS0_22gpu_kernel_impl_nocastINS0_11FillFunctorIN3c1015Float8_e4m3fnuzEEEEEvRNS_18TensorIteratorBaseERKT_EUlibE_EEviT1_.numbered_sgpr, 53
	.set _ZN2at6native32elementwise_kernel_manual_unrollILi128ELi8EZNS0_22gpu_kernel_impl_nocastINS0_11FillFunctorIN3c1015Float8_e4m3fnuzEEEEEvRNS_18TensorIteratorBaseERKT_EUlibE_EEviT1_.num_named_barrier, 0
	.set _ZN2at6native32elementwise_kernel_manual_unrollILi128ELi8EZNS0_22gpu_kernel_impl_nocastINS0_11FillFunctorIN3c1015Float8_e4m3fnuzEEEEEvRNS_18TensorIteratorBaseERKT_EUlibE_EEviT1_.private_seg_size, 0
	.set _ZN2at6native32elementwise_kernel_manual_unrollILi128ELi8EZNS0_22gpu_kernel_impl_nocastINS0_11FillFunctorIN3c1015Float8_e4m3fnuzEEEEEvRNS_18TensorIteratorBaseERKT_EUlibE_EEviT1_.uses_vcc, 1
	.set _ZN2at6native32elementwise_kernel_manual_unrollILi128ELi8EZNS0_22gpu_kernel_impl_nocastINS0_11FillFunctorIN3c1015Float8_e4m3fnuzEEEEEvRNS_18TensorIteratorBaseERKT_EUlibE_EEviT1_.uses_flat_scratch, 0
	.set _ZN2at6native32elementwise_kernel_manual_unrollILi128ELi8EZNS0_22gpu_kernel_impl_nocastINS0_11FillFunctorIN3c1015Float8_e4m3fnuzEEEEEvRNS_18TensorIteratorBaseERKT_EUlibE_EEviT1_.has_dyn_sized_stack, 0
	.set _ZN2at6native32elementwise_kernel_manual_unrollILi128ELi8EZNS0_22gpu_kernel_impl_nocastINS0_11FillFunctorIN3c1015Float8_e4m3fnuzEEEEEvRNS_18TensorIteratorBaseERKT_EUlibE_EEviT1_.has_recursion, 0
	.set _ZN2at6native32elementwise_kernel_manual_unrollILi128ELi8EZNS0_22gpu_kernel_impl_nocastINS0_11FillFunctorIN3c1015Float8_e4m3fnuzEEEEEvRNS_18TensorIteratorBaseERKT_EUlibE_EEviT1_.has_indirect_call, 0
	.section	.AMDGPU.csdata,"",@progbits
; Kernel info:
; codeLenInByte = 9820
; TotalNumSgprs: 57
; NumVgprs: 16
; ScratchSize: 0
; MemoryBound: 0
; FloatMode: 240
; IeeeMode: 1
; LDSByteSize: 0 bytes/workgroup (compile time only)
; SGPRBlocks: 7
; VGPRBlocks: 3
; NumSGPRsForWavesPerEU: 57
; NumVGPRsForWavesPerEU: 16
; Occupancy: 10
; WaveLimiterHint : 1
; COMPUTE_PGM_RSRC2:SCRATCH_EN: 0
; COMPUTE_PGM_RSRC2:USER_SGPR: 6
; COMPUTE_PGM_RSRC2:TRAP_HANDLER: 0
; COMPUTE_PGM_RSRC2:TGID_X_EN: 1
; COMPUTE_PGM_RSRC2:TGID_Y_EN: 0
; COMPUTE_PGM_RSRC2:TGID_Z_EN: 0
; COMPUTE_PGM_RSRC2:TIDIG_COMP_CNT: 0
	.section	.text._ZN2at6native32elementwise_kernel_manual_unrollILi128ELi4EZNS0_15gpu_kernel_implINS0_11FillFunctorIN3c1015Float8_e4m3fnuzEEEEEvRNS_18TensorIteratorBaseERKT_EUlibE_EEviT1_,"axG",@progbits,_ZN2at6native32elementwise_kernel_manual_unrollILi128ELi4EZNS0_15gpu_kernel_implINS0_11FillFunctorIN3c1015Float8_e4m3fnuzEEEEEvRNS_18TensorIteratorBaseERKT_EUlibE_EEviT1_,comdat
	.protected	_ZN2at6native32elementwise_kernel_manual_unrollILi128ELi4EZNS0_15gpu_kernel_implINS0_11FillFunctorIN3c1015Float8_e4m3fnuzEEEEEvRNS_18TensorIteratorBaseERKT_EUlibE_EEviT1_ ; -- Begin function _ZN2at6native32elementwise_kernel_manual_unrollILi128ELi4EZNS0_15gpu_kernel_implINS0_11FillFunctorIN3c1015Float8_e4m3fnuzEEEEEvRNS_18TensorIteratorBaseERKT_EUlibE_EEviT1_
	.globl	_ZN2at6native32elementwise_kernel_manual_unrollILi128ELi4EZNS0_15gpu_kernel_implINS0_11FillFunctorIN3c1015Float8_e4m3fnuzEEEEEvRNS_18TensorIteratorBaseERKT_EUlibE_EEviT1_
	.p2align	8
	.type	_ZN2at6native32elementwise_kernel_manual_unrollILi128ELi4EZNS0_15gpu_kernel_implINS0_11FillFunctorIN3c1015Float8_e4m3fnuzEEEEEvRNS_18TensorIteratorBaseERKT_EUlibE_EEviT1_,@function
_ZN2at6native32elementwise_kernel_manual_unrollILi128ELi4EZNS0_15gpu_kernel_implINS0_11FillFunctorIN3c1015Float8_e4m3fnuzEEEEEvRNS_18TensorIteratorBaseERKT_EUlibE_EEviT1_: ; @_ZN2at6native32elementwise_kernel_manual_unrollILi128ELi4EZNS0_15gpu_kernel_implINS0_11FillFunctorIN3c1015Float8_e4m3fnuzEEEEEvRNS_18TensorIteratorBaseERKT_EUlibE_EEviT1_
; %bb.0:
	s_load_dwordx4 s[0:3], s[4:5], 0x8
	s_load_dword s24, s[4:5], 0x0
	v_lshl_or_b32 v16, s6, 9, v0
	v_or_b32_e32 v0, 0x180, v16
	s_mov_b64 s[8:9], 0
	s_waitcnt lgkmcnt(0)
	s_bfe_u32 s30, s3, 0x80008
	v_cmp_le_i32_e32 vcc, s24, v0
	s_mov_b64 s[4:5], 0
	s_and_saveexec_b64 s[6:7], vcc
	s_xor_b64 s[6:7], exec, s[6:7]
	s_cbranch_execz .LBB142_1159
; %bb.1:
	s_and_b32 s5, s3, 7
	s_flbit_i32_b32 s11, s5
	s_min_u32 s11, s11, 32
	s_sub_i32 s12, s11, 28
	s_lshl_b32 s12, s3, s12
	s_and_b32 s31, s3, 0xff
	s_lshl_b32 s4, s3, 24
	s_bfe_u32 s10, s3, 0x40003
	s_sub_i32 s11, 29, s11
	s_and_b32 s12, s12, 7
	s_cmp_eq_u32 s10, 0
	s_cselect_b32 s10, s11, s10
	s_cselect_b32 s5, s12, s5
	s_lshl_b32 s10, s10, 23
	s_and_b32 s4, s4, 0x80000000
	s_add_i32 s10, s10, 0x3b800000
	s_lshl_b32 s5, s5, 20
	s_or_b32 s4, s4, s10
	s_or_b32 s33, s4, s5
	v_trunc_f32_e32 v0, s33
	v_mul_f32_e32 v1, 0x2f800000, v0
	s_mov_b32 s11, 0x2f800000
	v_floor_f32_e32 v1, v1
	v_mov_b32_e32 v2, v0
	v_fmac_f32_e32 v2, 0xcf800000, v1
	v_cvt_u32_f32_e32 v9, v1
	v_mul_f32_e64 v1, |v0|, s11
	s_mov_b32 s12, 0xcf800000
	v_floor_f32_e32 v1, v1
	v_cvt_u32_f32_e32 v8, v2
	v_fma_f32 v2, v1, s12, |v0|
	v_cvt_u32_f32_e32 v2, v2
	v_cvt_u32_f32_e32 v1, v1
	v_ashrrev_i32_e32 v0, 31, v0
	v_cvt_u32_f32_e32 v15, s33
	s_or_b32 s34, s5, s10
	v_cvt_f64_f32_e32 v[6:7], s33
	v_cvt_f16_f32_e32 v13, s33
	v_xor_b32_e32 v2, v2, v0
	v_cvt_i32_f32_e32 v12, s33
	s_cmp_lg_u32 s31, 0
	v_xor_b32_e32 v1, v1, v0
	v_sub_co_u32_e32 v4, vcc, v2, v0
	s_cselect_b64 s[4:5], -1, 0
	v_subb_co_u32_e32 v5, vcc, v1, v0, vcc
	v_cndmask_b32_e64 v14, 0, 1, s[4:5]
	v_cmp_gt_i32_e32 vcc, s24, v16
	s_mov_b64 s[12:13], -1
	s_mov_b64 s[14:15], 0
	s_mov_b64 s[4:5], 0
	s_and_saveexec_b64 s[10:11], vcc
	s_cbranch_execz .LBB142_289
; %bb.2:
	v_mul_lo_u32 v0, v16, s2
	v_mov_b32_e32 v1, s1
	s_and_b32 s18, 0xffff, s30
	s_cmp_lt_i32 s18, 11
	v_ashrrev_i32_e32 v2, 31, v0
	v_add_co_u32_e32 v10, vcc, s0, v0
	v_addc_co_u32_e32 v11, vcc, v1, v2, vcc
	s_cbranch_scc1 .LBB142_11
; %bb.3:
	s_cmp_gt_i32 s18, 25
	s_cbranch_scc0 .LBB142_14
; %bb.4:
	s_cmp_gt_i32 s18, 28
	s_cbranch_scc0 .LBB142_15
	;; [unrolled: 3-line block ×4, first 2 shown]
; %bb.7:
	s_mov_b64 s[16:17], 0
	s_mov_b64 s[4:5], -1
	s_cmp_eq_u32 s18, 46
	s_mov_b64 s[12:13], 0
	s_cbranch_scc0 .LBB142_24
; %bb.8:
	s_cmpk_lt_i32 s31, 0x80
	s_cbranch_scc1 .LBB142_20
; %bb.9:
	s_and_b32 s4, 0xffff, s31
	s_cmpk_eq_i32 s4, 0x80
	s_mov_b64 s[4:5], -1
	s_cbranch_scc0 .LBB142_18
; %bb.10:
	s_mov_b64 s[4:5], 0
	s_mov_b32 s19, 0x7f800001
	s_and_b64 vcc, exec, s[12:13]
	s_cbranch_vccz .LBB142_21
	s_branch .LBB142_19
.LBB142_11:
	s_mov_b64 s[12:13], 0
	s_cbranch_execnz .LBB142_158
.LBB142_12:
	s_andn2_b64 vcc, exec, s[12:13]
	s_cbranch_vccnz .LBB142_287
.LBB142_13:
	v_add_u32_e32 v16, 0x80, v16
	s_mov_b64 s[12:13], -1
	s_branch .LBB142_288
.LBB142_14:
	s_mov_b64 s[12:13], 0
	s_cbranch_execnz .LBB142_75
	s_branch .LBB142_157
.LBB142_15:
	s_mov_b64 s[16:17], -1
	s_mov_b64 s[12:13], 0
	s_branch .LBB142_50
.LBB142_16:
	s_mov_b64 s[16:17], -1
	s_mov_b64 s[12:13], 0
	s_branch .LBB142_37
.LBB142_17:
	s_mov_b64 s[16:17], -1
	s_mov_b64 s[12:13], 0
	s_branch .LBB142_24
.LBB142_18:
	s_mov_b32 s19, 0x7f800001
	s_and_b64 vcc, exec, s[12:13]
	s_cbranch_vccz .LBB142_21
.LBB142_19:
	s_and_b32 s4, 0xffff, s31
	s_cmp_lg_u32 s4, 0
	s_mov_b32 s19, 0
	s_cselect_b64 s[4:5], -1, 0
	s_andn2_b64 vcc, exec, s[4:5]
	s_cbranch_vccz .LBB142_22
	s_branch .LBB142_23
.LBB142_20:
	s_mov_b64 s[4:5], 0
	s_mov_b32 s19, 0x7f800001
	s_cbranch_execnz .LBB142_19
.LBB142_21:
	s_andn2_b64 vcc, exec, s[4:5]
	s_cbranch_vccnz .LBB142_23
.LBB142_22:
	s_mov_b32 s19, s33
.LBB142_23:
	s_bfe_u32 s4, s19, 0x10010
	s_add_i32 s4, s19, s4
	s_addk_i32 s4, 0x7fff
	s_lshr_b32 s12, s4, 16
	v_cmp_o_f32_e64 s[4:5], s19, s19
	s_and_b64 s[4:5], s[4:5], exec
	s_cselect_b32 s4, s12, 0x7fc0
	v_mov_b32_e32 v0, s4
	global_store_dword v[10:11], v0, off
	s_mov_b64 s[12:13], -1
	s_mov_b64 s[4:5], 0
.LBB142_24:
	s_and_b64 vcc, exec, s[16:17]
	s_cbranch_vccz .LBB142_36
; %bb.25:
	s_cmp_eq_u32 s18, 44
	s_mov_b64 s[4:5], -1
	s_cbranch_scc0 .LBB142_36
; %bb.26:
	s_cmpk_lt_i32 s31, 0x80
	s_cbranch_scc1 .LBB142_30
; %bb.27:
	s_and_b32 s4, 0xffff, s31
	s_cmpk_eq_i32 s4, 0x80
	s_mov_b64 s[4:5], -1
	s_cbranch_scc0 .LBB142_29
; %bb.28:
	s_mov_b64 s[4:5], 0
.LBB142_29:
	s_mov_b64 s[12:13], 0
	s_branch .LBB142_31
.LBB142_30:
	s_mov_b64 s[12:13], -1
	s_mov_b64 s[4:5], 0
.LBB142_31:
	s_mov_b32 s16, 0x7f800001
	s_and_b64 vcc, exec, s[12:13]
	s_cbranch_vccz .LBB142_41
; %bb.32:
	s_and_b32 s16, 0xffff, s31
	s_cmp_lg_u32 s16, 0
	s_cselect_b64 s[4:5], -1, 0
	s_andn2_b64 vcc, exec, s[4:5]
	s_cbranch_vccz .LBB142_42
.LBB142_33:
	s_lshr_b32 s4, s16, 23
	s_cmpk_eq_i32 s4, 0xff
	v_mov_b32_e32 v0, 0xff
	s_cbranch_scc1 .LBB142_35
.LBB142_34:
	s_bitcmp1_b32 s16, 22
	s_cselect_b64 s[12:13], -1, 0
	s_and_b32 s5, s16, 0x3fffff
	s_or_b32 s5, s4, s5
	s_cmp_lg_u32 s5, 0
	s_cselect_b64 s[16:17], -1, 0
	s_and_b64 s[12:13], s[12:13], s[16:17]
	v_cndmask_b32_e64 v0, 0, 1, s[12:13]
	v_add_u32_e32 v0, s4, v0
.LBB142_35:
	s_mov_b64 s[12:13], -1
	s_mov_b64 s[4:5], 0
	global_store_byte v[10:11], v0, off
.LBB142_36:
	s_mov_b64 s[16:17], 0
.LBB142_37:
	s_and_b64 vcc, exec, s[16:17]
	s_cbranch_vccz .LBB142_49
; %bb.38:
	s_cmp_eq_u32 s18, 29
	s_mov_b64 s[4:5], -1
	s_cbranch_scc0 .LBB142_49
; %bb.39:
	s_cmpk_lt_i32 s31, 0x80
	s_cbranch_scc1 .LBB142_43
; %bb.40:
	s_and_b32 s4, 0xffff, s31
	s_cmpk_lg_i32 s4, 0x80
	s_mov_b64 s[12:13], 0
	s_cselect_b64 s[4:5], -1, 0
	s_branch .LBB142_44
.LBB142_41:
	s_andn2_b64 vcc, exec, s[4:5]
	s_cbranch_vccnz .LBB142_33
.LBB142_42:
	s_mov_b32 s16, s34
	s_lshr_b32 s4, s16, 23
	s_cmpk_eq_i32 s4, 0xff
	v_mov_b32_e32 v0, 0xff
	s_cbranch_scc0 .LBB142_34
	s_branch .LBB142_35
.LBB142_43:
	s_mov_b64 s[12:13], -1
	s_mov_b64 s[4:5], 0
.LBB142_44:
	s_andn2_b64 vcc, exec, s[12:13]
	s_cbranch_vccnz .LBB142_46
; %bb.45:
	s_and_b32 s4, 0xffff, s31
	s_cmp_lg_u32 s4, 0
	s_cselect_b64 s[4:5], -1, 0
.LBB142_46:
	v_mov_b32_e32 v0, 0
	s_andn2_b64 vcc, exec, s[4:5]
	v_mov_b32_e32 v1, 0
	s_cbranch_vccnz .LBB142_48
; %bb.47:
	v_mov_b32_e32 v0, v8
	v_mov_b32_e32 v1, v9
.LBB142_48:
	global_store_dwordx2 v[10:11], v[0:1], off
	s_mov_b64 s[12:13], -1
	s_mov_b64 s[4:5], 0
.LBB142_49:
	s_mov_b64 s[16:17], 0
.LBB142_50:
	s_and_b64 vcc, exec, s[16:17]
	s_cbranch_vccz .LBB142_74
; %bb.51:
	s_cmp_lt_i32 s18, 27
	s_mov_b64 s[12:13], -1
	s_cbranch_scc1 .LBB142_71
; %bb.52:
	s_cmp_gt_i32 s18, 27
	s_cbranch_scc0 .LBB142_61
; %bb.53:
	s_cmpk_lt_i32 s31, 0x80
	s_cbranch_scc1 .LBB142_55
; %bb.54:
	s_and_b32 s12, 0xffff, s31
	s_cmpk_lg_i32 s12, 0x80
	s_mov_b64 s[16:17], 0
	s_cselect_b64 s[12:13], -1, 0
	s_branch .LBB142_56
.LBB142_55:
	s_mov_b64 s[16:17], -1
	s_mov_b64 s[12:13], 0
.LBB142_56:
	s_andn2_b64 vcc, exec, s[16:17]
	s_cbranch_vccnz .LBB142_58
; %bb.57:
	s_and_b32 s12, 0xffff, s31
	s_cmp_lg_u32 s12, 0
	s_cselect_b64 s[12:13], -1, 0
.LBB142_58:
	s_andn2_b64 vcc, exec, s[12:13]
	v_mov_b32_e32 v0, 0
	s_cbranch_vccnz .LBB142_60
; %bb.59:
	v_mov_b32_e32 v0, v15
.LBB142_60:
	global_store_dword v[10:11], v0, off
	s_mov_b64 s[12:13], 0
.LBB142_61:
	s_and_b64 vcc, exec, s[12:13]
	s_cbranch_vccz .LBB142_70
; %bb.62:
	s_cmpk_lt_i32 s31, 0x80
	s_cbranch_scc1 .LBB142_64
; %bb.63:
	s_and_b32 s12, 0xffff, s31
	s_cmpk_lg_i32 s12, 0x80
	s_mov_b64 s[16:17], 0
	s_cselect_b64 s[12:13], -1, 0
	s_branch .LBB142_65
.LBB142_64:
	s_mov_b64 s[16:17], -1
	s_mov_b64 s[12:13], 0
.LBB142_65:
	s_andn2_b64 vcc, exec, s[16:17]
	s_cbranch_vccnz .LBB142_67
; %bb.66:
	s_and_b32 s12, 0xffff, s31
	s_cmp_lg_u32 s12, 0
	s_cselect_b64 s[12:13], -1, 0
.LBB142_67:
	s_andn2_b64 vcc, exec, s[12:13]
	v_mov_b32_e32 v0, 0
	s_cbranch_vccnz .LBB142_69
; %bb.68:
	v_mov_b32_e32 v0, v15
.LBB142_69:
	global_store_short v[10:11], v0, off
.LBB142_70:
	s_mov_b64 s[12:13], 0
.LBB142_71:
	s_andn2_b64 vcc, exec, s[12:13]
	s_cbranch_vccnz .LBB142_73
; %bb.72:
	v_mov_b32_e32 v0, s3
	global_store_byte v[10:11], v0, off
.LBB142_73:
	s_mov_b64 s[12:13], -1
.LBB142_74:
	s_branch .LBB142_157
.LBB142_75:
	s_cmp_gt_i32 s18, 22
	s_mov_b64 s[16:17], -1
	s_cbranch_scc0 .LBB142_140
; %bb.76:
	s_cmp_lt_i32 s18, 24
	s_mov_b64 s[12:13], -1
	s_cbranch_scc1 .LBB142_118
; %bb.77:
	s_cmp_gt_i32 s18, 24
	s_cbranch_scc0 .LBB142_96
; %bb.78:
	s_cmpk_lt_i32 s31, 0x80
	s_cbranch_scc1 .LBB142_82
; %bb.79:
	s_and_b32 s12, 0xffff, s31
	s_cmpk_eq_i32 s12, 0x80
	s_mov_b64 s[12:13], -1
	s_cbranch_scc0 .LBB142_81
; %bb.80:
	s_mov_b64 s[12:13], 0
.LBB142_81:
	s_mov_b64 s[16:17], 0
	s_branch .LBB142_83
.LBB142_82:
	s_mov_b64 s[12:13], 0
.LBB142_83:
	s_mov_b32 s19, 0x7f800001
	s_and_b64 vcc, exec, s[16:17]
	s_cbranch_vccz .LBB142_86
; %bb.84:
	s_and_b32 s12, 0xffff, s31
	s_cmp_lg_u32 s12, 0
	s_mov_b32 s19, 0
	s_cselect_b64 s[12:13], -1, 0
	s_andn2_b64 vcc, exec, s[12:13]
	s_cbranch_vccz .LBB142_87
.LBB142_85:
	s_and_b32 s12, s19, 0x7fffffff
	s_cmp_gt_u32 s12, 0x477fffff
	v_mov_b32_e32 v1, 0x80
	s_cbranch_scc0 .LBB142_88
	s_branch .LBB142_95
.LBB142_86:
	s_andn2_b64 vcc, exec, s[12:13]
	s_cbranch_vccnz .LBB142_85
.LBB142_87:
	s_mov_b32 s19, s33
	s_and_b32 s12, s19, 0x7fffffff
	s_cmp_gt_u32 s12, 0x477fffff
	v_mov_b32_e32 v1, 0x80
	s_cbranch_scc1 .LBB142_95
.LBB142_88:
	s_cmp_gt_u32 s12, 0x37ffffff
	s_cbranch_scc0 .LBB142_90
; %bb.89:
	s_bfe_u32 s12, s19, 0x10015
	s_add_i32 s12, s19, s12
	s_add_i32 s12, s12, 0x88fffff
	s_lshr_b32 s20, s12, 21
	s_mov_b64 s[16:17], 0
	s_mov_b64 s[12:13], -1
	s_branch .LBB142_91
.LBB142_90:
	s_mov_b64 s[16:17], -1
	s_mov_b64 s[12:13], 0
                                        ; implicit-def: $sgpr20
.LBB142_91:
	s_andn2_b64 vcc, exec, s[16:17]
	v_mov_b32_e32 v0, s20
	s_cbranch_vccnz .LBB142_93
; %bb.92:
	v_mov_b32_e32 v0, 0x42800000
	v_add_f32_e64 v0, |s19|, v0
	v_and_b32_e32 v0, 0xff, v0
	v_cmp_ne_u32_e64 s[12:13], 0, v0
.LBB142_93:
	s_andn2_b64 vcc, exec, s[12:13]
	v_mov_b32_e32 v1, 0
	s_cbranch_vccnz .LBB142_95
; %bb.94:
	s_lshr_b32 s12, s19, 24
	s_and_b32 s12, s12, 0x80
	v_or_b32_e32 v1, s12, v0
.LBB142_95:
	global_store_byte v[10:11], v1, off
	s_mov_b64 s[12:13], 0
.LBB142_96:
	s_and_b64 vcc, exec, s[12:13]
	s_cbranch_vccz .LBB142_117
; %bb.97:
	s_cmpk_lt_i32 s31, 0x80
	s_cbranch_scc1 .LBB142_101
; %bb.98:
	s_and_b32 s12, 0xffff, s31
	s_cmpk_eq_i32 s12, 0x80
	s_mov_b64 s[12:13], -1
	s_cbranch_scc0 .LBB142_100
; %bb.99:
	s_mov_b64 s[12:13], 0
.LBB142_100:
	s_mov_b64 s[16:17], 0
	s_branch .LBB142_102
.LBB142_101:
	s_mov_b64 s[16:17], -1
	s_mov_b64 s[12:13], 0
.LBB142_102:
	s_mov_b32 s19, 0x7f800001
	s_and_b64 vcc, exec, s[16:17]
	s_cbranch_vccz .LBB142_107
; %bb.103:
	s_and_b32 s12, 0xffff, s31
	s_cmp_lg_u32 s12, 0
	s_mov_b32 s19, 0
	s_cselect_b64 s[12:13], -1, 0
	s_andn2_b64 vcc, exec, s[12:13]
	s_cbranch_vccz .LBB142_108
.LBB142_104:
	s_and_b32 s16, s19, 0x7fffffff
	s_cmp_lt_u32 s16, 0x43f00000
	s_cbranch_scc0 .LBB142_109
.LBB142_105:
	s_cmp_gt_u32 s16, 0x3c7fffff
	s_cbranch_scc0 .LBB142_110
; %bb.106:
	s_bfe_u32 s12, s19, 0x10014
	s_add_i32 s12, s19, s12
	s_add_i32 s12, s12, 0x407ffff
	s_lshr_b32 s13, s12, 20
	s_and_b32 s12, s12, 0xff00000
	s_cmp_lg_u32 s12, 0x7f00000
	s_cselect_b32 s17, s13, 0x7e
	s_mov_b64 s[12:13], 0
	s_branch .LBB142_111
.LBB142_107:
	s_andn2_b64 vcc, exec, s[12:13]
	s_cbranch_vccnz .LBB142_104
.LBB142_108:
	s_mov_b32 s19, s33
	s_and_b32 s16, s19, 0x7fffffff
	s_cmp_lt_u32 s16, 0x43f00000
	s_cbranch_scc1 .LBB142_105
.LBB142_109:
	s_mov_b64 s[12:13], -1
                                        ; implicit-def: $vgpr0
	s_branch .LBB142_114
.LBB142_110:
	s_mov_b64 s[12:13], -1
                                        ; implicit-def: $sgpr17
.LBB142_111:
	s_andn2_b64 vcc, exec, s[12:13]
	v_mov_b32_e32 v0, s17
	s_cbranch_vccnz .LBB142_113
; %bb.112:
	v_mov_b32_e32 v0, 0x46800000
	v_add_f32_e64 v0, |s19|, v0
.LBB142_113:
	s_mov_b64 s[12:13], 0
.LBB142_114:
	s_andn2_b64 vcc, exec, s[12:13]
	s_cbranch_vccnz .LBB142_116
; %bb.115:
	s_cmp_gt_u32 s16, 0x7f800000
	s_movk_i32 s12, 0x7f
	s_cselect_b32 s12, s12, 0x7e
	v_mov_b32_e32 v0, s12
.LBB142_116:
	s_lshr_b32 s12, s19, 24
	s_and_b32 s12, s12, 0x80
	v_or_b32_e32 v0, s12, v0
	global_store_byte v[10:11], v0, off
.LBB142_117:
	s_mov_b64 s[12:13], 0
.LBB142_118:
	s_andn2_b64 vcc, exec, s[12:13]
	s_cbranch_vccnz .LBB142_139
; %bb.119:
	s_cmpk_lt_i32 s31, 0x80
	s_cbranch_scc1 .LBB142_123
; %bb.120:
	s_and_b32 s12, 0xffff, s31
	s_cmpk_eq_i32 s12, 0x80
	s_mov_b64 s[12:13], -1
	s_cbranch_scc0 .LBB142_122
; %bb.121:
	s_mov_b64 s[12:13], 0
.LBB142_122:
	s_mov_b64 s[16:17], 0
	s_branch .LBB142_124
.LBB142_123:
	s_mov_b64 s[16:17], -1
	s_mov_b64 s[12:13], 0
.LBB142_124:
	s_mov_b32 s19, 0x7f800001
	s_and_b64 vcc, exec, s[16:17]
	s_cbranch_vccz .LBB142_129
; %bb.125:
	s_and_b32 s12, 0xffff, s31
	s_cmp_lg_u32 s12, 0
	s_mov_b32 s19, 0
	s_cselect_b64 s[12:13], -1, 0
	s_andn2_b64 vcc, exec, s[12:13]
	s_cbranch_vccz .LBB142_130
.LBB142_126:
	s_and_b32 s16, s19, 0x7fffffff
	s_cmp_lt_u32 s16, 0x47800000
	s_cbranch_scc0 .LBB142_131
.LBB142_127:
	s_cmp_gt_u32 s16, 0x387fffff
	s_cbranch_scc0 .LBB142_132
; %bb.128:
	s_bfe_u32 s12, s19, 0x10015
	s_add_i32 s12, s19, s12
	s_add_i32 s12, s12, 0x80fffff
	s_lshr_b32 s17, s12, 21
	s_mov_b64 s[12:13], 0
	s_branch .LBB142_133
.LBB142_129:
	s_andn2_b64 vcc, exec, s[12:13]
	s_cbranch_vccnz .LBB142_126
.LBB142_130:
	s_mov_b32 s19, s33
	s_and_b32 s16, s19, 0x7fffffff
	s_cmp_lt_u32 s16, 0x47800000
	s_cbranch_scc1 .LBB142_127
.LBB142_131:
	s_mov_b64 s[12:13], -1
                                        ; implicit-def: $vgpr0
	s_branch .LBB142_136
.LBB142_132:
	s_mov_b64 s[12:13], -1
                                        ; implicit-def: $sgpr17
.LBB142_133:
	s_andn2_b64 vcc, exec, s[12:13]
	v_mov_b32_e32 v0, s17
	s_cbranch_vccnz .LBB142_135
; %bb.134:
	v_mov_b32_e32 v0, 0x43000000
	v_add_f32_e64 v0, |s19|, v0
.LBB142_135:
	s_mov_b64 s[12:13], 0
.LBB142_136:
	s_andn2_b64 vcc, exec, s[12:13]
	s_cbranch_vccnz .LBB142_138
; %bb.137:
	s_cmp_gt_u32 s16, 0x7f800000
	s_movk_i32 s12, 0x7f
	s_cselect_b32 s12, s12, 0x7c
	v_mov_b32_e32 v0, s12
.LBB142_138:
	s_lshr_b32 s12, s19, 24
	s_and_b32 s12, s12, 0x80
	v_or_b32_e32 v0, s12, v0
	global_store_byte v[10:11], v0, off
.LBB142_139:
	s_mov_b64 s[16:17], 0
	s_mov_b64 s[12:13], -1
.LBB142_140:
	s_andn2_b64 vcc, exec, s[16:17]
	s_cbranch_vccnz .LBB142_157
; %bb.141:
	s_cmp_gt_i32 s18, 14
	s_mov_b64 s[16:17], -1
	s_cbranch_scc0 .LBB142_154
; %bb.142:
	s_cmp_eq_u32 s18, 15
	s_mov_b64 s[4:5], -1
	s_cbranch_scc0 .LBB142_153
; %bb.143:
	s_cmpk_lt_i32 s31, 0x80
	s_cbranch_scc1 .LBB142_147
; %bb.144:
	s_and_b32 s4, 0xffff, s31
	s_cmpk_eq_i32 s4, 0x80
	s_mov_b64 s[4:5], -1
	s_cbranch_scc0 .LBB142_146
; %bb.145:
	s_mov_b64 s[4:5], 0
.LBB142_146:
	s_mov_b64 s[12:13], 0
	s_branch .LBB142_148
.LBB142_147:
	s_mov_b64 s[12:13], -1
	s_mov_b64 s[4:5], 0
.LBB142_148:
	s_mov_b32 s16, 0x7f800001
	s_and_b64 vcc, exec, s[12:13]
	s_cbranch_vccz .LBB142_150
; %bb.149:
	s_and_b32 s4, 0xffff, s31
	s_cmp_lg_u32 s4, 0
	s_mov_b32 s16, 0
	s_cselect_b64 s[4:5], -1, 0
.LBB142_150:
	s_andn2_b64 vcc, exec, s[4:5]
	s_cbranch_vccnz .LBB142_152
; %bb.151:
	s_mov_b32 s16, s33
.LBB142_152:
	s_bfe_u32 s4, s16, 0x10010
	s_add_i32 s4, s16, s4
	s_addk_i32 s4, 0x7fff
	s_lshr_b32 s12, s4, 16
	v_cmp_o_f32_e64 s[4:5], s16, s16
	s_and_b64 s[4:5], s[4:5], exec
	s_cselect_b32 s4, s12, 0x7fc0
	v_mov_b32_e32 v0, s4
	global_store_short v[10:11], v0, off
	s_mov_b64 s[12:13], -1
	s_mov_b64 s[4:5], 0
.LBB142_153:
	s_mov_b64 s[16:17], 0
.LBB142_154:
	s_and_b64 vcc, exec, s[16:17]
	s_cbranch_vccz .LBB142_157
; %bb.155:
	s_cmp_eq_u32 s18, 11
	s_mov_b64 s[4:5], -1
	s_cbranch_scc0 .LBB142_157
; %bb.156:
	s_mov_b64 s[12:13], -1
	s_mov_b64 s[4:5], 0
	global_store_byte v[10:11], v14, off
.LBB142_157:
	s_branch .LBB142_12
.LBB142_158:
	s_cmp_lt_i32 s18, 5
	s_mov_b64 s[12:13], -1
	s_cbranch_scc1 .LBB142_235
; %bb.159:
	s_cmp_lt_i32 s18, 8
	s_cbranch_scc1 .LBB142_197
; %bb.160:
	s_cmp_lt_i32 s18, 9
	s_cbranch_scc1 .LBB142_185
; %bb.161:
	s_cmp_gt_i32 s18, 9
	s_cbranch_scc0 .LBB142_173
; %bb.162:
	s_cmpk_lt_i32 s31, 0x80
	s_cbranch_scc1 .LBB142_166
; %bb.163:
	s_and_b32 s12, 0xffff, s31
	s_cmpk_eq_i32 s12, 0x80
	s_mov_b64 s[12:13], -1
	s_cbranch_scc0 .LBB142_165
; %bb.164:
	s_mov_b64 s[12:13], 0
.LBB142_165:
	s_mov_b64 s[16:17], 0
	s_branch .LBB142_167
.LBB142_166:
	s_mov_b64 s[16:17], -1
	s_mov_b64 s[12:13], 0
.LBB142_167:
	s_and_b64 vcc, exec, s[16:17]
	s_cbranch_vccz .LBB142_169
; %bb.168:
	s_and_b32 s12, 0xffff, s31
	s_cmp_lg_u32 s12, 0
	s_mov_b64 s[16:17], 0
	s_cselect_b64 s[12:13], -1, 0
	s_branch .LBB142_170
.LBB142_169:
	s_mov_b32 s17, 0x7ff80000
	s_brev_b32 s16, 4
.LBB142_170:
	v_mov_b32_e32 v0, s16
	s_andn2_b64 vcc, exec, s[12:13]
	v_mov_b32_e32 v1, s17
	s_cbranch_vccnz .LBB142_172
; %bb.171:
	v_mov_b32_e32 v0, v6
	v_mov_b32_e32 v1, v7
.LBB142_172:
	v_mov_b32_e32 v2, 0
	v_mov_b32_e32 v3, v2
	global_store_dwordx4 v[10:11], v[0:3], off
	s_mov_b64 s[12:13], 0
.LBB142_173:
	s_and_b64 vcc, exec, s[12:13]
	s_cbranch_vccz .LBB142_184
; %bb.174:
	s_cmpk_lt_i32 s31, 0x80
	s_cbranch_scc1 .LBB142_178
; %bb.175:
	s_and_b32 s12, 0xffff, s31
	s_cmpk_eq_i32 s12, 0x80
	s_mov_b64 s[12:13], -1
	s_cbranch_scc0 .LBB142_177
; %bb.176:
	s_mov_b64 s[12:13], 0
.LBB142_177:
	s_mov_b64 s[16:17], 0
	s_branch .LBB142_179
.LBB142_178:
	s_mov_b64 s[16:17], -1
	s_mov_b64 s[12:13], 0
.LBB142_179:
	s_mov_b32 s19, 0x7f800001
	s_and_b64 vcc, exec, s[16:17]
	s_cbranch_vccz .LBB142_181
; %bb.180:
	s_and_b32 s19, 0xffff, s31
	s_cmp_lg_u32 s19, 0
	s_cselect_b64 s[12:13], -1, 0
.LBB142_181:
	s_andn2_b64 vcc, exec, s[12:13]
	s_cbranch_vccnz .LBB142_183
; %bb.182:
	s_mov_b32 s19, s33
.LBB142_183:
	v_mov_b32_e32 v0, s19
	v_mov_b32_e32 v1, 0
	global_store_dwordx2 v[10:11], v[0:1], off
.LBB142_184:
	s_mov_b64 s[12:13], 0
.LBB142_185:
	s_andn2_b64 vcc, exec, s[12:13]
	s_cbranch_vccnz .LBB142_196
; %bb.186:
	s_cmpk_lt_i32 s31, 0x80
	s_cbranch_scc1 .LBB142_190
; %bb.187:
	s_and_b32 s12, 0xffff, s31
	s_cmpk_eq_i32 s12, 0x80
	s_mov_b64 s[12:13], -1
	s_cbranch_scc0 .LBB142_189
; %bb.188:
	s_mov_b64 s[12:13], 0
.LBB142_189:
	s_mov_b64 s[16:17], 0
	s_branch .LBB142_191
.LBB142_190:
	s_mov_b64 s[16:17], -1
	s_mov_b64 s[12:13], 0
.LBB142_191:
	s_movk_i32 s19, 0x7e00
	s_and_b64 vcc, exec, s[16:17]
	s_cbranch_vccz .LBB142_193
; %bb.192:
	s_and_b32 s19, 0xffff, s31
	s_cmp_lg_u32 s19, 0
	s_cselect_b64 s[12:13], -1, 0
.LBB142_193:
	s_andn2_b64 vcc, exec, s[12:13]
	v_mov_b32_e32 v0, s19
	s_cbranch_vccnz .LBB142_195
; %bb.194:
	v_mov_b32_e32 v0, v13
.LBB142_195:
	global_store_dword v[10:11], v0, off
.LBB142_196:
	s_mov_b64 s[12:13], 0
.LBB142_197:
	s_andn2_b64 vcc, exec, s[12:13]
	s_cbranch_vccnz .LBB142_234
; %bb.198:
	s_cmp_lt_i32 s18, 6
	s_mov_b64 s[12:13], -1
	s_cbranch_scc1 .LBB142_223
; %bb.199:
	s_cmp_gt_i32 s18, 6
	s_cbranch_scc0 .LBB142_211
; %bb.200:
	s_cmpk_lt_i32 s31, 0x80
	s_cbranch_scc1 .LBB142_204
; %bb.201:
	s_and_b32 s12, 0xffff, s31
	s_cmpk_eq_i32 s12, 0x80
	s_mov_b64 s[12:13], -1
	s_cbranch_scc0 .LBB142_203
; %bb.202:
	s_mov_b64 s[12:13], 0
.LBB142_203:
	s_mov_b64 s[16:17], 0
	s_branch .LBB142_205
.LBB142_204:
	s_mov_b64 s[16:17], -1
	s_mov_b64 s[12:13], 0
.LBB142_205:
	s_and_b64 vcc, exec, s[16:17]
	s_cbranch_vccz .LBB142_207
; %bb.206:
	s_and_b32 s12, 0xffff, s31
	s_cmp_lg_u32 s12, 0
	s_mov_b64 s[16:17], 0
	s_cselect_b64 s[12:13], -1, 0
	s_branch .LBB142_208
.LBB142_207:
	s_mov_b32 s17, 0x7ff80000
	s_brev_b32 s16, 4
.LBB142_208:
	v_mov_b32_e32 v0, s16
	s_andn2_b64 vcc, exec, s[12:13]
	v_mov_b32_e32 v1, s17
	s_cbranch_vccnz .LBB142_210
; %bb.209:
	v_mov_b32_e32 v0, v6
	v_mov_b32_e32 v1, v7
.LBB142_210:
	global_store_dwordx2 v[10:11], v[0:1], off
	s_mov_b64 s[12:13], 0
.LBB142_211:
	s_and_b64 vcc, exec, s[12:13]
	s_cbranch_vccz .LBB142_222
; %bb.212:
	s_cmpk_lt_i32 s31, 0x80
	s_cbranch_scc1 .LBB142_216
; %bb.213:
	s_and_b32 s12, 0xffff, s31
	s_cmpk_eq_i32 s12, 0x80
	s_mov_b64 s[12:13], -1
	s_cbranch_scc0 .LBB142_215
; %bb.214:
	s_mov_b64 s[12:13], 0
.LBB142_215:
	s_mov_b64 s[16:17], 0
	s_branch .LBB142_217
.LBB142_216:
	s_mov_b64 s[16:17], -1
	s_mov_b64 s[12:13], 0
.LBB142_217:
	s_mov_b32 s19, 0x7f800001
	s_and_b64 vcc, exec, s[16:17]
	s_cbranch_vccz .LBB142_219
; %bb.218:
	s_and_b32 s12, 0xffff, s31
	s_cmp_lg_u32 s12, 0
	s_mov_b32 s19, 0
	s_cselect_b64 s[12:13], -1, 0
.LBB142_219:
	s_andn2_b64 vcc, exec, s[12:13]
	s_cbranch_vccnz .LBB142_221
; %bb.220:
	s_mov_b32 s19, s33
.LBB142_221:
	v_mov_b32_e32 v0, s19
	global_store_dword v[10:11], v0, off
.LBB142_222:
	s_mov_b64 s[12:13], 0
.LBB142_223:
	s_andn2_b64 vcc, exec, s[12:13]
	s_cbranch_vccnz .LBB142_234
; %bb.224:
	s_cmpk_lt_i32 s31, 0x80
	s_cbranch_scc1 .LBB142_228
; %bb.225:
	s_and_b32 s12, 0xffff, s31
	s_cmpk_eq_i32 s12, 0x80
	s_mov_b64 s[12:13], -1
	s_cbranch_scc0 .LBB142_227
; %bb.226:
	s_mov_b64 s[12:13], 0
.LBB142_227:
	s_mov_b64 s[16:17], 0
	s_branch .LBB142_229
.LBB142_228:
	s_mov_b64 s[16:17], -1
	s_mov_b64 s[12:13], 0
.LBB142_229:
	s_movk_i32 s19, 0x7e00
	s_and_b64 vcc, exec, s[16:17]
	s_cbranch_vccz .LBB142_231
; %bb.230:
	s_and_b32 s12, 0xffff, s31
	s_cmp_lg_u32 s12, 0
	s_cselect_b64 s[12:13], -1, 0
	s_mov_b32 s19, s31
.LBB142_231:
	s_andn2_b64 vcc, exec, s[12:13]
	v_mov_b32_e32 v0, s19
	s_cbranch_vccnz .LBB142_233
; %bb.232:
	v_mov_b32_e32 v0, v13
.LBB142_233:
	global_store_short v[10:11], v0, off
.LBB142_234:
	s_mov_b64 s[12:13], 0
.LBB142_235:
	s_andn2_b64 vcc, exec, s[12:13]
	s_cbranch_vccnz .LBB142_286
; %bb.236:
	s_cmp_lt_i32 s18, 2
	s_mov_b64 s[12:13], -1
	s_cbranch_scc1 .LBB142_267
; %bb.237:
	s_cmp_lt_i32 s18, 3
	s_cbranch_scc1 .LBB142_257
; %bb.238:
	s_cmp_gt_i32 s18, 3
	s_cbranch_scc0 .LBB142_247
; %bb.239:
	s_cmpk_lt_i32 s31, 0x80
	s_cbranch_scc1 .LBB142_241
; %bb.240:
	s_and_b32 s12, 0xffff, s31
	s_cmpk_lg_i32 s12, 0x80
	s_mov_b64 s[16:17], 0
	s_cselect_b64 s[12:13], -1, 0
	s_branch .LBB142_242
.LBB142_241:
	s_mov_b64 s[16:17], -1
	s_mov_b64 s[12:13], 0
.LBB142_242:
	s_andn2_b64 vcc, exec, s[16:17]
	s_cbranch_vccnz .LBB142_244
; %bb.243:
	s_and_b32 s12, 0xffff, s31
	s_cmp_lg_u32 s12, 0
	s_cselect_b64 s[12:13], -1, 0
.LBB142_244:
	v_mov_b32_e32 v0, 0
	s_andn2_b64 vcc, exec, s[12:13]
	v_mov_b32_e32 v1, 0
	s_cbranch_vccnz .LBB142_246
; %bb.245:
	v_mov_b32_e32 v0, v4
	v_mov_b32_e32 v1, v5
.LBB142_246:
	global_store_dwordx2 v[10:11], v[0:1], off
	s_mov_b64 s[12:13], 0
.LBB142_247:
	s_and_b64 vcc, exec, s[12:13]
	s_cbranch_vccz .LBB142_256
; %bb.248:
	s_cmpk_lt_i32 s31, 0x80
	s_cbranch_scc1 .LBB142_250
; %bb.249:
	s_and_b32 s12, 0xffff, s31
	s_cmpk_lg_i32 s12, 0x80
	s_mov_b64 s[16:17], 0
	s_cselect_b64 s[12:13], -1, 0
	s_branch .LBB142_251
.LBB142_250:
	s_mov_b64 s[16:17], -1
	s_mov_b64 s[12:13], 0
.LBB142_251:
	s_andn2_b64 vcc, exec, s[16:17]
	s_cbranch_vccnz .LBB142_253
; %bb.252:
	s_and_b32 s12, 0xffff, s31
	s_cmp_lg_u32 s12, 0
	s_cselect_b64 s[12:13], -1, 0
.LBB142_253:
	s_andn2_b64 vcc, exec, s[12:13]
	v_mov_b32_e32 v0, 0
	s_cbranch_vccnz .LBB142_255
; %bb.254:
	v_mov_b32_e32 v0, v12
.LBB142_255:
	global_store_dword v[10:11], v0, off
.LBB142_256:
	s_mov_b64 s[12:13], 0
.LBB142_257:
	s_andn2_b64 vcc, exec, s[12:13]
	s_cbranch_vccnz .LBB142_266
; %bb.258:
	s_cmpk_lt_i32 s31, 0x80
	s_cbranch_scc1 .LBB142_260
; %bb.259:
	s_and_b32 s12, 0xffff, s31
	s_cmpk_lg_i32 s12, 0x80
	s_mov_b64 s[16:17], 0
	s_cselect_b64 s[12:13], -1, 0
	s_branch .LBB142_261
.LBB142_260:
	s_mov_b64 s[16:17], -1
	s_mov_b64 s[12:13], 0
.LBB142_261:
	s_andn2_b64 vcc, exec, s[16:17]
	s_cbranch_vccnz .LBB142_263
; %bb.262:
	s_and_b32 s12, 0xffff, s31
	s_cmp_lg_u32 s12, 0
	s_cselect_b64 s[12:13], -1, 0
.LBB142_263:
	s_andn2_b64 vcc, exec, s[12:13]
	v_mov_b32_e32 v0, 0
	s_cbranch_vccnz .LBB142_265
; %bb.264:
	v_mov_b32_e32 v0, v12
.LBB142_265:
	global_store_short v[10:11], v0, off
.LBB142_266:
	s_mov_b64 s[12:13], 0
.LBB142_267:
	s_andn2_b64 vcc, exec, s[12:13]
	s_cbranch_vccnz .LBB142_286
; %bb.268:
	s_cmp_gt_i32 s18, 0
	s_mov_b64 s[12:13], -1
	s_cbranch_scc0 .LBB142_277
; %bb.269:
	s_cmpk_lt_i32 s31, 0x80
	s_cbranch_scc1 .LBB142_271
; %bb.270:
	s_and_b32 s12, 0xffff, s31
	s_cmpk_lg_i32 s12, 0x80
	s_mov_b64 s[16:17], 0
	s_cselect_b64 s[12:13], -1, 0
	s_branch .LBB142_272
.LBB142_271:
	s_mov_b64 s[16:17], -1
	s_mov_b64 s[12:13], 0
.LBB142_272:
	s_andn2_b64 vcc, exec, s[16:17]
	s_cbranch_vccnz .LBB142_274
; %bb.273:
	s_and_b32 s12, 0xffff, s31
	s_cmp_lg_u32 s12, 0
	s_cselect_b64 s[12:13], -1, 0
.LBB142_274:
	s_andn2_b64 vcc, exec, s[12:13]
	v_mov_b32_e32 v0, 0
	s_cbranch_vccnz .LBB142_276
; %bb.275:
	v_mov_b32_e32 v0, v12
.LBB142_276:
	global_store_byte v[10:11], v0, off
	s_mov_b64 s[12:13], 0
.LBB142_277:
	s_and_b64 vcc, exec, s[12:13]
	s_cbranch_vccz .LBB142_286
; %bb.278:
	s_cmpk_lt_i32 s31, 0x80
	s_cbranch_scc1 .LBB142_280
; %bb.279:
	s_and_b32 s12, 0xffff, s31
	s_cmpk_lg_i32 s12, 0x80
	s_mov_b64 s[16:17], 0
	s_cselect_b64 s[12:13], -1, 0
	s_branch .LBB142_281
.LBB142_280:
	s_mov_b64 s[16:17], -1
	s_mov_b64 s[12:13], 0
.LBB142_281:
	s_andn2_b64 vcc, exec, s[16:17]
	s_cbranch_vccnz .LBB142_283
; %bb.282:
	s_and_b32 s12, 0xffff, s31
	s_cmp_lg_u32 s12, 0
	s_cselect_b64 s[12:13], -1, 0
.LBB142_283:
	s_andn2_b64 vcc, exec, s[12:13]
	v_mov_b32_e32 v0, 0
	s_cbranch_vccnz .LBB142_285
; %bb.284:
	v_mov_b32_e32 v0, v4
.LBB142_285:
	global_store_byte v[10:11], v0, off
.LBB142_286:
	s_branch .LBB142_13
.LBB142_287:
	s_mov_b64 s[12:13], 0
                                        ; implicit-def: $vgpr16
.LBB142_288:
	s_and_b64 s[4:5], s[4:5], exec
	s_orn2_b64 s[12:13], s[12:13], exec
.LBB142_289:
	s_or_b64 exec, exec, s[10:11]
	s_mov_b64 s[16:17], 0
                                        ; implicit-def: $vgpr10_vgpr11
	s_and_saveexec_b64 s[10:11], s[12:13]
	s_cbranch_execz .LBB142_300
; %bb.290:
	v_cmp_gt_i32_e32 vcc, s24, v16
	s_mov_b64 s[18:19], -1
	s_mov_b64 s[12:13], s[4:5]
	s_and_saveexec_b64 s[14:15], vcc
	s_cbranch_execz .LBB142_582
; %bb.291:
	v_mul_lo_u32 v0, v16, s2
	v_mov_b32_e32 v1, s1
	s_and_b32 s20, 0xffff, s30
	s_cmp_lt_i32 s20, 11
	v_ashrrev_i32_e32 v2, 31, v0
	v_add_co_u32_e32 v10, vcc, s0, v0
	v_addc_co_u32_e32 v11, vcc, v1, v2, vcc
	s_cbranch_scc1 .LBB142_303
; %bb.292:
	s_cmp_gt_i32 s20, 25
	s_cbranch_scc0 .LBB142_306
; %bb.293:
	s_cmp_gt_i32 s20, 28
	s_cbranch_scc0 .LBB142_307
	;; [unrolled: 3-line block ×4, first 2 shown]
; %bb.296:
	s_mov_b64 s[18:19], 0
	s_mov_b64 s[12:13], -1
	s_cmp_eq_u32 s20, 46
	s_cbranch_scc0 .LBB142_316
; %bb.297:
	s_cmpk_lt_i32 s31, 0x80
	s_cbranch_scc1 .LBB142_312
; %bb.298:
	s_and_b32 s12, 0xffff, s31
	s_cmpk_eq_i32 s12, 0x80
	s_mov_b64 s[12:13], -1
	s_cbranch_scc0 .LBB142_310
; %bb.299:
	s_mov_b64 s[12:13], 0
	s_mov_b32 s21, 0x7f800001
	s_and_b64 vcc, exec, s[16:17]
	s_cbranch_vccz .LBB142_313
	s_branch .LBB142_311
.LBB142_300:
	s_or_b64 exec, exec, s[10:11]
	s_mov_b64 s[10:11], 0
	s_and_saveexec_b64 s[12:13], s[4:5]
	s_cbranch_execnz .LBB142_1028
.LBB142_301:
	s_or_b64 exec, exec, s[12:13]
	s_and_saveexec_b64 s[4:5], s[14:15]
	s_xor_b64 s[4:5], exec, s[4:5]
	s_cbranch_execz .LBB142_1029
.LBB142_302:
	global_store_byte v[10:11], v14, off
	s_or_b64 exec, exec, s[4:5]
	s_and_saveexec_b64 s[4:5], s[16:17]
	s_xor_b64 s[4:5], exec, s[4:5]
	s_cbranch_execz .LBB142_1158
	s_branch .LBB142_1030
.LBB142_303:
	s_mov_b64 s[12:13], s[4:5]
	s_and_b64 vcc, exec, s[18:19]
	s_cbranch_vccnz .LBB142_451
.LBB142_304:
	s_andn2_b64 vcc, exec, s[16:17]
	s_cbranch_vccnz .LBB142_580
.LBB142_305:
	v_add_u32_e32 v16, 0x80, v16
	s_mov_b64 s[16:17], -1
	s_branch .LBB142_581
.LBB142_306:
	s_mov_b64 s[12:13], s[4:5]
	s_branch .LBB142_367
.LBB142_307:
	s_mov_b64 s[12:13], s[4:5]
	s_branch .LBB142_342
.LBB142_308:
	s_mov_b64 s[12:13], s[4:5]
	s_branch .LBB142_329
.LBB142_309:
	s_mov_b64 s[12:13], s[4:5]
	s_branch .LBB142_316
.LBB142_310:
	s_mov_b32 s21, 0x7f800001
	s_and_b64 vcc, exec, s[16:17]
	s_cbranch_vccz .LBB142_313
.LBB142_311:
	s_and_b32 s12, 0xffff, s31
	s_cmp_lg_u32 s12, 0
	s_mov_b32 s21, 0
	s_cselect_b64 s[12:13], -1, 0
	s_andn2_b64 vcc, exec, s[12:13]
	s_cbranch_vccz .LBB142_314
	s_branch .LBB142_315
.LBB142_312:
	s_mov_b64 s[12:13], 0
	s_mov_b32 s21, 0x7f800001
	s_cbranch_execnz .LBB142_311
.LBB142_313:
	s_andn2_b64 vcc, exec, s[12:13]
	s_cbranch_vccnz .LBB142_315
.LBB142_314:
	s_mov_b32 s21, s33
.LBB142_315:
	s_bfe_u32 s12, s21, 0x10010
	s_add_i32 s12, s21, s12
	s_addk_i32 s12, 0x7fff
	s_lshr_b32 s16, s12, 16
	v_cmp_o_f32_e64 s[12:13], s21, s21
	s_and_b64 s[12:13], s[12:13], exec
	s_cselect_b32 s12, s16, 0x7fc0
	v_mov_b32_e32 v0, s12
	global_store_dword v[10:11], v0, off
	s_mov_b64 s[16:17], -1
	s_mov_b64 s[12:13], 0
.LBB142_316:
	s_and_b64 vcc, exec, s[18:19]
	s_cbranch_vccz .LBB142_328
; %bb.317:
	s_cmp_eq_u32 s20, 44
	s_mov_b64 s[12:13], -1
	s_cbranch_scc0 .LBB142_328
; %bb.318:
	s_cmpk_lt_i32 s31, 0x80
	s_cbranch_scc1 .LBB142_322
; %bb.319:
	s_and_b32 s12, 0xffff, s31
	s_cmpk_eq_i32 s12, 0x80
	s_mov_b64 s[12:13], -1
	s_cbranch_scc0 .LBB142_321
; %bb.320:
	s_mov_b64 s[12:13], 0
.LBB142_321:
	s_mov_b64 s[16:17], 0
	s_branch .LBB142_323
.LBB142_322:
	s_mov_b64 s[16:17], -1
	s_mov_b64 s[12:13], 0
.LBB142_323:
	s_mov_b32 s18, 0x7f800001
	s_and_b64 vcc, exec, s[16:17]
	s_cbranch_vccz .LBB142_333
; %bb.324:
	s_and_b32 s18, 0xffff, s31
	s_cmp_lg_u32 s18, 0
	s_cselect_b64 s[12:13], -1, 0
	s_andn2_b64 vcc, exec, s[12:13]
	s_cbranch_vccz .LBB142_334
.LBB142_325:
	s_lshr_b32 s12, s18, 23
	s_cmpk_eq_i32 s12, 0xff
	v_mov_b32_e32 v0, 0xff
	s_cbranch_scc1 .LBB142_327
.LBB142_326:
	s_bitcmp1_b32 s18, 22
	s_cselect_b64 s[16:17], -1, 0
	s_and_b32 s13, s18, 0x3fffff
	s_or_b32 s13, s12, s13
	s_cmp_lg_u32 s13, 0
	s_cselect_b64 s[18:19], -1, 0
	s_and_b64 s[16:17], s[16:17], s[18:19]
	v_cndmask_b32_e64 v0, 0, 1, s[16:17]
	v_add_u32_e32 v0, s12, v0
.LBB142_327:
	s_mov_b64 s[16:17], -1
	s_mov_b64 s[12:13], 0
	global_store_byte v[10:11], v0, off
.LBB142_328:
	s_mov_b64 s[18:19], 0
.LBB142_329:
	s_and_b64 vcc, exec, s[18:19]
	s_cbranch_vccz .LBB142_341
; %bb.330:
	s_cmp_eq_u32 s20, 29
	s_mov_b64 s[12:13], -1
	s_cbranch_scc0 .LBB142_341
; %bb.331:
	s_cmpk_lt_i32 s31, 0x80
	s_cbranch_scc1 .LBB142_335
; %bb.332:
	s_and_b32 s12, 0xffff, s31
	s_cmpk_lg_i32 s12, 0x80
	s_mov_b64 s[16:17], 0
	s_cselect_b64 s[12:13], -1, 0
	s_branch .LBB142_336
.LBB142_333:
	s_andn2_b64 vcc, exec, s[12:13]
	s_cbranch_vccnz .LBB142_325
.LBB142_334:
	s_mov_b32 s18, s34
	s_lshr_b32 s12, s18, 23
	s_cmpk_eq_i32 s12, 0xff
	v_mov_b32_e32 v0, 0xff
	s_cbranch_scc0 .LBB142_326
	s_branch .LBB142_327
.LBB142_335:
	s_mov_b64 s[16:17], -1
	s_mov_b64 s[12:13], 0
.LBB142_336:
	s_andn2_b64 vcc, exec, s[16:17]
	s_cbranch_vccnz .LBB142_338
; %bb.337:
	s_and_b32 s12, 0xffff, s31
	s_cmp_lg_u32 s12, 0
	s_cselect_b64 s[12:13], -1, 0
.LBB142_338:
	v_mov_b32_e32 v0, 0
	s_andn2_b64 vcc, exec, s[12:13]
	v_mov_b32_e32 v1, 0
	s_cbranch_vccnz .LBB142_340
; %bb.339:
	v_mov_b32_e32 v0, v8
	v_mov_b32_e32 v1, v9
.LBB142_340:
	global_store_dwordx2 v[10:11], v[0:1], off
	s_mov_b64 s[16:17], -1
	s_mov_b64 s[12:13], 0
.LBB142_341:
	s_mov_b64 s[18:19], 0
.LBB142_342:
	s_and_b64 vcc, exec, s[18:19]
	s_cbranch_vccz .LBB142_366
; %bb.343:
	s_cmp_lt_i32 s20, 27
	s_mov_b64 s[16:17], -1
	s_cbranch_scc1 .LBB142_363
; %bb.344:
	s_cmp_gt_i32 s20, 27
	s_cbranch_scc0 .LBB142_353
; %bb.345:
	s_cmpk_lt_i32 s31, 0x80
	s_cbranch_scc1 .LBB142_347
; %bb.346:
	s_and_b32 s16, 0xffff, s31
	s_cmpk_lg_i32 s16, 0x80
	s_mov_b64 s[18:19], 0
	s_cselect_b64 s[16:17], -1, 0
	s_branch .LBB142_348
.LBB142_347:
	s_mov_b64 s[18:19], -1
	s_mov_b64 s[16:17], 0
.LBB142_348:
	s_andn2_b64 vcc, exec, s[18:19]
	s_cbranch_vccnz .LBB142_350
; %bb.349:
	s_and_b32 s16, 0xffff, s31
	s_cmp_lg_u32 s16, 0
	s_cselect_b64 s[16:17], -1, 0
.LBB142_350:
	s_andn2_b64 vcc, exec, s[16:17]
	v_mov_b32_e32 v0, 0
	s_cbranch_vccnz .LBB142_352
; %bb.351:
	v_mov_b32_e32 v0, v15
.LBB142_352:
	global_store_dword v[10:11], v0, off
	s_mov_b64 s[16:17], 0
.LBB142_353:
	s_and_b64 vcc, exec, s[16:17]
	s_cbranch_vccz .LBB142_362
; %bb.354:
	s_cmpk_lt_i32 s31, 0x80
	s_cbranch_scc1 .LBB142_356
; %bb.355:
	s_and_b32 s16, 0xffff, s31
	s_cmpk_lg_i32 s16, 0x80
	s_mov_b64 s[18:19], 0
	s_cselect_b64 s[16:17], -1, 0
	s_branch .LBB142_357
.LBB142_356:
	s_mov_b64 s[18:19], -1
	s_mov_b64 s[16:17], 0
.LBB142_357:
	s_andn2_b64 vcc, exec, s[18:19]
	s_cbranch_vccnz .LBB142_359
; %bb.358:
	s_and_b32 s16, 0xffff, s31
	s_cmp_lg_u32 s16, 0
	s_cselect_b64 s[16:17], -1, 0
.LBB142_359:
	s_andn2_b64 vcc, exec, s[16:17]
	v_mov_b32_e32 v0, 0
	s_cbranch_vccnz .LBB142_361
; %bb.360:
	v_mov_b32_e32 v0, v15
.LBB142_361:
	global_store_short v[10:11], v0, off
.LBB142_362:
	s_mov_b64 s[16:17], 0
.LBB142_363:
	s_andn2_b64 vcc, exec, s[16:17]
	s_cbranch_vccnz .LBB142_365
; %bb.364:
	v_mov_b32_e32 v0, s3
	global_store_byte v[10:11], v0, off
.LBB142_365:
	s_mov_b64 s[16:17], -1
.LBB142_366:
	s_mov_b64 s[18:19], 0
.LBB142_367:
	s_and_b64 vcc, exec, s[18:19]
	s_cbranch_vccz .LBB142_450
; %bb.368:
	s_cmp_gt_i32 s20, 22
	s_mov_b64 s[18:19], -1
	s_cbranch_scc0 .LBB142_433
; %bb.369:
	s_cmp_lt_i32 s20, 24
	s_mov_b64 s[16:17], -1
	s_cbranch_scc1 .LBB142_411
; %bb.370:
	s_cmp_gt_i32 s20, 24
	s_cbranch_scc0 .LBB142_389
; %bb.371:
	s_cmpk_lt_i32 s31, 0x80
	s_cbranch_scc1 .LBB142_375
; %bb.372:
	s_and_b32 s16, 0xffff, s31
	s_cmpk_eq_i32 s16, 0x80
	s_mov_b64 s[16:17], -1
	s_cbranch_scc0 .LBB142_374
; %bb.373:
	s_mov_b64 s[16:17], 0
.LBB142_374:
	s_mov_b64 s[18:19], 0
	s_branch .LBB142_376
.LBB142_375:
	s_mov_b64 s[16:17], 0
.LBB142_376:
	s_mov_b32 s21, 0x7f800001
	s_and_b64 vcc, exec, s[18:19]
	s_cbranch_vccz .LBB142_379
; %bb.377:
	s_and_b32 s16, 0xffff, s31
	s_cmp_lg_u32 s16, 0
	s_mov_b32 s21, 0
	s_cselect_b64 s[16:17], -1, 0
	s_andn2_b64 vcc, exec, s[16:17]
	s_cbranch_vccz .LBB142_380
.LBB142_378:
	s_and_b32 s16, s21, 0x7fffffff
	s_cmp_gt_u32 s16, 0x477fffff
	v_mov_b32_e32 v1, 0x80
	s_cbranch_scc0 .LBB142_381
	s_branch .LBB142_388
.LBB142_379:
	s_andn2_b64 vcc, exec, s[16:17]
	s_cbranch_vccnz .LBB142_378
.LBB142_380:
	s_mov_b32 s21, s33
	s_and_b32 s16, s21, 0x7fffffff
	s_cmp_gt_u32 s16, 0x477fffff
	v_mov_b32_e32 v1, 0x80
	s_cbranch_scc1 .LBB142_388
.LBB142_381:
	s_cmp_lt_u32 s16, 0x38000000
	s_cbranch_scc1 .LBB142_383
; %bb.382:
	s_bfe_u32 s16, s21, 0x10015
	s_add_i32 s16, s21, s16
	s_add_i32 s16, s16, 0x88fffff
	s_lshr_b32 s22, s16, 21
	s_mov_b64 s[18:19], 0
	s_mov_b64 s[16:17], -1
	s_branch .LBB142_384
.LBB142_383:
	s_mov_b64 s[18:19], -1
	s_mov_b64 s[16:17], 0
                                        ; implicit-def: $sgpr22
.LBB142_384:
	s_andn2_b64 vcc, exec, s[18:19]
	v_mov_b32_e32 v0, s22
	s_cbranch_vccnz .LBB142_386
; %bb.385:
	v_mov_b32_e32 v0, 0x42800000
	v_add_f32_e64 v0, |s21|, v0
	v_and_b32_e32 v0, 0xff, v0
	v_cmp_ne_u32_e64 s[16:17], 0, v0
.LBB142_386:
	s_andn2_b64 vcc, exec, s[16:17]
	v_mov_b32_e32 v1, 0
	s_cbranch_vccnz .LBB142_388
; %bb.387:
	s_lshr_b32 s16, s21, 24
	s_and_b32 s16, s16, 0x80
	v_or_b32_e32 v1, s16, v0
.LBB142_388:
	global_store_byte v[10:11], v1, off
	s_mov_b64 s[16:17], 0
.LBB142_389:
	s_and_b64 vcc, exec, s[16:17]
	s_cbranch_vccz .LBB142_410
; %bb.390:
	s_cmpk_lt_i32 s31, 0x80
	s_cbranch_scc1 .LBB142_394
; %bb.391:
	s_and_b32 s16, 0xffff, s31
	s_cmpk_eq_i32 s16, 0x80
	s_mov_b64 s[16:17], -1
	s_cbranch_scc0 .LBB142_393
; %bb.392:
	s_mov_b64 s[16:17], 0
.LBB142_393:
	s_mov_b64 s[18:19], 0
	s_branch .LBB142_395
.LBB142_394:
	s_mov_b64 s[18:19], -1
	s_mov_b64 s[16:17], 0
.LBB142_395:
	s_mov_b32 s21, 0x7f800001
	s_and_b64 vcc, exec, s[18:19]
	s_cbranch_vccz .LBB142_400
; %bb.396:
	s_and_b32 s16, 0xffff, s31
	s_cmp_lg_u32 s16, 0
	s_mov_b32 s21, 0
	s_cselect_b64 s[16:17], -1, 0
	s_andn2_b64 vcc, exec, s[16:17]
	s_cbranch_vccz .LBB142_401
.LBB142_397:
	s_and_b32 s18, s21, 0x7fffffff
	s_cmp_gt_u32 s18, 0x43efffff
	s_cbranch_scc1 .LBB142_402
.LBB142_398:
	s_cmp_lt_u32 s18, 0x3c800000
	s_cbranch_scc1 .LBB142_403
; %bb.399:
	s_bfe_u32 s16, s21, 0x10014
	s_add_i32 s16, s21, s16
	s_add_i32 s16, s16, 0x407ffff
	s_lshr_b32 s17, s16, 20
	s_and_b32 s16, s16, 0xff00000
	s_cmp_lg_u32 s16, 0x7f00000
	s_cselect_b32 s19, s17, 0x7e
	s_mov_b64 s[16:17], 0
	s_branch .LBB142_404
.LBB142_400:
	s_andn2_b64 vcc, exec, s[16:17]
	s_cbranch_vccnz .LBB142_397
.LBB142_401:
	s_mov_b32 s21, s33
	s_and_b32 s18, s21, 0x7fffffff
	s_cmp_gt_u32 s18, 0x43efffff
	s_cbranch_scc0 .LBB142_398
.LBB142_402:
	s_mov_b64 s[16:17], -1
                                        ; implicit-def: $vgpr0
	s_branch .LBB142_407
.LBB142_403:
	s_mov_b64 s[16:17], -1
                                        ; implicit-def: $sgpr19
.LBB142_404:
	s_andn2_b64 vcc, exec, s[16:17]
	v_mov_b32_e32 v0, s19
	s_cbranch_vccnz .LBB142_406
; %bb.405:
	v_mov_b32_e32 v0, 0x46800000
	v_add_f32_e64 v0, |s21|, v0
.LBB142_406:
	s_mov_b64 s[16:17], 0
.LBB142_407:
	s_andn2_b64 vcc, exec, s[16:17]
	s_cbranch_vccnz .LBB142_409
; %bb.408:
	s_cmp_gt_u32 s18, 0x7f800000
	s_movk_i32 s16, 0x7f
	s_cselect_b32 s16, s16, 0x7e
	v_mov_b32_e32 v0, s16
.LBB142_409:
	s_lshr_b32 s16, s21, 24
	s_and_b32 s16, s16, 0x80
	v_or_b32_e32 v0, s16, v0
	global_store_byte v[10:11], v0, off
.LBB142_410:
	s_mov_b64 s[16:17], 0
.LBB142_411:
	s_andn2_b64 vcc, exec, s[16:17]
	s_cbranch_vccnz .LBB142_432
; %bb.412:
	s_cmpk_lt_i32 s31, 0x80
	s_cbranch_scc1 .LBB142_416
; %bb.413:
	s_and_b32 s16, 0xffff, s31
	s_cmpk_eq_i32 s16, 0x80
	s_mov_b64 s[16:17], -1
	s_cbranch_scc0 .LBB142_415
; %bb.414:
	s_mov_b64 s[16:17], 0
.LBB142_415:
	s_mov_b64 s[18:19], 0
	s_branch .LBB142_417
.LBB142_416:
	s_mov_b64 s[18:19], -1
	s_mov_b64 s[16:17], 0
.LBB142_417:
	s_mov_b32 s21, 0x7f800001
	s_and_b64 vcc, exec, s[18:19]
	s_cbranch_vccz .LBB142_422
; %bb.418:
	s_and_b32 s16, 0xffff, s31
	s_cmp_lg_u32 s16, 0
	s_mov_b32 s21, 0
	s_cselect_b64 s[16:17], -1, 0
	s_andn2_b64 vcc, exec, s[16:17]
	s_cbranch_vccz .LBB142_423
.LBB142_419:
	s_and_b32 s18, s21, 0x7fffffff
	s_cmp_gt_u32 s18, 0x477fffff
	s_cbranch_scc1 .LBB142_424
.LBB142_420:
	s_cmp_lt_u32 s18, 0x38800000
	s_cbranch_scc1 .LBB142_425
; %bb.421:
	s_bfe_u32 s16, s21, 0x10015
	s_add_i32 s16, s21, s16
	s_add_i32 s16, s16, 0x80fffff
	s_lshr_b32 s19, s16, 21
	s_mov_b64 s[16:17], 0
	s_branch .LBB142_426
.LBB142_422:
	s_andn2_b64 vcc, exec, s[16:17]
	s_cbranch_vccnz .LBB142_419
.LBB142_423:
	s_mov_b32 s21, s33
	s_and_b32 s18, s21, 0x7fffffff
	s_cmp_gt_u32 s18, 0x477fffff
	s_cbranch_scc0 .LBB142_420
.LBB142_424:
	s_mov_b64 s[16:17], -1
                                        ; implicit-def: $vgpr0
	s_branch .LBB142_429
.LBB142_425:
	s_mov_b64 s[16:17], -1
                                        ; implicit-def: $sgpr19
.LBB142_426:
	s_andn2_b64 vcc, exec, s[16:17]
	v_mov_b32_e32 v0, s19
	s_cbranch_vccnz .LBB142_428
; %bb.427:
	v_mov_b32_e32 v0, 0x43000000
	v_add_f32_e64 v0, |s21|, v0
.LBB142_428:
	s_mov_b64 s[16:17], 0
.LBB142_429:
	s_andn2_b64 vcc, exec, s[16:17]
	s_cbranch_vccnz .LBB142_431
; %bb.430:
	s_cmp_gt_u32 s18, 0x7f800000
	s_movk_i32 s16, 0x7f
	s_cselect_b32 s16, s16, 0x7c
	v_mov_b32_e32 v0, s16
.LBB142_431:
	s_lshr_b32 s16, s21, 24
	s_and_b32 s16, s16, 0x80
	v_or_b32_e32 v0, s16, v0
	global_store_byte v[10:11], v0, off
.LBB142_432:
	s_mov_b64 s[18:19], 0
	s_mov_b64 s[16:17], -1
.LBB142_433:
	s_andn2_b64 vcc, exec, s[18:19]
	s_cbranch_vccnz .LBB142_450
; %bb.434:
	s_cmp_gt_i32 s20, 14
	s_mov_b64 s[18:19], -1
	s_cbranch_scc0 .LBB142_447
; %bb.435:
	s_cmp_eq_u32 s20, 15
	s_mov_b64 s[12:13], -1
	s_cbranch_scc0 .LBB142_446
; %bb.436:
	s_cmpk_lt_i32 s31, 0x80
	s_cbranch_scc1 .LBB142_440
; %bb.437:
	s_and_b32 s12, 0xffff, s31
	s_cmpk_eq_i32 s12, 0x80
	s_mov_b64 s[12:13], -1
	s_cbranch_scc0 .LBB142_439
; %bb.438:
	s_mov_b64 s[12:13], 0
.LBB142_439:
	s_mov_b64 s[16:17], 0
	s_branch .LBB142_441
.LBB142_440:
	s_mov_b64 s[16:17], -1
	s_mov_b64 s[12:13], 0
.LBB142_441:
	s_mov_b32 s18, 0x7f800001
	s_and_b64 vcc, exec, s[16:17]
	s_cbranch_vccz .LBB142_443
; %bb.442:
	s_and_b32 s12, 0xffff, s31
	s_cmp_lg_u32 s12, 0
	s_mov_b32 s18, 0
	s_cselect_b64 s[12:13], -1, 0
.LBB142_443:
	s_andn2_b64 vcc, exec, s[12:13]
	s_cbranch_vccnz .LBB142_445
; %bb.444:
	s_mov_b32 s18, s33
.LBB142_445:
	s_bfe_u32 s12, s18, 0x10010
	s_add_i32 s12, s18, s12
	s_addk_i32 s12, 0x7fff
	s_lshr_b32 s16, s12, 16
	v_cmp_o_f32_e64 s[12:13], s18, s18
	s_and_b64 s[12:13], s[12:13], exec
	s_cselect_b32 s12, s16, 0x7fc0
	v_mov_b32_e32 v0, s12
	global_store_short v[10:11], v0, off
	s_mov_b64 s[16:17], -1
	s_mov_b64 s[12:13], 0
.LBB142_446:
	s_mov_b64 s[18:19], 0
.LBB142_447:
	s_and_b64 vcc, exec, s[18:19]
	s_cbranch_vccz .LBB142_450
; %bb.448:
	s_cmp_eq_u32 s20, 11
	s_mov_b64 s[12:13], -1
	s_cbranch_scc0 .LBB142_450
; %bb.449:
	global_store_byte v[10:11], v14, off
	s_mov_b64 s[16:17], -1
	s_mov_b64 s[12:13], 0
.LBB142_450:
	s_branch .LBB142_304
.LBB142_451:
	s_cmp_lt_i32 s20, 5
	s_mov_b64 s[16:17], -1
	s_cbranch_scc1 .LBB142_528
; %bb.452:
	s_cmp_lt_i32 s20, 8
	s_cbranch_scc1 .LBB142_490
; %bb.453:
	s_cmp_lt_i32 s20, 9
	s_cbranch_scc1 .LBB142_478
; %bb.454:
	s_cmp_gt_i32 s20, 9
	s_cbranch_scc0 .LBB142_466
; %bb.455:
	s_cmpk_lt_i32 s31, 0x80
	s_cbranch_scc1 .LBB142_459
; %bb.456:
	s_and_b32 s16, 0xffff, s31
	s_cmpk_eq_i32 s16, 0x80
	s_mov_b64 s[16:17], -1
	s_cbranch_scc0 .LBB142_458
; %bb.457:
	s_mov_b64 s[16:17], 0
.LBB142_458:
	s_mov_b64 s[18:19], 0
	s_branch .LBB142_460
.LBB142_459:
	s_mov_b64 s[18:19], -1
	s_mov_b64 s[16:17], 0
.LBB142_460:
	s_and_b64 vcc, exec, s[18:19]
	s_cbranch_vccz .LBB142_462
; %bb.461:
	s_and_b32 s16, 0xffff, s31
	s_cmp_lg_u32 s16, 0
	s_mov_b64 s[18:19], 0
	s_cselect_b64 s[16:17], -1, 0
	s_branch .LBB142_463
.LBB142_462:
	s_mov_b32 s19, 0x7ff80000
	s_brev_b32 s18, 4
.LBB142_463:
	v_mov_b32_e32 v0, s18
	s_andn2_b64 vcc, exec, s[16:17]
	v_mov_b32_e32 v1, s19
	s_cbranch_vccnz .LBB142_465
; %bb.464:
	v_mov_b32_e32 v0, v6
	v_mov_b32_e32 v1, v7
.LBB142_465:
	v_mov_b32_e32 v2, 0
	v_mov_b32_e32 v3, v2
	global_store_dwordx4 v[10:11], v[0:3], off
	s_mov_b64 s[16:17], 0
.LBB142_466:
	s_and_b64 vcc, exec, s[16:17]
	s_cbranch_vccz .LBB142_477
; %bb.467:
	s_cmpk_lt_i32 s31, 0x80
	s_cbranch_scc1 .LBB142_471
; %bb.468:
	s_and_b32 s16, 0xffff, s31
	s_cmpk_eq_i32 s16, 0x80
	s_mov_b64 s[16:17], -1
	s_cbranch_scc0 .LBB142_470
; %bb.469:
	s_mov_b64 s[16:17], 0
.LBB142_470:
	s_mov_b64 s[18:19], 0
	s_branch .LBB142_472
.LBB142_471:
	s_mov_b64 s[18:19], -1
	s_mov_b64 s[16:17], 0
.LBB142_472:
	s_mov_b32 s21, 0x7f800001
	s_and_b64 vcc, exec, s[18:19]
	s_cbranch_vccz .LBB142_474
; %bb.473:
	s_and_b32 s21, 0xffff, s31
	s_cmp_lg_u32 s21, 0
	s_cselect_b64 s[16:17], -1, 0
.LBB142_474:
	s_andn2_b64 vcc, exec, s[16:17]
	s_cbranch_vccnz .LBB142_476
; %bb.475:
	s_mov_b32 s21, s33
.LBB142_476:
	v_mov_b32_e32 v0, s21
	v_mov_b32_e32 v1, 0
	global_store_dwordx2 v[10:11], v[0:1], off
.LBB142_477:
	s_mov_b64 s[16:17], 0
.LBB142_478:
	s_andn2_b64 vcc, exec, s[16:17]
	s_cbranch_vccnz .LBB142_489
; %bb.479:
	s_cmpk_lt_i32 s31, 0x80
	s_cbranch_scc1 .LBB142_483
; %bb.480:
	s_and_b32 s16, 0xffff, s31
	s_cmpk_eq_i32 s16, 0x80
	s_mov_b64 s[16:17], -1
	s_cbranch_scc0 .LBB142_482
; %bb.481:
	s_mov_b64 s[16:17], 0
.LBB142_482:
	s_mov_b64 s[18:19], 0
	s_branch .LBB142_484
.LBB142_483:
	s_mov_b64 s[18:19], -1
	s_mov_b64 s[16:17], 0
.LBB142_484:
	s_movk_i32 s21, 0x7e00
	s_and_b64 vcc, exec, s[18:19]
	s_cbranch_vccz .LBB142_486
; %bb.485:
	s_and_b32 s21, 0xffff, s31
	s_cmp_lg_u32 s21, 0
	s_cselect_b64 s[16:17], -1, 0
.LBB142_486:
	s_andn2_b64 vcc, exec, s[16:17]
	v_mov_b32_e32 v0, s21
	s_cbranch_vccnz .LBB142_488
; %bb.487:
	v_mov_b32_e32 v0, v13
.LBB142_488:
	global_store_dword v[10:11], v0, off
.LBB142_489:
	s_mov_b64 s[16:17], 0
.LBB142_490:
	s_andn2_b64 vcc, exec, s[16:17]
	s_cbranch_vccnz .LBB142_527
; %bb.491:
	s_cmp_lt_i32 s20, 6
	s_mov_b64 s[16:17], -1
	s_cbranch_scc1 .LBB142_516
; %bb.492:
	s_cmp_gt_i32 s20, 6
	s_cbranch_scc0 .LBB142_504
; %bb.493:
	s_cmpk_lt_i32 s31, 0x80
	s_cbranch_scc1 .LBB142_497
; %bb.494:
	s_and_b32 s16, 0xffff, s31
	s_cmpk_eq_i32 s16, 0x80
	s_mov_b64 s[16:17], -1
	s_cbranch_scc0 .LBB142_496
; %bb.495:
	s_mov_b64 s[16:17], 0
.LBB142_496:
	s_mov_b64 s[18:19], 0
	s_branch .LBB142_498
.LBB142_497:
	s_mov_b64 s[18:19], -1
	s_mov_b64 s[16:17], 0
.LBB142_498:
	s_and_b64 vcc, exec, s[18:19]
	s_cbranch_vccz .LBB142_500
; %bb.499:
	s_and_b32 s16, 0xffff, s31
	s_cmp_lg_u32 s16, 0
	s_mov_b64 s[18:19], 0
	s_cselect_b64 s[16:17], -1, 0
	s_branch .LBB142_501
.LBB142_500:
	s_mov_b32 s19, 0x7ff80000
	s_brev_b32 s18, 4
.LBB142_501:
	v_mov_b32_e32 v0, s18
	s_andn2_b64 vcc, exec, s[16:17]
	v_mov_b32_e32 v1, s19
	s_cbranch_vccnz .LBB142_503
; %bb.502:
	v_mov_b32_e32 v0, v6
	v_mov_b32_e32 v1, v7
.LBB142_503:
	global_store_dwordx2 v[10:11], v[0:1], off
	s_mov_b64 s[16:17], 0
.LBB142_504:
	s_and_b64 vcc, exec, s[16:17]
	s_cbranch_vccz .LBB142_515
; %bb.505:
	s_cmpk_lt_i32 s31, 0x80
	s_cbranch_scc1 .LBB142_509
; %bb.506:
	s_and_b32 s16, 0xffff, s31
	s_cmpk_eq_i32 s16, 0x80
	s_mov_b64 s[16:17], -1
	s_cbranch_scc0 .LBB142_508
; %bb.507:
	s_mov_b64 s[16:17], 0
.LBB142_508:
	s_mov_b64 s[18:19], 0
	s_branch .LBB142_510
.LBB142_509:
	s_mov_b64 s[18:19], -1
	s_mov_b64 s[16:17], 0
.LBB142_510:
	s_mov_b32 s21, 0x7f800001
	s_and_b64 vcc, exec, s[18:19]
	s_cbranch_vccz .LBB142_512
; %bb.511:
	s_and_b32 s16, 0xffff, s31
	s_cmp_lg_u32 s16, 0
	s_mov_b32 s21, 0
	s_cselect_b64 s[16:17], -1, 0
.LBB142_512:
	s_andn2_b64 vcc, exec, s[16:17]
	s_cbranch_vccnz .LBB142_514
; %bb.513:
	s_mov_b32 s21, s33
.LBB142_514:
	v_mov_b32_e32 v0, s21
	global_store_dword v[10:11], v0, off
.LBB142_515:
	s_mov_b64 s[16:17], 0
.LBB142_516:
	s_andn2_b64 vcc, exec, s[16:17]
	s_cbranch_vccnz .LBB142_527
; %bb.517:
	s_cmpk_lt_i32 s31, 0x80
	s_cbranch_scc1 .LBB142_521
; %bb.518:
	s_and_b32 s16, 0xffff, s31
	s_cmpk_eq_i32 s16, 0x80
	s_mov_b64 s[16:17], -1
	s_cbranch_scc0 .LBB142_520
; %bb.519:
	s_mov_b64 s[16:17], 0
.LBB142_520:
	s_mov_b64 s[18:19], 0
	s_branch .LBB142_522
.LBB142_521:
	s_mov_b64 s[18:19], -1
	s_mov_b64 s[16:17], 0
.LBB142_522:
	s_movk_i32 s21, 0x7e00
	s_and_b64 vcc, exec, s[18:19]
	s_cbranch_vccz .LBB142_524
; %bb.523:
	s_and_b32 s16, 0xffff, s31
	s_cmp_lg_u32 s16, 0
	s_cselect_b64 s[16:17], -1, 0
	s_mov_b32 s21, s31
.LBB142_524:
	s_andn2_b64 vcc, exec, s[16:17]
	v_mov_b32_e32 v0, s21
	s_cbranch_vccnz .LBB142_526
; %bb.525:
	v_mov_b32_e32 v0, v13
.LBB142_526:
	global_store_short v[10:11], v0, off
.LBB142_527:
	s_mov_b64 s[16:17], 0
.LBB142_528:
	s_andn2_b64 vcc, exec, s[16:17]
	s_cbranch_vccnz .LBB142_579
; %bb.529:
	s_cmp_lt_i32 s20, 2
	s_mov_b64 s[16:17], -1
	s_cbranch_scc1 .LBB142_560
; %bb.530:
	s_cmp_lt_i32 s20, 3
	s_cbranch_scc1 .LBB142_550
; %bb.531:
	s_cmp_gt_i32 s20, 3
	s_cbranch_scc0 .LBB142_540
; %bb.532:
	s_cmpk_lt_i32 s31, 0x80
	s_cbranch_scc1 .LBB142_534
; %bb.533:
	s_and_b32 s16, 0xffff, s31
	s_cmpk_lg_i32 s16, 0x80
	s_mov_b64 s[18:19], 0
	s_cselect_b64 s[16:17], -1, 0
	s_branch .LBB142_535
.LBB142_534:
	s_mov_b64 s[18:19], -1
	s_mov_b64 s[16:17], 0
.LBB142_535:
	s_andn2_b64 vcc, exec, s[18:19]
	s_cbranch_vccnz .LBB142_537
; %bb.536:
	s_and_b32 s16, 0xffff, s31
	s_cmp_lg_u32 s16, 0
	s_cselect_b64 s[16:17], -1, 0
.LBB142_537:
	v_mov_b32_e32 v0, 0
	s_andn2_b64 vcc, exec, s[16:17]
	v_mov_b32_e32 v1, 0
	s_cbranch_vccnz .LBB142_539
; %bb.538:
	v_mov_b32_e32 v0, v4
	v_mov_b32_e32 v1, v5
.LBB142_539:
	global_store_dwordx2 v[10:11], v[0:1], off
	s_mov_b64 s[16:17], 0
.LBB142_540:
	s_and_b64 vcc, exec, s[16:17]
	s_cbranch_vccz .LBB142_549
; %bb.541:
	s_cmpk_lt_i32 s31, 0x80
	s_cbranch_scc1 .LBB142_543
; %bb.542:
	s_and_b32 s16, 0xffff, s31
	s_cmpk_lg_i32 s16, 0x80
	s_mov_b64 s[18:19], 0
	s_cselect_b64 s[16:17], -1, 0
	s_branch .LBB142_544
.LBB142_543:
	s_mov_b64 s[18:19], -1
	s_mov_b64 s[16:17], 0
.LBB142_544:
	s_andn2_b64 vcc, exec, s[18:19]
	s_cbranch_vccnz .LBB142_546
; %bb.545:
	s_and_b32 s16, 0xffff, s31
	s_cmp_lg_u32 s16, 0
	s_cselect_b64 s[16:17], -1, 0
.LBB142_546:
	s_andn2_b64 vcc, exec, s[16:17]
	v_mov_b32_e32 v0, 0
	s_cbranch_vccnz .LBB142_548
; %bb.547:
	v_mov_b32_e32 v0, v12
.LBB142_548:
	global_store_dword v[10:11], v0, off
.LBB142_549:
	s_mov_b64 s[16:17], 0
.LBB142_550:
	s_andn2_b64 vcc, exec, s[16:17]
	s_cbranch_vccnz .LBB142_559
; %bb.551:
	s_cmpk_lt_i32 s31, 0x80
	s_cbranch_scc1 .LBB142_553
; %bb.552:
	s_and_b32 s16, 0xffff, s31
	s_cmpk_lg_i32 s16, 0x80
	s_mov_b64 s[18:19], 0
	s_cselect_b64 s[16:17], -1, 0
	s_branch .LBB142_554
.LBB142_553:
	s_mov_b64 s[18:19], -1
	s_mov_b64 s[16:17], 0
.LBB142_554:
	s_andn2_b64 vcc, exec, s[18:19]
	s_cbranch_vccnz .LBB142_556
; %bb.555:
	s_and_b32 s16, 0xffff, s31
	s_cmp_lg_u32 s16, 0
	s_cselect_b64 s[16:17], -1, 0
.LBB142_556:
	s_andn2_b64 vcc, exec, s[16:17]
	v_mov_b32_e32 v0, 0
	s_cbranch_vccnz .LBB142_558
; %bb.557:
	v_mov_b32_e32 v0, v12
.LBB142_558:
	global_store_short v[10:11], v0, off
.LBB142_559:
	s_mov_b64 s[16:17], 0
.LBB142_560:
	s_andn2_b64 vcc, exec, s[16:17]
	s_cbranch_vccnz .LBB142_579
; %bb.561:
	s_cmp_gt_i32 s20, 0
	s_mov_b64 s[16:17], -1
	s_cbranch_scc0 .LBB142_570
; %bb.562:
	s_cmpk_lt_i32 s31, 0x80
	s_cbranch_scc1 .LBB142_564
; %bb.563:
	s_and_b32 s16, 0xffff, s31
	s_cmpk_lg_i32 s16, 0x80
	s_mov_b64 s[18:19], 0
	s_cselect_b64 s[16:17], -1, 0
	s_branch .LBB142_565
.LBB142_564:
	s_mov_b64 s[18:19], -1
	s_mov_b64 s[16:17], 0
.LBB142_565:
	s_andn2_b64 vcc, exec, s[18:19]
	s_cbranch_vccnz .LBB142_567
; %bb.566:
	s_and_b32 s16, 0xffff, s31
	s_cmp_lg_u32 s16, 0
	s_cselect_b64 s[16:17], -1, 0
.LBB142_567:
	s_andn2_b64 vcc, exec, s[16:17]
	v_mov_b32_e32 v0, 0
	s_cbranch_vccnz .LBB142_569
; %bb.568:
	v_mov_b32_e32 v0, v12
.LBB142_569:
	global_store_byte v[10:11], v0, off
	s_mov_b64 s[16:17], 0
.LBB142_570:
	s_and_b64 vcc, exec, s[16:17]
	s_cbranch_vccz .LBB142_579
; %bb.571:
	s_cmpk_lt_i32 s31, 0x80
	s_cbranch_scc1 .LBB142_573
; %bb.572:
	s_and_b32 s16, 0xffff, s31
	s_cmpk_lg_i32 s16, 0x80
	s_mov_b64 s[18:19], 0
	s_cselect_b64 s[16:17], -1, 0
	s_branch .LBB142_574
.LBB142_573:
	s_mov_b64 s[18:19], -1
	s_mov_b64 s[16:17], 0
.LBB142_574:
	s_andn2_b64 vcc, exec, s[18:19]
	s_cbranch_vccnz .LBB142_576
; %bb.575:
	s_and_b32 s16, 0xffff, s31
	s_cmp_lg_u32 s16, 0
	s_cselect_b64 s[16:17], -1, 0
.LBB142_576:
	s_andn2_b64 vcc, exec, s[16:17]
	v_mov_b32_e32 v0, 0
	s_cbranch_vccnz .LBB142_578
; %bb.577:
	v_mov_b32_e32 v0, v4
.LBB142_578:
	global_store_byte v[10:11], v0, off
.LBB142_579:
	s_branch .LBB142_305
.LBB142_580:
	s_mov_b64 s[16:17], 0
                                        ; implicit-def: $vgpr16
.LBB142_581:
	s_andn2_b64 s[18:19], s[4:5], exec
	s_and_b64 s[12:13], s[12:13], exec
	s_or_b64 s[12:13], s[18:19], s[12:13]
	s_orn2_b64 s[18:19], s[16:17], exec
.LBB142_582:
	s_or_b64 exec, exec, s[14:15]
	s_mov_b64 s[20:21], 0
	s_mov_b64 s[16:17], 0
                                        ; implicit-def: $vgpr10_vgpr11
	s_and_saveexec_b64 s[14:15], s[18:19]
	s_cbranch_execz .LBB142_1027
; %bb.583:
	v_cmp_gt_i32_e32 vcc, s24, v16
	s_mov_b64 s[22:23], -1
	s_mov_b64 s[18:19], s[12:13]
	s_and_saveexec_b64 s[16:17], vcc
	s_cbranch_execz .LBB142_873
; %bb.584:
	v_mul_lo_u32 v0, v16, s2
	v_mov_b32_e32 v1, s1
	s_and_b32 s25, 0xffff, s30
	s_cmp_lt_i32 s25, 11
	v_ashrrev_i32_e32 v2, 31, v0
	v_add_co_u32_e32 v10, vcc, s0, v0
	v_addc_co_u32_e32 v11, vcc, v1, v2, vcc
	s_cbranch_scc1 .LBB142_593
; %bb.585:
	s_cmp_gt_i32 s25, 25
	s_cbranch_scc0 .LBB142_594
; %bb.586:
	s_cmp_gt_i32 s25, 28
	s_cbranch_scc0 .LBB142_595
	;; [unrolled: 3-line block ×4, first 2 shown]
; %bb.589:
	s_mov_b64 s[22:23], 0
	s_mov_b64 s[18:19], -1
	s_cmp_eq_u32 s25, 46
	s_cbranch_scc0 .LBB142_604
; %bb.590:
	s_cmpk_lt_i32 s31, 0x80
	s_cbranch_scc1 .LBB142_600
; %bb.591:
	s_and_b32 s18, 0xffff, s31
	s_cmpk_eq_i32 s18, 0x80
	s_mov_b64 s[18:19], -1
	s_cbranch_scc0 .LBB142_598
; %bb.592:
	s_mov_b64 s[18:19], 0
	s_mov_b32 s26, 0x7f800001
	s_and_b64 vcc, exec, s[20:21]
	s_cbranch_vccz .LBB142_601
	s_branch .LBB142_599
.LBB142_593:
	s_mov_b64 s[18:19], s[12:13]
	s_branch .LBB142_739
.LBB142_594:
	s_mov_b64 s[18:19], s[12:13]
	s_branch .LBB142_655
.LBB142_595:
	s_mov_b64 s[18:19], s[12:13]
	s_branch .LBB142_630
.LBB142_596:
	s_mov_b64 s[18:19], s[12:13]
	s_branch .LBB142_617
.LBB142_597:
	s_mov_b64 s[18:19], s[12:13]
	s_branch .LBB142_604
.LBB142_598:
	s_mov_b32 s26, 0x7f800001
	s_and_b64 vcc, exec, s[20:21]
	s_cbranch_vccz .LBB142_601
.LBB142_599:
	s_and_b32 s18, 0xffff, s31
	s_cmp_lg_u32 s18, 0
	s_mov_b32 s26, 0
	s_cselect_b64 s[18:19], -1, 0
	s_andn2_b64 vcc, exec, s[18:19]
	s_cbranch_vccz .LBB142_602
	s_branch .LBB142_603
.LBB142_600:
	s_mov_b64 s[18:19], 0
	s_mov_b32 s26, 0x7f800001
	s_cbranch_execnz .LBB142_599
.LBB142_601:
	s_andn2_b64 vcc, exec, s[18:19]
	s_cbranch_vccnz .LBB142_603
.LBB142_602:
	s_mov_b32 s26, s33
.LBB142_603:
	s_bfe_u32 s18, s26, 0x10010
	s_add_i32 s18, s26, s18
	s_addk_i32 s18, 0x7fff
	s_lshr_b32 s20, s18, 16
	v_cmp_o_f32_e64 s[18:19], s26, s26
	s_and_b64 s[18:19], s[18:19], exec
	s_cselect_b32 s18, s20, 0x7fc0
	v_mov_b32_e32 v0, s18
	global_store_dword v[10:11], v0, off
	s_mov_b64 s[20:21], -1
	s_mov_b64 s[18:19], 0
.LBB142_604:
	s_and_b64 vcc, exec, s[22:23]
	s_cbranch_vccz .LBB142_616
; %bb.605:
	s_cmp_eq_u32 s25, 44
	s_mov_b64 s[18:19], -1
	s_cbranch_scc0 .LBB142_616
; %bb.606:
	s_cmpk_lt_i32 s31, 0x80
	s_cbranch_scc1 .LBB142_610
; %bb.607:
	s_and_b32 s18, 0xffff, s31
	s_cmpk_eq_i32 s18, 0x80
	s_mov_b64 s[18:19], -1
	s_cbranch_scc0 .LBB142_609
; %bb.608:
	s_mov_b64 s[18:19], 0
.LBB142_609:
	s_mov_b64 s[20:21], 0
	s_branch .LBB142_611
.LBB142_610:
	s_mov_b64 s[20:21], -1
	s_mov_b64 s[18:19], 0
.LBB142_611:
	s_mov_b32 s22, 0x7f800001
	s_and_b64 vcc, exec, s[20:21]
	s_cbranch_vccz .LBB142_621
; %bb.612:
	s_and_b32 s22, 0xffff, s31
	s_cmp_lg_u32 s22, 0
	s_cselect_b64 s[18:19], -1, 0
	s_andn2_b64 vcc, exec, s[18:19]
	s_cbranch_vccz .LBB142_622
.LBB142_613:
	s_lshr_b32 s18, s22, 23
	s_cmpk_eq_i32 s18, 0xff
	v_mov_b32_e32 v0, 0xff
	s_cbranch_scc1 .LBB142_615
.LBB142_614:
	s_bitcmp1_b32 s22, 22
	s_cselect_b64 s[20:21], -1, 0
	s_and_b32 s19, s22, 0x3fffff
	s_or_b32 s19, s18, s19
	s_cmp_lg_u32 s19, 0
	s_cselect_b64 s[22:23], -1, 0
	s_and_b64 s[20:21], s[20:21], s[22:23]
	v_cndmask_b32_e64 v0, 0, 1, s[20:21]
	v_add_u32_e32 v0, s18, v0
.LBB142_615:
	s_mov_b64 s[20:21], -1
	s_mov_b64 s[18:19], 0
	global_store_byte v[10:11], v0, off
.LBB142_616:
	s_mov_b64 s[22:23], 0
.LBB142_617:
	s_and_b64 vcc, exec, s[22:23]
	s_cbranch_vccz .LBB142_629
; %bb.618:
	s_cmp_eq_u32 s25, 29
	s_mov_b64 s[18:19], -1
	s_cbranch_scc0 .LBB142_629
; %bb.619:
	s_cmpk_lt_i32 s31, 0x80
	s_cbranch_scc1 .LBB142_623
; %bb.620:
	s_and_b32 s18, 0xffff, s31
	s_cmpk_lg_i32 s18, 0x80
	s_mov_b64 s[20:21], 0
	s_cselect_b64 s[18:19], -1, 0
	s_branch .LBB142_624
.LBB142_621:
	s_andn2_b64 vcc, exec, s[18:19]
	s_cbranch_vccnz .LBB142_613
.LBB142_622:
	s_mov_b32 s22, s34
	s_lshr_b32 s18, s22, 23
	s_cmpk_eq_i32 s18, 0xff
	v_mov_b32_e32 v0, 0xff
	s_cbranch_scc0 .LBB142_614
	s_branch .LBB142_615
.LBB142_623:
	s_mov_b64 s[20:21], -1
	s_mov_b64 s[18:19], 0
.LBB142_624:
	s_andn2_b64 vcc, exec, s[20:21]
	s_cbranch_vccnz .LBB142_626
; %bb.625:
	s_and_b32 s18, 0xffff, s31
	s_cmp_lg_u32 s18, 0
	s_cselect_b64 s[18:19], -1, 0
.LBB142_626:
	v_mov_b32_e32 v0, 0
	s_andn2_b64 vcc, exec, s[18:19]
	v_mov_b32_e32 v1, 0
	s_cbranch_vccnz .LBB142_628
; %bb.627:
	v_mov_b32_e32 v0, v8
	v_mov_b32_e32 v1, v9
.LBB142_628:
	global_store_dwordx2 v[10:11], v[0:1], off
	s_mov_b64 s[20:21], -1
	s_mov_b64 s[18:19], 0
.LBB142_629:
	s_mov_b64 s[22:23], 0
.LBB142_630:
	s_and_b64 vcc, exec, s[22:23]
	s_cbranch_vccz .LBB142_654
; %bb.631:
	s_cmp_lt_i32 s25, 27
	s_mov_b64 s[20:21], -1
	s_cbranch_scc1 .LBB142_651
; %bb.632:
	s_cmp_gt_i32 s25, 27
	s_cbranch_scc0 .LBB142_641
; %bb.633:
	s_cmpk_lt_i32 s31, 0x80
	s_cbranch_scc1 .LBB142_635
; %bb.634:
	s_and_b32 s20, 0xffff, s31
	s_cmpk_lg_i32 s20, 0x80
	s_mov_b64 s[22:23], 0
	s_cselect_b64 s[20:21], -1, 0
	s_branch .LBB142_636
.LBB142_635:
	s_mov_b64 s[22:23], -1
	s_mov_b64 s[20:21], 0
.LBB142_636:
	s_andn2_b64 vcc, exec, s[22:23]
	s_cbranch_vccnz .LBB142_638
; %bb.637:
	s_and_b32 s20, 0xffff, s31
	s_cmp_lg_u32 s20, 0
	s_cselect_b64 s[20:21], -1, 0
.LBB142_638:
	s_andn2_b64 vcc, exec, s[20:21]
	v_mov_b32_e32 v0, 0
	s_cbranch_vccnz .LBB142_640
; %bb.639:
	v_mov_b32_e32 v0, v15
.LBB142_640:
	global_store_dword v[10:11], v0, off
	s_mov_b64 s[20:21], 0
.LBB142_641:
	s_and_b64 vcc, exec, s[20:21]
	s_cbranch_vccz .LBB142_650
; %bb.642:
	s_cmpk_lt_i32 s31, 0x80
	s_cbranch_scc1 .LBB142_644
; %bb.643:
	s_and_b32 s20, 0xffff, s31
	s_cmpk_lg_i32 s20, 0x80
	s_mov_b64 s[22:23], 0
	s_cselect_b64 s[20:21], -1, 0
	s_branch .LBB142_645
.LBB142_644:
	s_mov_b64 s[22:23], -1
	s_mov_b64 s[20:21], 0
.LBB142_645:
	s_andn2_b64 vcc, exec, s[22:23]
	s_cbranch_vccnz .LBB142_647
; %bb.646:
	s_and_b32 s20, 0xffff, s31
	s_cmp_lg_u32 s20, 0
	s_cselect_b64 s[20:21], -1, 0
.LBB142_647:
	s_andn2_b64 vcc, exec, s[20:21]
	v_mov_b32_e32 v0, 0
	s_cbranch_vccnz .LBB142_649
; %bb.648:
	v_mov_b32_e32 v0, v15
.LBB142_649:
	global_store_short v[10:11], v0, off
.LBB142_650:
	s_mov_b64 s[20:21], 0
.LBB142_651:
	s_andn2_b64 vcc, exec, s[20:21]
	s_cbranch_vccnz .LBB142_653
; %bb.652:
	v_mov_b32_e32 v0, s3
	global_store_byte v[10:11], v0, off
.LBB142_653:
	s_mov_b64 s[20:21], -1
.LBB142_654:
	s_mov_b64 s[22:23], 0
.LBB142_655:
	s_and_b64 vcc, exec, s[22:23]
	s_cbranch_vccz .LBB142_738
; %bb.656:
	s_cmp_gt_i32 s25, 22
	s_mov_b64 s[22:23], -1
	s_cbranch_scc0 .LBB142_721
; %bb.657:
	s_cmp_lt_i32 s25, 24
	s_mov_b64 s[20:21], -1
	s_cbranch_scc1 .LBB142_699
; %bb.658:
	s_cmp_gt_i32 s25, 24
	s_cbranch_scc0 .LBB142_677
; %bb.659:
	s_cmpk_lt_i32 s31, 0x80
	s_cbranch_scc1 .LBB142_663
; %bb.660:
	s_and_b32 s20, 0xffff, s31
	s_cmpk_eq_i32 s20, 0x80
	s_mov_b64 s[20:21], -1
	s_cbranch_scc0 .LBB142_662
; %bb.661:
	s_mov_b64 s[20:21], 0
.LBB142_662:
	s_mov_b64 s[22:23], 0
	s_branch .LBB142_664
.LBB142_663:
	s_mov_b64 s[20:21], 0
.LBB142_664:
	s_mov_b32 s26, 0x7f800001
	s_and_b64 vcc, exec, s[22:23]
	s_cbranch_vccz .LBB142_667
; %bb.665:
	s_and_b32 s20, 0xffff, s31
	s_cmp_lg_u32 s20, 0
	s_mov_b32 s26, 0
	s_cselect_b64 s[20:21], -1, 0
	s_andn2_b64 vcc, exec, s[20:21]
	s_cbranch_vccz .LBB142_668
.LBB142_666:
	s_and_b32 s20, s26, 0x7fffffff
	s_cmp_gt_u32 s20, 0x477fffff
	v_mov_b32_e32 v1, 0x80
	s_cbranch_scc0 .LBB142_669
	s_branch .LBB142_676
.LBB142_667:
	s_andn2_b64 vcc, exec, s[20:21]
	s_cbranch_vccnz .LBB142_666
.LBB142_668:
	s_mov_b32 s26, s33
	s_and_b32 s20, s26, 0x7fffffff
	s_cmp_gt_u32 s20, 0x477fffff
	v_mov_b32_e32 v1, 0x80
	s_cbranch_scc1 .LBB142_676
.LBB142_669:
	s_cmp_lt_u32 s20, 0x38000000
	s_cbranch_scc1 .LBB142_671
; %bb.670:
	s_bfe_u32 s20, s26, 0x10015
	s_add_i32 s20, s26, s20
	s_add_i32 s20, s20, 0x88fffff
	s_lshr_b32 s27, s20, 21
	s_mov_b64 s[22:23], 0
	s_mov_b64 s[20:21], -1
	s_branch .LBB142_672
.LBB142_671:
	s_mov_b64 s[22:23], -1
	s_mov_b64 s[20:21], 0
                                        ; implicit-def: $sgpr27
.LBB142_672:
	s_andn2_b64 vcc, exec, s[22:23]
	v_mov_b32_e32 v0, s27
	s_cbranch_vccnz .LBB142_674
; %bb.673:
	v_mov_b32_e32 v0, 0x42800000
	v_add_f32_e64 v0, |s26|, v0
	v_and_b32_e32 v0, 0xff, v0
	v_cmp_ne_u32_e64 s[20:21], 0, v0
.LBB142_674:
	s_andn2_b64 vcc, exec, s[20:21]
	v_mov_b32_e32 v1, 0
	s_cbranch_vccnz .LBB142_676
; %bb.675:
	s_lshr_b32 s20, s26, 24
	s_and_b32 s20, s20, 0x80
	v_or_b32_e32 v1, s20, v0
.LBB142_676:
	global_store_byte v[10:11], v1, off
	s_mov_b64 s[20:21], 0
.LBB142_677:
	s_and_b64 vcc, exec, s[20:21]
	s_cbranch_vccz .LBB142_698
; %bb.678:
	s_cmpk_lt_i32 s31, 0x80
	s_cbranch_scc1 .LBB142_682
; %bb.679:
	s_and_b32 s20, 0xffff, s31
	s_cmpk_eq_i32 s20, 0x80
	s_mov_b64 s[20:21], -1
	s_cbranch_scc0 .LBB142_681
; %bb.680:
	s_mov_b64 s[20:21], 0
.LBB142_681:
	s_mov_b64 s[22:23], 0
	s_branch .LBB142_683
.LBB142_682:
	s_mov_b64 s[22:23], -1
	s_mov_b64 s[20:21], 0
.LBB142_683:
	s_mov_b32 s26, 0x7f800001
	s_and_b64 vcc, exec, s[22:23]
	s_cbranch_vccz .LBB142_688
; %bb.684:
	s_and_b32 s20, 0xffff, s31
	s_cmp_lg_u32 s20, 0
	s_mov_b32 s26, 0
	s_cselect_b64 s[20:21], -1, 0
	s_andn2_b64 vcc, exec, s[20:21]
	s_cbranch_vccz .LBB142_689
.LBB142_685:
	s_and_b32 s22, s26, 0x7fffffff
	s_cmp_gt_u32 s22, 0x43efffff
	s_cbranch_scc1 .LBB142_690
.LBB142_686:
	s_cmp_lt_u32 s22, 0x3c800000
	s_cbranch_scc1 .LBB142_691
; %bb.687:
	s_bfe_u32 s20, s26, 0x10014
	s_add_i32 s20, s26, s20
	s_add_i32 s20, s20, 0x407ffff
	s_lshr_b32 s21, s20, 20
	s_and_b32 s20, s20, 0xff00000
	s_cmp_lg_u32 s20, 0x7f00000
	s_cselect_b32 s23, s21, 0x7e
	s_mov_b64 s[20:21], 0
	s_branch .LBB142_692
.LBB142_688:
	s_andn2_b64 vcc, exec, s[20:21]
	s_cbranch_vccnz .LBB142_685
.LBB142_689:
	s_mov_b32 s26, s33
	s_and_b32 s22, s26, 0x7fffffff
	s_cmp_gt_u32 s22, 0x43efffff
	s_cbranch_scc0 .LBB142_686
.LBB142_690:
	s_mov_b64 s[20:21], -1
                                        ; implicit-def: $vgpr0
	s_branch .LBB142_695
.LBB142_691:
	s_mov_b64 s[20:21], -1
                                        ; implicit-def: $sgpr23
.LBB142_692:
	s_andn2_b64 vcc, exec, s[20:21]
	v_mov_b32_e32 v0, s23
	s_cbranch_vccnz .LBB142_694
; %bb.693:
	v_mov_b32_e32 v0, 0x46800000
	v_add_f32_e64 v0, |s26|, v0
.LBB142_694:
	s_mov_b64 s[20:21], 0
.LBB142_695:
	s_andn2_b64 vcc, exec, s[20:21]
	s_cbranch_vccnz .LBB142_697
; %bb.696:
	s_cmp_gt_u32 s22, 0x7f800000
	s_movk_i32 s20, 0x7f
	s_cselect_b32 s20, s20, 0x7e
	v_mov_b32_e32 v0, s20
.LBB142_697:
	s_lshr_b32 s20, s26, 24
	s_and_b32 s20, s20, 0x80
	v_or_b32_e32 v0, s20, v0
	global_store_byte v[10:11], v0, off
.LBB142_698:
	s_mov_b64 s[20:21], 0
.LBB142_699:
	s_andn2_b64 vcc, exec, s[20:21]
	s_cbranch_vccnz .LBB142_720
; %bb.700:
	s_cmpk_lt_i32 s31, 0x80
	s_cbranch_scc1 .LBB142_704
; %bb.701:
	s_and_b32 s20, 0xffff, s31
	s_cmpk_eq_i32 s20, 0x80
	s_mov_b64 s[20:21], -1
	s_cbranch_scc0 .LBB142_703
; %bb.702:
	s_mov_b64 s[20:21], 0
.LBB142_703:
	s_mov_b64 s[22:23], 0
	s_branch .LBB142_705
.LBB142_704:
	s_mov_b64 s[22:23], -1
	s_mov_b64 s[20:21], 0
.LBB142_705:
	s_mov_b32 s26, 0x7f800001
	s_and_b64 vcc, exec, s[22:23]
	s_cbranch_vccz .LBB142_710
; %bb.706:
	s_and_b32 s20, 0xffff, s31
	s_cmp_lg_u32 s20, 0
	s_mov_b32 s26, 0
	s_cselect_b64 s[20:21], -1, 0
	s_andn2_b64 vcc, exec, s[20:21]
	s_cbranch_vccz .LBB142_711
.LBB142_707:
	s_and_b32 s22, s26, 0x7fffffff
	s_cmp_gt_u32 s22, 0x477fffff
	s_cbranch_scc1 .LBB142_712
.LBB142_708:
	s_cmp_lt_u32 s22, 0x38800000
	s_cbranch_scc1 .LBB142_713
; %bb.709:
	s_bfe_u32 s20, s26, 0x10015
	s_add_i32 s20, s26, s20
	s_add_i32 s20, s20, 0x80fffff
	s_lshr_b32 s23, s20, 21
	s_mov_b64 s[20:21], 0
	s_branch .LBB142_714
.LBB142_710:
	s_andn2_b64 vcc, exec, s[20:21]
	s_cbranch_vccnz .LBB142_707
.LBB142_711:
	s_mov_b32 s26, s33
	s_and_b32 s22, s26, 0x7fffffff
	s_cmp_gt_u32 s22, 0x477fffff
	s_cbranch_scc0 .LBB142_708
.LBB142_712:
	s_mov_b64 s[20:21], -1
                                        ; implicit-def: $vgpr0
	s_branch .LBB142_717
.LBB142_713:
	s_mov_b64 s[20:21], -1
                                        ; implicit-def: $sgpr23
.LBB142_714:
	s_andn2_b64 vcc, exec, s[20:21]
	v_mov_b32_e32 v0, s23
	s_cbranch_vccnz .LBB142_716
; %bb.715:
	v_mov_b32_e32 v0, 0x43000000
	v_add_f32_e64 v0, |s26|, v0
.LBB142_716:
	s_mov_b64 s[20:21], 0
.LBB142_717:
	s_andn2_b64 vcc, exec, s[20:21]
	s_cbranch_vccnz .LBB142_719
; %bb.718:
	s_cmp_gt_u32 s22, 0x7f800000
	s_movk_i32 s20, 0x7f
	s_cselect_b32 s20, s20, 0x7c
	v_mov_b32_e32 v0, s20
.LBB142_719:
	s_lshr_b32 s20, s26, 24
	s_and_b32 s20, s20, 0x80
	v_or_b32_e32 v0, s20, v0
	global_store_byte v[10:11], v0, off
.LBB142_720:
	s_mov_b64 s[22:23], 0
	s_mov_b64 s[20:21], -1
.LBB142_721:
	s_andn2_b64 vcc, exec, s[22:23]
	s_cbranch_vccnz .LBB142_738
; %bb.722:
	s_cmp_gt_i32 s25, 14
	s_mov_b64 s[22:23], -1
	s_cbranch_scc0 .LBB142_735
; %bb.723:
	s_cmp_eq_u32 s25, 15
	s_mov_b64 s[18:19], -1
	s_cbranch_scc0 .LBB142_734
; %bb.724:
	s_cmpk_lt_i32 s31, 0x80
	s_cbranch_scc1 .LBB142_728
; %bb.725:
	s_and_b32 s18, 0xffff, s31
	s_cmpk_eq_i32 s18, 0x80
	s_mov_b64 s[18:19], -1
	s_cbranch_scc0 .LBB142_727
; %bb.726:
	s_mov_b64 s[18:19], 0
.LBB142_727:
	s_mov_b64 s[20:21], 0
	s_branch .LBB142_729
.LBB142_728:
	s_mov_b64 s[20:21], -1
	s_mov_b64 s[18:19], 0
.LBB142_729:
	s_mov_b32 s22, 0x7f800001
	s_and_b64 vcc, exec, s[20:21]
	s_cbranch_vccz .LBB142_731
; %bb.730:
	s_and_b32 s18, 0xffff, s31
	s_cmp_lg_u32 s18, 0
	s_mov_b32 s22, 0
	s_cselect_b64 s[18:19], -1, 0
.LBB142_731:
	s_andn2_b64 vcc, exec, s[18:19]
	s_cbranch_vccnz .LBB142_733
; %bb.732:
	s_mov_b32 s22, s33
.LBB142_733:
	s_bfe_u32 s18, s22, 0x10010
	s_add_i32 s18, s22, s18
	s_addk_i32 s18, 0x7fff
	s_lshr_b32 s20, s18, 16
	v_cmp_o_f32_e64 s[18:19], s22, s22
	s_and_b64 s[18:19], s[18:19], exec
	s_cselect_b32 s18, s20, 0x7fc0
	v_mov_b32_e32 v0, s18
	global_store_short v[10:11], v0, off
	s_mov_b64 s[20:21], -1
	s_mov_b64 s[18:19], 0
.LBB142_734:
	s_mov_b64 s[22:23], 0
.LBB142_735:
	s_and_b64 vcc, exec, s[22:23]
	s_cbranch_vccz .LBB142_738
; %bb.736:
	s_cmp_eq_u32 s25, 11
	s_mov_b64 s[18:19], -1
	s_cbranch_scc0 .LBB142_738
; %bb.737:
	global_store_byte v[10:11], v14, off
	s_mov_b64 s[20:21], -1
	s_mov_b64 s[18:19], 0
.LBB142_738:
	s_mov_b64 s[22:23], 0
.LBB142_739:
	s_and_b64 vcc, exec, s[22:23]
	s_cbranch_vccz .LBB142_869
; %bb.740:
	s_cmp_lt_i32 s25, 5
	s_mov_b64 s[20:21], -1
	s_cbranch_scc1 .LBB142_817
; %bb.741:
	s_cmp_lt_i32 s25, 8
	s_cbranch_scc1 .LBB142_779
; %bb.742:
	s_cmp_lt_i32 s25, 9
	s_cbranch_scc1 .LBB142_767
; %bb.743:
	s_cmp_gt_i32 s25, 9
	s_cbranch_scc0 .LBB142_755
; %bb.744:
	s_cmpk_lt_i32 s31, 0x80
	s_cbranch_scc1 .LBB142_748
; %bb.745:
	s_and_b32 s20, 0xffff, s31
	s_cmpk_eq_i32 s20, 0x80
	s_mov_b64 s[20:21], -1
	s_cbranch_scc0 .LBB142_747
; %bb.746:
	s_mov_b64 s[20:21], 0
.LBB142_747:
	s_mov_b64 s[22:23], 0
	s_branch .LBB142_749
.LBB142_748:
	s_mov_b64 s[22:23], -1
	s_mov_b64 s[20:21], 0
.LBB142_749:
	s_and_b64 vcc, exec, s[22:23]
	s_cbranch_vccz .LBB142_751
; %bb.750:
	s_and_b32 s20, 0xffff, s31
	s_cmp_lg_u32 s20, 0
	s_mov_b64 s[22:23], 0
	s_cselect_b64 s[20:21], -1, 0
	s_branch .LBB142_752
.LBB142_751:
	s_mov_b32 s23, 0x7ff80000
	s_brev_b32 s22, 4
.LBB142_752:
	v_mov_b32_e32 v0, s22
	s_andn2_b64 vcc, exec, s[20:21]
	v_mov_b32_e32 v1, s23
	s_cbranch_vccnz .LBB142_754
; %bb.753:
	v_mov_b32_e32 v0, v6
	v_mov_b32_e32 v1, v7
.LBB142_754:
	v_mov_b32_e32 v2, 0
	v_mov_b32_e32 v3, v2
	global_store_dwordx4 v[10:11], v[0:3], off
	s_mov_b64 s[20:21], 0
.LBB142_755:
	s_and_b64 vcc, exec, s[20:21]
	s_cbranch_vccz .LBB142_766
; %bb.756:
	s_cmpk_lt_i32 s31, 0x80
	s_cbranch_scc1 .LBB142_760
; %bb.757:
	s_and_b32 s20, 0xffff, s31
	s_cmpk_eq_i32 s20, 0x80
	s_mov_b64 s[20:21], -1
	s_cbranch_scc0 .LBB142_759
; %bb.758:
	s_mov_b64 s[20:21], 0
.LBB142_759:
	s_mov_b64 s[22:23], 0
	s_branch .LBB142_761
.LBB142_760:
	s_mov_b64 s[22:23], -1
	s_mov_b64 s[20:21], 0
.LBB142_761:
	s_mov_b32 s26, 0x7f800001
	s_and_b64 vcc, exec, s[22:23]
	s_cbranch_vccz .LBB142_763
; %bb.762:
	s_and_b32 s26, 0xffff, s31
	s_cmp_lg_u32 s26, 0
	s_cselect_b64 s[20:21], -1, 0
.LBB142_763:
	s_andn2_b64 vcc, exec, s[20:21]
	s_cbranch_vccnz .LBB142_765
; %bb.764:
	s_mov_b32 s26, s33
.LBB142_765:
	v_mov_b32_e32 v0, s26
	v_mov_b32_e32 v1, 0
	global_store_dwordx2 v[10:11], v[0:1], off
.LBB142_766:
	s_mov_b64 s[20:21], 0
.LBB142_767:
	s_andn2_b64 vcc, exec, s[20:21]
	s_cbranch_vccnz .LBB142_778
; %bb.768:
	s_cmpk_lt_i32 s31, 0x80
	s_cbranch_scc1 .LBB142_772
; %bb.769:
	s_and_b32 s20, 0xffff, s31
	s_cmpk_eq_i32 s20, 0x80
	s_mov_b64 s[20:21], -1
	s_cbranch_scc0 .LBB142_771
; %bb.770:
	s_mov_b64 s[20:21], 0
.LBB142_771:
	s_mov_b64 s[22:23], 0
	s_branch .LBB142_773
.LBB142_772:
	s_mov_b64 s[22:23], -1
	s_mov_b64 s[20:21], 0
.LBB142_773:
	s_movk_i32 s26, 0x7e00
	s_and_b64 vcc, exec, s[22:23]
	s_cbranch_vccz .LBB142_775
; %bb.774:
	s_and_b32 s26, 0xffff, s31
	s_cmp_lg_u32 s26, 0
	s_cselect_b64 s[20:21], -1, 0
.LBB142_775:
	s_andn2_b64 vcc, exec, s[20:21]
	v_mov_b32_e32 v0, s26
	s_cbranch_vccnz .LBB142_777
; %bb.776:
	v_mov_b32_e32 v0, v13
.LBB142_777:
	global_store_dword v[10:11], v0, off
.LBB142_778:
	s_mov_b64 s[20:21], 0
.LBB142_779:
	s_andn2_b64 vcc, exec, s[20:21]
	s_cbranch_vccnz .LBB142_816
; %bb.780:
	s_cmp_lt_i32 s25, 6
	s_mov_b64 s[20:21], -1
	s_cbranch_scc1 .LBB142_805
; %bb.781:
	s_cmp_gt_i32 s25, 6
	s_cbranch_scc0 .LBB142_793
; %bb.782:
	s_cmpk_lt_i32 s31, 0x80
	s_cbranch_scc1 .LBB142_786
; %bb.783:
	s_and_b32 s20, 0xffff, s31
	s_cmpk_eq_i32 s20, 0x80
	s_mov_b64 s[20:21], -1
	s_cbranch_scc0 .LBB142_785
; %bb.784:
	s_mov_b64 s[20:21], 0
.LBB142_785:
	s_mov_b64 s[22:23], 0
	s_branch .LBB142_787
.LBB142_786:
	s_mov_b64 s[22:23], -1
	s_mov_b64 s[20:21], 0
.LBB142_787:
	s_and_b64 vcc, exec, s[22:23]
	s_cbranch_vccz .LBB142_789
; %bb.788:
	s_and_b32 s20, 0xffff, s31
	s_cmp_lg_u32 s20, 0
	s_mov_b64 s[22:23], 0
	s_cselect_b64 s[20:21], -1, 0
	s_branch .LBB142_790
.LBB142_789:
	s_mov_b32 s23, 0x7ff80000
	s_brev_b32 s22, 4
.LBB142_790:
	v_mov_b32_e32 v0, s22
	s_andn2_b64 vcc, exec, s[20:21]
	v_mov_b32_e32 v1, s23
	s_cbranch_vccnz .LBB142_792
; %bb.791:
	v_mov_b32_e32 v0, v6
	v_mov_b32_e32 v1, v7
.LBB142_792:
	global_store_dwordx2 v[10:11], v[0:1], off
	s_mov_b64 s[20:21], 0
.LBB142_793:
	s_and_b64 vcc, exec, s[20:21]
	s_cbranch_vccz .LBB142_804
; %bb.794:
	s_cmpk_lt_i32 s31, 0x80
	s_cbranch_scc1 .LBB142_798
; %bb.795:
	s_and_b32 s20, 0xffff, s31
	s_cmpk_eq_i32 s20, 0x80
	s_mov_b64 s[20:21], -1
	s_cbranch_scc0 .LBB142_797
; %bb.796:
	s_mov_b64 s[20:21], 0
.LBB142_797:
	s_mov_b64 s[22:23], 0
	s_branch .LBB142_799
.LBB142_798:
	s_mov_b64 s[22:23], -1
	s_mov_b64 s[20:21], 0
.LBB142_799:
	s_mov_b32 s26, 0x7f800001
	s_and_b64 vcc, exec, s[22:23]
	s_cbranch_vccz .LBB142_801
; %bb.800:
	s_and_b32 s20, 0xffff, s31
	s_cmp_lg_u32 s20, 0
	s_mov_b32 s26, 0
	s_cselect_b64 s[20:21], -1, 0
.LBB142_801:
	s_andn2_b64 vcc, exec, s[20:21]
	s_cbranch_vccnz .LBB142_803
; %bb.802:
	s_mov_b32 s26, s33
.LBB142_803:
	v_mov_b32_e32 v0, s26
	global_store_dword v[10:11], v0, off
.LBB142_804:
	s_mov_b64 s[20:21], 0
.LBB142_805:
	s_andn2_b64 vcc, exec, s[20:21]
	s_cbranch_vccnz .LBB142_816
; %bb.806:
	s_cmpk_lt_i32 s31, 0x80
	s_cbranch_scc1 .LBB142_810
; %bb.807:
	s_and_b32 s20, 0xffff, s31
	s_cmpk_eq_i32 s20, 0x80
	s_mov_b64 s[20:21], -1
	s_cbranch_scc0 .LBB142_809
; %bb.808:
	s_mov_b64 s[20:21], 0
.LBB142_809:
	s_mov_b64 s[22:23], 0
	s_branch .LBB142_811
.LBB142_810:
	s_mov_b64 s[22:23], -1
	s_mov_b64 s[20:21], 0
.LBB142_811:
	s_movk_i32 s26, 0x7e00
	s_and_b64 vcc, exec, s[22:23]
	s_cbranch_vccz .LBB142_813
; %bb.812:
	s_and_b32 s20, 0xffff, s31
	s_cmp_lg_u32 s20, 0
	s_cselect_b64 s[20:21], -1, 0
	s_mov_b32 s26, s31
.LBB142_813:
	s_andn2_b64 vcc, exec, s[20:21]
	v_mov_b32_e32 v0, s26
	s_cbranch_vccnz .LBB142_815
; %bb.814:
	v_mov_b32_e32 v0, v13
.LBB142_815:
	global_store_short v[10:11], v0, off
.LBB142_816:
	s_mov_b64 s[20:21], 0
.LBB142_817:
	s_andn2_b64 vcc, exec, s[20:21]
	s_cbranch_vccnz .LBB142_868
; %bb.818:
	s_cmp_lt_i32 s25, 2
	s_mov_b64 s[20:21], -1
	s_cbranch_scc1 .LBB142_849
; %bb.819:
	s_cmp_lt_i32 s25, 3
	s_cbranch_scc1 .LBB142_839
; %bb.820:
	s_cmp_gt_i32 s25, 3
	s_cbranch_scc0 .LBB142_829
; %bb.821:
	s_cmpk_lt_i32 s31, 0x80
	s_cbranch_scc1 .LBB142_823
; %bb.822:
	s_and_b32 s20, 0xffff, s31
	s_cmpk_lg_i32 s20, 0x80
	s_mov_b64 s[22:23], 0
	s_cselect_b64 s[20:21], -1, 0
	s_branch .LBB142_824
.LBB142_823:
	s_mov_b64 s[22:23], -1
	s_mov_b64 s[20:21], 0
.LBB142_824:
	s_andn2_b64 vcc, exec, s[22:23]
	s_cbranch_vccnz .LBB142_826
; %bb.825:
	s_and_b32 s20, 0xffff, s31
	s_cmp_lg_u32 s20, 0
	s_cselect_b64 s[20:21], -1, 0
.LBB142_826:
	v_mov_b32_e32 v0, 0
	s_andn2_b64 vcc, exec, s[20:21]
	v_mov_b32_e32 v1, 0
	s_cbranch_vccnz .LBB142_828
; %bb.827:
	v_mov_b32_e32 v0, v4
	v_mov_b32_e32 v1, v5
.LBB142_828:
	global_store_dwordx2 v[10:11], v[0:1], off
	s_mov_b64 s[20:21], 0
.LBB142_829:
	s_and_b64 vcc, exec, s[20:21]
	s_cbranch_vccz .LBB142_838
; %bb.830:
	s_cmpk_lt_i32 s31, 0x80
	s_cbranch_scc1 .LBB142_832
; %bb.831:
	s_and_b32 s20, 0xffff, s31
	s_cmpk_lg_i32 s20, 0x80
	s_mov_b64 s[22:23], 0
	s_cselect_b64 s[20:21], -1, 0
	s_branch .LBB142_833
.LBB142_832:
	s_mov_b64 s[22:23], -1
	s_mov_b64 s[20:21], 0
.LBB142_833:
	s_andn2_b64 vcc, exec, s[22:23]
	s_cbranch_vccnz .LBB142_835
; %bb.834:
	s_and_b32 s20, 0xffff, s31
	s_cmp_lg_u32 s20, 0
	s_cselect_b64 s[20:21], -1, 0
.LBB142_835:
	s_andn2_b64 vcc, exec, s[20:21]
	v_mov_b32_e32 v0, 0
	s_cbranch_vccnz .LBB142_837
; %bb.836:
	v_mov_b32_e32 v0, v12
.LBB142_837:
	global_store_dword v[10:11], v0, off
.LBB142_838:
	s_mov_b64 s[20:21], 0
.LBB142_839:
	s_andn2_b64 vcc, exec, s[20:21]
	s_cbranch_vccnz .LBB142_848
; %bb.840:
	s_cmpk_lt_i32 s31, 0x80
	s_cbranch_scc1 .LBB142_842
; %bb.841:
	s_and_b32 s20, 0xffff, s31
	s_cmpk_lg_i32 s20, 0x80
	s_mov_b64 s[22:23], 0
	s_cselect_b64 s[20:21], -1, 0
	s_branch .LBB142_843
.LBB142_842:
	s_mov_b64 s[22:23], -1
	s_mov_b64 s[20:21], 0
.LBB142_843:
	s_andn2_b64 vcc, exec, s[22:23]
	s_cbranch_vccnz .LBB142_845
; %bb.844:
	s_and_b32 s20, 0xffff, s31
	s_cmp_lg_u32 s20, 0
	s_cselect_b64 s[20:21], -1, 0
.LBB142_845:
	s_andn2_b64 vcc, exec, s[20:21]
	v_mov_b32_e32 v0, 0
	s_cbranch_vccnz .LBB142_847
; %bb.846:
	v_mov_b32_e32 v0, v12
.LBB142_847:
	global_store_short v[10:11], v0, off
.LBB142_848:
	s_mov_b64 s[20:21], 0
.LBB142_849:
	s_andn2_b64 vcc, exec, s[20:21]
	s_cbranch_vccnz .LBB142_868
; %bb.850:
	s_cmp_gt_i32 s25, 0
	s_mov_b64 s[20:21], -1
	s_cbranch_scc0 .LBB142_859
; %bb.851:
	s_cmpk_lt_i32 s31, 0x80
	s_cbranch_scc1 .LBB142_853
; %bb.852:
	s_and_b32 s20, 0xffff, s31
	s_cmpk_lg_i32 s20, 0x80
	s_mov_b64 s[22:23], 0
	s_cselect_b64 s[20:21], -1, 0
	s_branch .LBB142_854
.LBB142_853:
	s_mov_b64 s[22:23], -1
	s_mov_b64 s[20:21], 0
.LBB142_854:
	s_andn2_b64 vcc, exec, s[22:23]
	s_cbranch_vccnz .LBB142_856
; %bb.855:
	s_and_b32 s20, 0xffff, s31
	s_cmp_lg_u32 s20, 0
	s_cselect_b64 s[20:21], -1, 0
.LBB142_856:
	s_andn2_b64 vcc, exec, s[20:21]
	v_mov_b32_e32 v0, 0
	s_cbranch_vccnz .LBB142_858
; %bb.857:
	v_mov_b32_e32 v0, v12
.LBB142_858:
	global_store_byte v[10:11], v0, off
	s_mov_b64 s[20:21], 0
.LBB142_859:
	s_and_b64 vcc, exec, s[20:21]
	s_cbranch_vccz .LBB142_868
; %bb.860:
	s_cmpk_lt_i32 s31, 0x80
	s_cbranch_scc1 .LBB142_862
; %bb.861:
	s_and_b32 s20, 0xffff, s31
	s_cmpk_lg_i32 s20, 0x80
	s_mov_b64 s[22:23], 0
	s_cselect_b64 s[20:21], -1, 0
	s_branch .LBB142_863
.LBB142_862:
	s_mov_b64 s[22:23], -1
	s_mov_b64 s[20:21], 0
.LBB142_863:
	s_andn2_b64 vcc, exec, s[22:23]
	s_cbranch_vccnz .LBB142_865
; %bb.864:
	s_and_b32 s20, 0xffff, s31
	s_cmp_lg_u32 s20, 0
	s_cselect_b64 s[20:21], -1, 0
.LBB142_865:
	s_andn2_b64 vcc, exec, s[20:21]
	v_mov_b32_e32 v0, 0
	s_cbranch_vccnz .LBB142_867
; %bb.866:
	v_mov_b32_e32 v0, v4
.LBB142_867:
	global_store_byte v[10:11], v0, off
.LBB142_868:
	s_mov_b64 s[20:21], -1
.LBB142_869:
	s_andn2_b64 vcc, exec, s[20:21]
	s_cbranch_vccnz .LBB142_871
; %bb.870:
	v_add_u32_e32 v16, 0x80, v16
	s_mov_b64 s[20:21], -1
	s_branch .LBB142_872
.LBB142_871:
	s_mov_b64 s[20:21], 0
                                        ; implicit-def: $vgpr16
.LBB142_872:
	s_andn2_b64 s[22:23], s[12:13], exec
	s_and_b64 s[18:19], s[18:19], exec
	s_or_b64 s[18:19], s[22:23], s[18:19]
	s_orn2_b64 s[22:23], s[20:21], exec
.LBB142_873:
	s_or_b64 exec, exec, s[16:17]
	s_mov_b64 s[20:21], 0
	s_mov_b64 s[26:27], 0
                                        ; implicit-def: $vgpr10_vgpr11
	s_and_saveexec_b64 s[16:17], s[22:23]
	s_cbranch_execz .LBB142_1026
; %bb.874:
	v_cmp_gt_i32_e32 vcc, s24, v16
	s_mov_b64 s[24:25], 0
	s_mov_b64 s[22:23], s[18:19]
	;; [unrolled: 1-line block ×3, first 2 shown]
                                        ; implicit-def: $vgpr10_vgpr11
	s_and_saveexec_b64 s[20:21], vcc
	s_cbranch_execz .LBB142_1025
; %bb.875:
	v_mul_lo_u32 v0, v16, s2
	v_mov_b32_e32 v1, s1
	s_and_b32 s35, 0xffff, s30
	s_cmp_lt_i32 s35, 11
	v_ashrrev_i32_e32 v2, 31, v0
	v_add_co_u32_e32 v10, vcc, s0, v0
	v_addc_co_u32_e32 v11, vcc, v1, v2, vcc
	s_cbranch_scc1 .LBB142_885
; %bb.876:
	s_mov_b64 s[26:27], -1
	s_cmp_gt_i32 s35, 25
	s_mov_b64 s[22:23], s[18:19]
	s_cbranch_scc0 .LBB142_943
; %bb.877:
	s_mov_b64 s[24:25], -1
	s_cmp_gt_i32 s35, 28
	s_mov_b64 s[22:23], s[18:19]
	s_cbranch_scc0 .LBB142_919
; %bb.878:
	s_cmp_gt_i32 s35, 43
	s_mov_b64 s[22:23], s[18:19]
	s_cbranch_scc0 .LBB142_906
; %bb.879:
	;; [unrolled: 4-line block ×3, first 2 shown]
	s_cmp_eq_u32 s35, 46
	s_mov_b64 s[22:23], -1
	s_cbranch_scc0 .LBB142_892
; %bb.881:
	s_cmpk_lt_i32 s31, 0x80
	s_cbranch_scc1 .LBB142_886
; %bb.882:
	s_and_b32 s22, 0xffff, s31
	s_cmpk_eq_i32 s22, 0x80
	s_mov_b64 s[22:23], -1
	s_cbranch_scc0 .LBB142_884
; %bb.883:
	s_mov_b64 s[22:23], 0
.LBB142_884:
	s_mov_b64 s[24:25], 0
	s_branch .LBB142_887
.LBB142_885:
	s_mov_b64 s[24:25], -1
	s_mov_b64 s[22:23], s[18:19]
	s_branch .LBB142_1024
.LBB142_886:
	s_mov_b64 s[22:23], 0
.LBB142_887:
	s_mov_b32 s26, 0x7f800001
	s_and_b64 vcc, exec, s[24:25]
	s_cbranch_vccz .LBB142_889
; %bb.888:
	s_and_b32 s22, 0xffff, s31
	s_cmp_lg_u32 s22, 0
	s_mov_b32 s26, 0
	s_cselect_b64 s[22:23], -1, 0
.LBB142_889:
	s_andn2_b64 vcc, exec, s[22:23]
	s_cbranch_vccnz .LBB142_891
; %bb.890:
	s_mov_b32 s26, s33
.LBB142_891:
	s_bfe_u32 s22, s26, 0x10010
	s_add_i32 s22, s26, s22
	s_addk_i32 s22, 0x7fff
	s_lshr_b32 s24, s22, 16
	v_cmp_o_f32_e64 s[22:23], s26, s26
	s_and_b64 s[22:23], s[22:23], exec
	s_cselect_b32 s22, s24, 0x7fc0
	v_mov_b32_e32 v0, s22
	global_store_dword v[10:11], v0, off
	s_mov_b64 s[22:23], 0
.LBB142_892:
	s_mov_b64 s[24:25], 0
.LBB142_893:
	s_and_b64 vcc, exec, s[24:25]
	s_cbranch_vccz .LBB142_905
; %bb.894:
	s_cmp_eq_u32 s35, 44
	s_mov_b64 s[22:23], -1
	s_cbranch_scc0 .LBB142_905
; %bb.895:
	s_cmpk_lt_i32 s31, 0x80
	s_cbranch_scc1 .LBB142_899
; %bb.896:
	s_and_b32 s22, 0xffff, s31
	s_cmpk_eq_i32 s22, 0x80
	s_mov_b64 s[22:23], -1
	s_cbranch_scc0 .LBB142_898
; %bb.897:
	s_mov_b64 s[22:23], 0
.LBB142_898:
	s_mov_b64 s[24:25], 0
	s_branch .LBB142_900
.LBB142_899:
	s_mov_b64 s[24:25], -1
	s_mov_b64 s[22:23], 0
.LBB142_900:
	s_mov_b32 s26, 0x7f800001
	s_and_b64 vcc, exec, s[24:25]
	s_cbranch_vccz .LBB142_910
; %bb.901:
	s_and_b32 s26, 0xffff, s31
	s_cmp_lg_u32 s26, 0
	s_cselect_b64 s[22:23], -1, 0
	s_andn2_b64 vcc, exec, s[22:23]
	s_cbranch_vccz .LBB142_911
.LBB142_902:
	s_lshr_b32 s22, s26, 23
	s_cmpk_eq_i32 s22, 0xff
	v_mov_b32_e32 v0, 0xff
	s_cbranch_scc1 .LBB142_904
.LBB142_903:
	s_bitcmp1_b32 s26, 22
	s_cselect_b64 s[24:25], -1, 0
	s_and_b32 s23, s26, 0x3fffff
	s_or_b32 s23, s22, s23
	s_cmp_lg_u32 s23, 0
	s_cselect_b64 s[26:27], -1, 0
	s_and_b64 s[24:25], s[24:25], s[26:27]
	v_cndmask_b32_e64 v0, 0, 1, s[24:25]
	v_add_u32_e32 v0, s22, v0
.LBB142_904:
	s_mov_b64 s[22:23], 0
	global_store_byte v[10:11], v0, off
.LBB142_905:
	s_mov_b64 s[24:25], 0
.LBB142_906:
	s_and_b64 vcc, exec, s[24:25]
	s_cbranch_vccz .LBB142_918
; %bb.907:
	s_cmp_eq_u32 s35, 29
	s_mov_b64 s[22:23], -1
	s_cbranch_scc0 .LBB142_918
; %bb.908:
	s_cmpk_lt_i32 s31, 0x80
	s_cbranch_scc1 .LBB142_912
; %bb.909:
	s_and_b32 s22, 0xffff, s31
	s_cmpk_lg_i32 s22, 0x80
	s_mov_b64 s[24:25], 0
	s_cselect_b64 s[22:23], -1, 0
	s_branch .LBB142_913
.LBB142_910:
	s_andn2_b64 vcc, exec, s[22:23]
	s_cbranch_vccnz .LBB142_902
.LBB142_911:
	s_mov_b32 s26, s34
	s_lshr_b32 s22, s26, 23
	s_cmpk_eq_i32 s22, 0xff
	v_mov_b32_e32 v0, 0xff
	s_cbranch_scc0 .LBB142_903
	s_branch .LBB142_904
.LBB142_912:
	s_mov_b64 s[24:25], -1
	s_mov_b64 s[22:23], 0
.LBB142_913:
	s_andn2_b64 vcc, exec, s[24:25]
	s_cbranch_vccnz .LBB142_915
; %bb.914:
	s_and_b32 s22, 0xffff, s31
	s_cmp_lg_u32 s22, 0
	s_cselect_b64 s[22:23], -1, 0
.LBB142_915:
	v_mov_b32_e32 v0, 0
	s_andn2_b64 vcc, exec, s[22:23]
	v_mov_b32_e32 v1, 0
	s_cbranch_vccnz .LBB142_917
; %bb.916:
	v_mov_b32_e32 v0, v8
	v_mov_b32_e32 v1, v9
.LBB142_917:
	s_mov_b64 s[22:23], 0
	global_store_dwordx2 v[10:11], v[0:1], off
.LBB142_918:
	s_mov_b64 s[24:25], 0
.LBB142_919:
	s_and_b64 vcc, exec, s[24:25]
	s_cbranch_vccz .LBB142_942
; %bb.920:
	s_cmp_lt_i32 s35, 27
	s_mov_b64 s[24:25], -1
	s_cbranch_scc1 .LBB142_940
; %bb.921:
	s_cmp_gt_i32 s35, 27
	s_cbranch_scc0 .LBB142_930
; %bb.922:
	s_cmpk_lt_i32 s31, 0x80
	s_cbranch_scc1 .LBB142_924
; %bb.923:
	s_and_b32 s24, 0xffff, s31
	s_cmpk_lg_i32 s24, 0x80
	s_mov_b64 s[26:27], 0
	s_cselect_b64 s[24:25], -1, 0
	s_branch .LBB142_925
.LBB142_924:
	s_mov_b64 s[26:27], -1
	s_mov_b64 s[24:25], 0
.LBB142_925:
	s_andn2_b64 vcc, exec, s[26:27]
	s_cbranch_vccnz .LBB142_927
; %bb.926:
	s_and_b32 s24, 0xffff, s31
	s_cmp_lg_u32 s24, 0
	s_cselect_b64 s[24:25], -1, 0
.LBB142_927:
	s_andn2_b64 vcc, exec, s[24:25]
	v_mov_b32_e32 v0, 0
	s_cbranch_vccnz .LBB142_929
; %bb.928:
	v_mov_b32_e32 v0, v15
.LBB142_929:
	global_store_dword v[10:11], v0, off
	s_mov_b64 s[24:25], 0
.LBB142_930:
	s_and_b64 vcc, exec, s[24:25]
	s_cbranch_vccz .LBB142_939
; %bb.931:
	s_cmpk_lt_i32 s31, 0x80
	s_cbranch_scc1 .LBB142_933
; %bb.932:
	s_and_b32 s24, 0xffff, s31
	s_cmpk_lg_i32 s24, 0x80
	s_mov_b64 s[26:27], 0
	s_cselect_b64 s[24:25], -1, 0
	s_branch .LBB142_934
.LBB142_933:
	s_mov_b64 s[26:27], -1
	s_mov_b64 s[24:25], 0
.LBB142_934:
	s_andn2_b64 vcc, exec, s[26:27]
	s_cbranch_vccnz .LBB142_936
; %bb.935:
	s_and_b32 s24, 0xffff, s31
	s_cmp_lg_u32 s24, 0
	s_cselect_b64 s[24:25], -1, 0
.LBB142_936:
	s_andn2_b64 vcc, exec, s[24:25]
	v_mov_b32_e32 v0, 0
	s_cbranch_vccnz .LBB142_938
; %bb.937:
	v_mov_b32_e32 v0, v15
.LBB142_938:
	global_store_short v[10:11], v0, off
.LBB142_939:
	s_mov_b64 s[24:25], 0
.LBB142_940:
	s_andn2_b64 vcc, exec, s[24:25]
	s_cbranch_vccnz .LBB142_942
; %bb.941:
	v_mov_b32_e32 v0, s3
	global_store_byte v[10:11], v0, off
.LBB142_942:
	s_mov_b64 s[26:27], 0
.LBB142_943:
	s_mov_b64 s[24:25], 0
	s_and_b64 vcc, exec, s[26:27]
	s_cbranch_vccz .LBB142_950
; %bb.944:
	s_cmp_gt_i32 s35, 22
	s_mov_b64 s[26:27], -1
	s_cbranch_scc0 .LBB142_1009
; %bb.945:
	s_cmp_lt_i32 s35, 24
	s_cbranch_scc1 .LBB142_987
; %bb.946:
	s_cmp_gt_i32 s35, 24
	s_cbranch_scc0 .LBB142_965
; %bb.947:
	s_cmpk_lt_i32 s31, 0x80
	s_cbranch_scc1 .LBB142_954
; %bb.948:
	s_and_b32 s26, 0xffff, s31
	s_cmpk_eq_i32 s26, 0x80
	s_mov_b64 s[26:27], -1
	s_cbranch_scc0 .LBB142_951
; %bb.949:
	s_mov_b64 s[26:27], 0
	s_mov_b32 s34, 0x7f800001
	s_and_b64 vcc, exec, s[28:29]
	s_cbranch_vccz .LBB142_955
	s_branch .LBB142_952
.LBB142_950:
	s_mov_b64 s[26:27], 0
	s_branch .LBB142_1024
.LBB142_951:
	s_mov_b32 s34, 0x7f800001
	s_and_b64 vcc, exec, s[28:29]
	s_cbranch_vccz .LBB142_955
.LBB142_952:
	s_and_b32 s26, 0xffff, s31
	s_cmp_lg_u32 s26, 0
	s_mov_b32 s34, 0
	s_cselect_b64 s[26:27], -1, 0
	s_andn2_b64 vcc, exec, s[26:27]
	s_cbranch_vccz .LBB142_956
.LBB142_953:
	s_and_b32 s26, s34, 0x7fffffff
	s_cmp_gt_u32 s26, 0x477fffff
	v_mov_b32_e32 v1, 0x80
	s_cbranch_scc0 .LBB142_957
	s_branch .LBB142_964
.LBB142_954:
	s_mov_b64 s[26:27], 0
	s_mov_b32 s34, 0x7f800001
	s_cbranch_execnz .LBB142_952
.LBB142_955:
	s_andn2_b64 vcc, exec, s[26:27]
	s_cbranch_vccnz .LBB142_953
.LBB142_956:
	s_mov_b32 s34, s33
	s_and_b32 s26, s34, 0x7fffffff
	s_cmp_gt_u32 s26, 0x477fffff
	v_mov_b32_e32 v1, 0x80
	s_cbranch_scc1 .LBB142_964
.LBB142_957:
	s_cmp_lt_u32 s26, 0x38000000
	s_cbranch_scc1 .LBB142_959
; %bb.958:
	s_bfe_u32 s26, s34, 0x10015
	s_add_i32 s26, s34, s26
	s_add_i32 s26, s26, 0x88fffff
	s_lshr_b32 s36, s26, 21
	s_mov_b64 s[28:29], 0
	s_mov_b64 s[26:27], -1
	s_branch .LBB142_960
.LBB142_959:
	s_mov_b64 s[28:29], -1
	s_mov_b64 s[26:27], 0
                                        ; implicit-def: $sgpr36
.LBB142_960:
	s_andn2_b64 vcc, exec, s[28:29]
	v_mov_b32_e32 v0, s36
	s_cbranch_vccnz .LBB142_962
; %bb.961:
	v_mov_b32_e32 v0, 0x42800000
	v_add_f32_e64 v0, |s34|, v0
	v_and_b32_e32 v0, 0xff, v0
	v_cmp_ne_u32_e64 s[26:27], 0, v0
.LBB142_962:
	s_andn2_b64 vcc, exec, s[26:27]
	v_mov_b32_e32 v1, 0
	s_cbranch_vccnz .LBB142_964
; %bb.963:
	s_lshr_b32 s26, s34, 24
	s_and_b32 s26, s26, 0x80
	v_or_b32_e32 v1, s26, v0
.LBB142_964:
	global_store_byte v[10:11], v1, off
	s_mov_b64 s[26:27], 0
.LBB142_965:
	s_and_b64 vcc, exec, s[26:27]
	s_cbranch_vccz .LBB142_986
; %bb.966:
	s_cmpk_lt_i32 s31, 0x80
	s_cbranch_scc1 .LBB142_970
; %bb.967:
	s_and_b32 s26, 0xffff, s31
	s_cmpk_eq_i32 s26, 0x80
	s_mov_b64 s[26:27], -1
	s_cbranch_scc0 .LBB142_969
; %bb.968:
	s_mov_b64 s[26:27], 0
.LBB142_969:
	s_mov_b64 s[28:29], 0
	s_branch .LBB142_971
.LBB142_970:
	s_mov_b64 s[28:29], -1
	s_mov_b64 s[26:27], 0
.LBB142_971:
	s_mov_b32 s34, 0x7f800001
	s_and_b64 vcc, exec, s[28:29]
	s_cbranch_vccz .LBB142_976
; %bb.972:
	s_and_b32 s26, 0xffff, s31
	s_cmp_lg_u32 s26, 0
	s_mov_b32 s34, 0
	s_cselect_b64 s[26:27], -1, 0
	s_andn2_b64 vcc, exec, s[26:27]
	s_cbranch_vccz .LBB142_977
.LBB142_973:
	s_and_b32 s28, s34, 0x7fffffff
	s_cmp_gt_u32 s28, 0x43efffff
	s_cbranch_scc1 .LBB142_978
.LBB142_974:
	s_cmp_lt_u32 s28, 0x3c800000
	s_cbranch_scc1 .LBB142_979
; %bb.975:
	s_bfe_u32 s26, s34, 0x10014
	s_add_i32 s26, s34, s26
	s_add_i32 s26, s26, 0x407ffff
	s_lshr_b32 s27, s26, 20
	s_and_b32 s26, s26, 0xff00000
	s_cmp_lg_u32 s26, 0x7f00000
	s_cselect_b32 s29, s27, 0x7e
	s_mov_b64 s[26:27], 0
	s_branch .LBB142_980
.LBB142_976:
	s_andn2_b64 vcc, exec, s[26:27]
	s_cbranch_vccnz .LBB142_973
.LBB142_977:
	s_mov_b32 s34, s33
	s_and_b32 s28, s34, 0x7fffffff
	s_cmp_gt_u32 s28, 0x43efffff
	s_cbranch_scc0 .LBB142_974
.LBB142_978:
	s_mov_b64 s[26:27], -1
                                        ; implicit-def: $vgpr0
	s_branch .LBB142_983
.LBB142_979:
	s_mov_b64 s[26:27], -1
                                        ; implicit-def: $sgpr29
.LBB142_980:
	s_andn2_b64 vcc, exec, s[26:27]
	v_mov_b32_e32 v0, s29
	s_cbranch_vccnz .LBB142_982
; %bb.981:
	v_mov_b32_e32 v0, 0x46800000
	v_add_f32_e64 v0, |s34|, v0
.LBB142_982:
	s_mov_b64 s[26:27], 0
.LBB142_983:
	s_andn2_b64 vcc, exec, s[26:27]
	s_cbranch_vccnz .LBB142_985
; %bb.984:
	s_cmp_gt_u32 s28, 0x7f800000
	s_movk_i32 s26, 0x7f
	s_cselect_b32 s26, s26, 0x7e
	v_mov_b32_e32 v0, s26
.LBB142_985:
	s_lshr_b32 s26, s34, 24
	s_and_b32 s26, s26, 0x80
	v_or_b32_e32 v0, s26, v0
	global_store_byte v[10:11], v0, off
.LBB142_986:
	s_mov_b64 s[26:27], 0
.LBB142_987:
	s_andn2_b64 vcc, exec, s[26:27]
	s_cbranch_vccnz .LBB142_1008
; %bb.988:
	s_cmpk_lt_i32 s31, 0x80
	s_cbranch_scc1 .LBB142_992
; %bb.989:
	s_and_b32 s26, 0xffff, s31
	s_cmpk_eq_i32 s26, 0x80
	s_mov_b64 s[26:27], -1
	s_cbranch_scc0 .LBB142_991
; %bb.990:
	s_mov_b64 s[26:27], 0
.LBB142_991:
	s_mov_b64 s[28:29], 0
	s_branch .LBB142_993
.LBB142_992:
	s_mov_b64 s[28:29], -1
	s_mov_b64 s[26:27], 0
.LBB142_993:
	s_mov_b32 s34, 0x7f800001
	s_and_b64 vcc, exec, s[28:29]
	s_cbranch_vccz .LBB142_998
; %bb.994:
	s_and_b32 s26, 0xffff, s31
	s_cmp_lg_u32 s26, 0
	s_mov_b32 s34, 0
	s_cselect_b64 s[26:27], -1, 0
	s_andn2_b64 vcc, exec, s[26:27]
	s_cbranch_vccz .LBB142_999
.LBB142_995:
	s_and_b32 s28, s34, 0x7fffffff
	s_cmp_gt_u32 s28, 0x477fffff
	s_cbranch_scc1 .LBB142_1000
.LBB142_996:
	s_cmp_lt_u32 s28, 0x38800000
	s_cbranch_scc1 .LBB142_1001
; %bb.997:
	s_bfe_u32 s26, s34, 0x10015
	s_add_i32 s26, s34, s26
	s_add_i32 s26, s26, 0x80fffff
	s_lshr_b32 s29, s26, 21
	s_mov_b64 s[26:27], 0
	s_branch .LBB142_1002
.LBB142_998:
	s_andn2_b64 vcc, exec, s[26:27]
	s_cbranch_vccnz .LBB142_995
.LBB142_999:
	s_mov_b32 s34, s33
	s_and_b32 s28, s34, 0x7fffffff
	s_cmp_gt_u32 s28, 0x477fffff
	s_cbranch_scc0 .LBB142_996
.LBB142_1000:
	s_mov_b64 s[26:27], -1
                                        ; implicit-def: $vgpr0
	s_branch .LBB142_1005
.LBB142_1001:
	s_mov_b64 s[26:27], -1
                                        ; implicit-def: $sgpr29
.LBB142_1002:
	s_andn2_b64 vcc, exec, s[26:27]
	v_mov_b32_e32 v0, s29
	s_cbranch_vccnz .LBB142_1004
; %bb.1003:
	v_mov_b32_e32 v0, 0x43000000
	v_add_f32_e64 v0, |s34|, v0
.LBB142_1004:
	s_mov_b64 s[26:27], 0
.LBB142_1005:
	s_andn2_b64 vcc, exec, s[26:27]
	s_cbranch_vccnz .LBB142_1007
; %bb.1006:
	s_cmp_gt_u32 s28, 0x7f800000
	s_movk_i32 s26, 0x7f
	s_cselect_b32 s26, s26, 0x7c
	v_mov_b32_e32 v0, s26
.LBB142_1007:
	s_lshr_b32 s26, s34, 24
	s_and_b32 s26, s26, 0x80
	v_or_b32_e32 v0, s26, v0
	global_store_byte v[10:11], v0, off
.LBB142_1008:
	s_mov_b64 s[26:27], 0
.LBB142_1009:
	s_andn2_b64 vcc, exec, s[26:27]
	s_mov_b64 s[26:27], 0
	s_cbranch_vccnz .LBB142_1024
; %bb.1010:
	s_cmp_gt_i32 s35, 14
	s_mov_b64 s[28:29], -1
	s_cbranch_scc0 .LBB142_1022
; %bb.1011:
	s_cmp_eq_u32 s35, 15
	s_mov_b64 s[22:23], -1
	s_cbranch_scc0 .LBB142_1021
; %bb.1012:
	s_cmpk_lt_i32 s31, 0x80
	s_cbranch_scc1 .LBB142_1017
; %bb.1013:
	s_and_b32 s22, 0xffff, s31
	s_cmpk_eq_i32 s22, 0x80
	s_mov_b64 s[22:23], -1
	s_cbranch_scc0 .LBB142_1015
; %bb.1014:
	s_mov_b64 s[22:23], 0
	s_mov_b32 s28, 0x7f800001
	s_and_b64 vcc, exec, s[26:27]
	s_cbranch_vccz .LBB142_1018
	s_branch .LBB142_1016
.LBB142_1015:
	s_mov_b32 s28, 0x7f800001
	s_and_b64 vcc, exec, s[26:27]
	s_cbranch_vccz .LBB142_1018
.LBB142_1016:
	s_and_b32 s22, 0xffff, s31
	s_cmp_lg_u32 s22, 0
	s_mov_b32 s28, 0
	s_cselect_b64 s[22:23], -1, 0
	s_andn2_b64 vcc, exec, s[22:23]
	s_cbranch_vccz .LBB142_1019
	s_branch .LBB142_1020
.LBB142_1017:
	s_mov_b64 s[22:23], 0
	s_mov_b32 s28, 0x7f800001
	s_cbranch_execnz .LBB142_1016
.LBB142_1018:
	s_andn2_b64 vcc, exec, s[22:23]
	s_cbranch_vccnz .LBB142_1020
.LBB142_1019:
	s_mov_b32 s28, s33
.LBB142_1020:
	s_bfe_u32 s22, s28, 0x10010
	s_add_i32 s22, s28, s22
	s_addk_i32 s22, 0x7fff
	s_lshr_b32 s26, s22, 16
	v_cmp_o_f32_e64 s[22:23], s28, s28
	s_and_b64 s[22:23], s[22:23], exec
	s_cselect_b32 s22, s26, 0x7fc0
	v_mov_b32_e32 v0, s22
	global_store_short v[10:11], v0, off
	s_mov_b64 s[22:23], 0
.LBB142_1021:
	s_mov_b64 s[28:29], 0
.LBB142_1022:
	s_mov_b64 s[26:27], 0
	s_and_b64 vcc, exec, s[28:29]
	s_cbranch_vccz .LBB142_1024
; %bb.1023:
	s_cmp_lg_u32 s35, 11
	s_cselect_b64 s[28:29], -1, 0
	s_andn2_b64 s[22:23], s[22:23], exec
	s_and_b64 s[28:29], s[28:29], exec
	s_mov_b64 s[26:27], -1
	s_or_b64 s[22:23], s[22:23], s[28:29]
.LBB142_1024:
	s_and_b64 s[28:29], s[24:25], exec
	s_and_b64 s[24:25], s[26:27], exec
	s_andn2_b64 s[26:27], s[18:19], exec
	s_and_b64 s[22:23], s[22:23], exec
	s_or_b64 s[22:23], s[26:27], s[22:23]
.LBB142_1025:
	s_or_b64 exec, exec, s[20:21]
	s_andn2_b64 s[18:19], s[18:19], exec
	s_and_b64 s[22:23], s[22:23], exec
	s_and_b64 s[26:27], s[28:29], exec
	;; [unrolled: 1-line block ×3, first 2 shown]
	s_or_b64 s[18:19], s[18:19], s[22:23]
.LBB142_1026:
	s_or_b64 exec, exec, s[16:17]
	s_andn2_b64 s[12:13], s[12:13], exec
	s_and_b64 s[18:19], s[18:19], exec
	s_and_b64 s[16:17], s[26:27], exec
	s_and_b64 s[20:21], s[20:21], exec
	s_or_b64 s[12:13], s[12:13], s[18:19]
.LBB142_1027:
	s_or_b64 exec, exec, s[14:15]
	s_andn2_b64 s[4:5], s[4:5], exec
	s_and_b64 s[12:13], s[12:13], exec
	s_and_b64 s[16:17], s[16:17], exec
	;; [unrolled: 1-line block ×3, first 2 shown]
	s_or_b64 s[4:5], s[4:5], s[12:13]
	s_or_b64 exec, exec, s[10:11]
	s_mov_b64 s[10:11], 0
	s_and_saveexec_b64 s[12:13], s[4:5]
	s_cbranch_execz .LBB142_301
.LBB142_1028:
	s_mov_b64 s[10:11], exec
	s_andn2_b64 s[14:15], s[14:15], exec
	s_trap 2
	s_or_b64 exec, exec, s[12:13]
	s_and_saveexec_b64 s[4:5], s[14:15]
	s_xor_b64 s[4:5], exec, s[4:5]
	s_cbranch_execnz .LBB142_302
.LBB142_1029:
	s_or_b64 exec, exec, s[4:5]
	s_and_saveexec_b64 s[4:5], s[16:17]
	s_xor_b64 s[4:5], exec, s[4:5]
	s_cbranch_execz .LBB142_1158
.LBB142_1030:
	s_sext_i32_i16 s14, s30
	s_cmp_lt_i32 s14, 5
	s_mov_b64 s[12:13], -1
	s_cbranch_scc1 .LBB142_1107
; %bb.1031:
	s_cmp_lt_i32 s14, 8
	s_cbranch_scc1 .LBB142_1069
; %bb.1032:
	s_cmp_lt_i32 s14, 9
	s_cbranch_scc1 .LBB142_1057
; %bb.1033:
	s_cmp_gt_i32 s14, 9
	s_cbranch_scc0 .LBB142_1045
; %bb.1034:
	s_cmpk_lt_i32 s31, 0x80
	s_cbranch_scc1 .LBB142_1038
; %bb.1035:
	s_and_b32 s12, 0xffff, s31
	s_cmpk_eq_i32 s12, 0x80
	s_mov_b64 s[12:13], -1
	s_cbranch_scc0 .LBB142_1037
; %bb.1036:
	s_mov_b64 s[12:13], 0
.LBB142_1037:
	s_mov_b64 s[14:15], 0
	s_branch .LBB142_1039
.LBB142_1038:
	s_mov_b64 s[14:15], -1
	s_mov_b64 s[12:13], 0
.LBB142_1039:
	s_and_b64 vcc, exec, s[14:15]
	s_cbranch_vccz .LBB142_1041
; %bb.1040:
	s_and_b32 s12, 0xffff, s31
	s_cmp_lg_u32 s12, 0
	s_mov_b64 s[14:15], 0
	s_cselect_b64 s[12:13], -1, 0
	s_branch .LBB142_1042
.LBB142_1041:
	s_mov_b32 s15, 0x7ff80000
	s_brev_b32 s14, 4
.LBB142_1042:
	v_mov_b32_e32 v0, s14
	s_andn2_b64 vcc, exec, s[12:13]
	v_mov_b32_e32 v1, s15
	s_cbranch_vccnz .LBB142_1044
; %bb.1043:
	v_mov_b32_e32 v0, v6
	v_mov_b32_e32 v1, v7
.LBB142_1044:
	v_mov_b32_e32 v2, 0
	v_mov_b32_e32 v3, v2
	global_store_dwordx4 v[10:11], v[0:3], off
	s_mov_b64 s[12:13], 0
.LBB142_1045:
	s_and_b64 vcc, exec, s[12:13]
	s_cbranch_vccz .LBB142_1056
; %bb.1046:
	s_cmpk_lt_i32 s31, 0x80
	s_cbranch_scc1 .LBB142_1050
; %bb.1047:
	s_and_b32 s12, 0xffff, s31
	s_cmpk_eq_i32 s12, 0x80
	s_mov_b64 s[12:13], -1
	s_cbranch_scc0 .LBB142_1049
; %bb.1048:
	s_mov_b64 s[12:13], 0
.LBB142_1049:
	s_mov_b64 s[14:15], 0
	s_branch .LBB142_1051
.LBB142_1050:
	s_mov_b64 s[14:15], -1
	s_mov_b64 s[12:13], 0
.LBB142_1051:
	s_mov_b32 s16, 0x7f800001
	s_and_b64 vcc, exec, s[14:15]
	s_cbranch_vccz .LBB142_1053
; %bb.1052:
	s_and_b32 s16, 0xffff, s31
	s_cmp_lg_u32 s16, 0
	s_cselect_b64 s[12:13], -1, 0
.LBB142_1053:
	s_andn2_b64 vcc, exec, s[12:13]
	s_cbranch_vccnz .LBB142_1055
; %bb.1054:
	s_mov_b32 s16, s33
.LBB142_1055:
	v_mov_b32_e32 v0, s16
	v_mov_b32_e32 v1, 0
	global_store_dwordx2 v[10:11], v[0:1], off
.LBB142_1056:
	s_mov_b64 s[12:13], 0
.LBB142_1057:
	s_andn2_b64 vcc, exec, s[12:13]
	s_cbranch_vccnz .LBB142_1068
; %bb.1058:
	s_cmpk_lt_i32 s31, 0x80
	s_cbranch_scc1 .LBB142_1062
; %bb.1059:
	s_and_b32 s12, 0xffff, s31
	s_cmpk_eq_i32 s12, 0x80
	s_mov_b64 s[12:13], -1
	s_cbranch_scc0 .LBB142_1061
; %bb.1060:
	s_mov_b64 s[12:13], 0
.LBB142_1061:
	s_mov_b64 s[14:15], 0
	s_branch .LBB142_1063
.LBB142_1062:
	s_mov_b64 s[14:15], -1
	s_mov_b64 s[12:13], 0
.LBB142_1063:
	s_movk_i32 s16, 0x7e00
	s_and_b64 vcc, exec, s[14:15]
	s_cbranch_vccz .LBB142_1065
; %bb.1064:
	s_and_b32 s16, 0xffff, s31
	s_cmp_lg_u32 s16, 0
	s_cselect_b64 s[12:13], -1, 0
.LBB142_1065:
	s_andn2_b64 vcc, exec, s[12:13]
	v_mov_b32_e32 v0, s16
	s_cbranch_vccnz .LBB142_1067
; %bb.1066:
	v_mov_b32_e32 v0, v13
.LBB142_1067:
	global_store_dword v[10:11], v0, off
.LBB142_1068:
	s_mov_b64 s[12:13], 0
.LBB142_1069:
	s_andn2_b64 vcc, exec, s[12:13]
	s_cbranch_vccnz .LBB142_1106
; %bb.1070:
	s_sext_i32_i16 s14, s30
	s_cmp_lt_i32 s14, 6
	s_mov_b64 s[12:13], -1
	s_cbranch_scc1 .LBB142_1095
; %bb.1071:
	s_cmp_gt_i32 s14, 6
	s_cbranch_scc0 .LBB142_1083
; %bb.1072:
	s_cmpk_lt_i32 s31, 0x80
	s_cbranch_scc1 .LBB142_1076
; %bb.1073:
	s_and_b32 s12, 0xffff, s31
	s_cmpk_eq_i32 s12, 0x80
	s_mov_b64 s[12:13], -1
	s_cbranch_scc0 .LBB142_1075
; %bb.1074:
	s_mov_b64 s[12:13], 0
.LBB142_1075:
	s_mov_b64 s[14:15], 0
	s_branch .LBB142_1077
.LBB142_1076:
	s_mov_b64 s[14:15], -1
	s_mov_b64 s[12:13], 0
.LBB142_1077:
	s_and_b64 vcc, exec, s[14:15]
	s_cbranch_vccz .LBB142_1079
; %bb.1078:
	s_and_b32 s12, 0xffff, s31
	s_cmp_lg_u32 s12, 0
	s_mov_b64 s[14:15], 0
	s_cselect_b64 s[12:13], -1, 0
	s_branch .LBB142_1080
.LBB142_1079:
	s_mov_b32 s15, 0x7ff80000
	s_brev_b32 s14, 4
.LBB142_1080:
	v_mov_b32_e32 v0, s14
	s_andn2_b64 vcc, exec, s[12:13]
	v_mov_b32_e32 v1, s15
	s_cbranch_vccnz .LBB142_1082
; %bb.1081:
	v_mov_b32_e32 v0, v6
	v_mov_b32_e32 v1, v7
.LBB142_1082:
	global_store_dwordx2 v[10:11], v[0:1], off
	s_mov_b64 s[12:13], 0
.LBB142_1083:
	s_and_b64 vcc, exec, s[12:13]
	s_cbranch_vccz .LBB142_1094
; %bb.1084:
	s_cmpk_lt_i32 s31, 0x80
	s_cbranch_scc1 .LBB142_1088
; %bb.1085:
	s_and_b32 s12, 0xffff, s31
	s_cmpk_eq_i32 s12, 0x80
	s_mov_b64 s[12:13], -1
	s_cbranch_scc0 .LBB142_1087
; %bb.1086:
	s_mov_b64 s[12:13], 0
.LBB142_1087:
	s_mov_b64 s[14:15], 0
	s_branch .LBB142_1089
.LBB142_1088:
	s_mov_b64 s[14:15], -1
	s_mov_b64 s[12:13], 0
.LBB142_1089:
	s_mov_b32 s16, 0x7f800001
	s_and_b64 vcc, exec, s[14:15]
	s_cbranch_vccz .LBB142_1091
; %bb.1090:
	s_and_b32 s12, 0xffff, s31
	s_cmp_lg_u32 s12, 0
	s_mov_b32 s16, 0
	s_cselect_b64 s[12:13], -1, 0
.LBB142_1091:
	s_andn2_b64 vcc, exec, s[12:13]
	s_cbranch_vccnz .LBB142_1093
; %bb.1092:
	s_mov_b32 s16, s33
.LBB142_1093:
	v_mov_b32_e32 v0, s16
	global_store_dword v[10:11], v0, off
.LBB142_1094:
	s_mov_b64 s[12:13], 0
.LBB142_1095:
	s_andn2_b64 vcc, exec, s[12:13]
	s_cbranch_vccnz .LBB142_1106
; %bb.1096:
	s_cmpk_lt_i32 s31, 0x80
	s_cbranch_scc1 .LBB142_1100
; %bb.1097:
	s_and_b32 s12, 0xffff, s31
	s_cmpk_eq_i32 s12, 0x80
	s_mov_b64 s[12:13], -1
	s_cbranch_scc0 .LBB142_1099
; %bb.1098:
	s_mov_b64 s[12:13], 0
.LBB142_1099:
	s_mov_b64 s[14:15], 0
	s_branch .LBB142_1101
.LBB142_1100:
	s_mov_b64 s[14:15], -1
	s_mov_b64 s[12:13], 0
.LBB142_1101:
	s_movk_i32 s16, 0x7e00
	s_and_b64 vcc, exec, s[14:15]
	s_cbranch_vccz .LBB142_1103
; %bb.1102:
	s_and_b32 s12, 0xffff, s31
	s_cmp_lg_u32 s12, 0
	s_cselect_b64 s[12:13], -1, 0
	s_mov_b32 s16, s31
.LBB142_1103:
	s_andn2_b64 vcc, exec, s[12:13]
	v_mov_b32_e32 v0, s16
	s_cbranch_vccnz .LBB142_1105
; %bb.1104:
	v_mov_b32_e32 v0, v13
.LBB142_1105:
	global_store_short v[10:11], v0, off
.LBB142_1106:
	s_mov_b64 s[12:13], 0
.LBB142_1107:
	s_andn2_b64 vcc, exec, s[12:13]
	s_cbranch_vccnz .LBB142_1158
; %bb.1108:
	s_sext_i32_i16 s14, s30
	s_cmp_lt_i32 s14, 2
	s_mov_b64 s[12:13], -1
	s_cbranch_scc1 .LBB142_1139
; %bb.1109:
	s_cmp_lt_i32 s14, 3
	s_cbranch_scc1 .LBB142_1129
; %bb.1110:
	s_cmp_gt_i32 s14, 3
	s_cbranch_scc0 .LBB142_1119
; %bb.1111:
	s_cmpk_lt_i32 s31, 0x80
	s_cbranch_scc1 .LBB142_1113
; %bb.1112:
	s_and_b32 s12, 0xffff, s31
	s_cmpk_lg_i32 s12, 0x80
	s_mov_b64 s[14:15], 0
	s_cselect_b64 s[12:13], -1, 0
	s_branch .LBB142_1114
.LBB142_1113:
	s_mov_b64 s[14:15], -1
	s_mov_b64 s[12:13], 0
.LBB142_1114:
	s_andn2_b64 vcc, exec, s[14:15]
	s_cbranch_vccnz .LBB142_1116
; %bb.1115:
	s_and_b32 s12, 0xffff, s31
	s_cmp_lg_u32 s12, 0
	s_cselect_b64 s[12:13], -1, 0
.LBB142_1116:
	v_mov_b32_e32 v0, 0
	s_andn2_b64 vcc, exec, s[12:13]
	v_mov_b32_e32 v1, 0
	s_cbranch_vccnz .LBB142_1118
; %bb.1117:
	v_mov_b32_e32 v0, v4
	v_mov_b32_e32 v1, v5
.LBB142_1118:
	global_store_dwordx2 v[10:11], v[0:1], off
	s_mov_b64 s[12:13], 0
.LBB142_1119:
	s_and_b64 vcc, exec, s[12:13]
	s_cbranch_vccz .LBB142_1128
; %bb.1120:
	s_cmpk_lt_i32 s31, 0x80
	s_cbranch_scc1 .LBB142_1122
; %bb.1121:
	s_and_b32 s12, 0xffff, s31
	s_cmpk_lg_i32 s12, 0x80
	s_mov_b64 s[14:15], 0
	s_cselect_b64 s[12:13], -1, 0
	s_branch .LBB142_1123
.LBB142_1122:
	s_mov_b64 s[14:15], -1
	s_mov_b64 s[12:13], 0
.LBB142_1123:
	s_andn2_b64 vcc, exec, s[14:15]
	s_cbranch_vccnz .LBB142_1125
; %bb.1124:
	s_and_b32 s12, 0xffff, s31
	s_cmp_lg_u32 s12, 0
	s_cselect_b64 s[12:13], -1, 0
.LBB142_1125:
	s_andn2_b64 vcc, exec, s[12:13]
	v_mov_b32_e32 v0, 0
	s_cbranch_vccnz .LBB142_1127
; %bb.1126:
	v_mov_b32_e32 v0, v12
.LBB142_1127:
	global_store_dword v[10:11], v0, off
.LBB142_1128:
	s_mov_b64 s[12:13], 0
.LBB142_1129:
	s_andn2_b64 vcc, exec, s[12:13]
	s_cbranch_vccnz .LBB142_1138
; %bb.1130:
	s_cmpk_lt_i32 s31, 0x80
	s_cbranch_scc1 .LBB142_1132
; %bb.1131:
	s_and_b32 s12, 0xffff, s31
	s_cmpk_lg_i32 s12, 0x80
	s_mov_b64 s[14:15], 0
	s_cselect_b64 s[12:13], -1, 0
	s_branch .LBB142_1133
.LBB142_1132:
	s_mov_b64 s[14:15], -1
	s_mov_b64 s[12:13], 0
.LBB142_1133:
	s_andn2_b64 vcc, exec, s[14:15]
	s_cbranch_vccnz .LBB142_1135
; %bb.1134:
	s_and_b32 s12, 0xffff, s31
	s_cmp_lg_u32 s12, 0
	s_cselect_b64 s[12:13], -1, 0
.LBB142_1135:
	s_andn2_b64 vcc, exec, s[12:13]
	v_mov_b32_e32 v0, 0
	s_cbranch_vccnz .LBB142_1137
; %bb.1136:
	v_mov_b32_e32 v0, v12
.LBB142_1137:
	global_store_short v[10:11], v0, off
.LBB142_1138:
	s_mov_b64 s[12:13], 0
.LBB142_1139:
	s_andn2_b64 vcc, exec, s[12:13]
	s_cbranch_vccnz .LBB142_1158
; %bb.1140:
	s_sext_i32_i16 s12, s30
	s_cmp_gt_i32 s12, 0
	s_mov_b64 s[12:13], -1
	s_cbranch_scc0 .LBB142_1149
; %bb.1141:
	s_cmpk_lt_i32 s31, 0x80
	s_cbranch_scc1 .LBB142_1143
; %bb.1142:
	s_and_b32 s12, 0xffff, s31
	s_cmpk_lg_i32 s12, 0x80
	s_mov_b64 s[14:15], 0
	s_cselect_b64 s[12:13], -1, 0
	s_branch .LBB142_1144
.LBB142_1143:
	s_mov_b64 s[14:15], -1
	s_mov_b64 s[12:13], 0
.LBB142_1144:
	s_andn2_b64 vcc, exec, s[14:15]
	s_cbranch_vccnz .LBB142_1146
; %bb.1145:
	s_and_b32 s12, 0xffff, s31
	s_cmp_lg_u32 s12, 0
	s_cselect_b64 s[12:13], -1, 0
.LBB142_1146:
	s_andn2_b64 vcc, exec, s[12:13]
	v_mov_b32_e32 v0, 0
	s_cbranch_vccnz .LBB142_1148
; %bb.1147:
	v_mov_b32_e32 v0, v12
.LBB142_1148:
	global_store_byte v[10:11], v0, off
	s_mov_b64 s[12:13], 0
.LBB142_1149:
	s_and_b64 vcc, exec, s[12:13]
	s_cbranch_vccz .LBB142_1158
; %bb.1150:
	s_cmpk_lt_i32 s31, 0x80
	s_cbranch_scc1 .LBB142_1152
; %bb.1151:
	s_and_b32 s12, 0xffff, s31
	s_cmpk_lg_i32 s12, 0x80
	s_mov_b64 s[14:15], 0
	s_cselect_b64 s[12:13], -1, 0
	s_branch .LBB142_1153
.LBB142_1152:
	s_mov_b64 s[14:15], -1
	s_mov_b64 s[12:13], 0
.LBB142_1153:
	s_andn2_b64 vcc, exec, s[14:15]
	s_cbranch_vccnz .LBB142_1155
; %bb.1154:
	s_and_b32 s12, 0xffff, s31
	s_cmp_lg_u32 s12, 0
	s_cselect_b64 s[12:13], -1, 0
.LBB142_1155:
	s_andn2_b64 vcc, exec, s[12:13]
	v_mov_b32_e32 v0, 0
	s_cbranch_vccnz .LBB142_1157
; %bb.1156:
	v_mov_b32_e32 v0, v4
.LBB142_1157:
	global_store_byte v[10:11], v0, off
.LBB142_1158:
	s_or_b64 exec, exec, s[4:5]
	s_and_b64 s[4:5], s[10:11], exec
                                        ; implicit-def: $vgpr16
.LBB142_1159:
	s_or_saveexec_b64 s[6:7], s[6:7]
	s_mov_b64 s[12:13], 0
                                        ; implicit-def: $vgpr4_vgpr5
	s_xor_b64 exec, exec, s[6:7]
	s_cbranch_execz .LBB142_2022
; %bb.1160:
	v_mul_lo_u32 v6, s2, v16
	v_mov_b32_e32 v0, s1
	s_and_b32 s18, 0xffff, s30
	s_cmp_lt_i32 s18, 11
	v_ashrrev_i32_e32 v1, 31, v6
	v_add_co_u32_e32 v4, vcc, s0, v6
	v_addc_co_u32_e32 v5, vcc, v0, v1, vcc
	s_cbranch_scc1 .LBB142_1169
; %bb.1161:
	s_mov_b64 s[10:11], -1
	s_cmp_gt_i32 s18, 25
	s_mov_b64 s[14:15], 0
	s_cbranch_scc0 .LBB142_1228
; %bb.1162:
	s_cmp_gt_i32 s18, 28
	s_cbranch_scc0 .LBB142_1203
; %bb.1163:
	s_cmp_gt_i32 s18, 43
	s_cbranch_scc0 .LBB142_1190
; %bb.1164:
	s_cmp_gt_i32 s18, 45
	s_cbranch_scc0 .LBB142_1177
; %bb.1165:
	s_mov_b64 s[8:9], -1
	s_mov_b64 s[10:11], 0
	s_cmp_eq_u32 s18, 46
	s_cbranch_scc0 .LBB142_1177
; %bb.1166:
	s_and_b32 s16, s3, 0xff
	s_cmpk_lt_i32 s16, 0x80
	s_cbranch_scc1 .LBB142_1173
; %bb.1167:
	s_and_b32 s8, 0xffff, s16
	s_cmpk_eq_i32 s8, 0x80
	s_mov_b64 s[8:9], -1
	s_cbranch_scc0 .LBB142_1171
; %bb.1168:
	s_mov_b64 s[8:9], 0
	s_mov_b32 s17, 0x7f800001
	s_and_b64 vcc, exec, s[14:15]
	s_cbranch_vccz .LBB142_1174
	s_branch .LBB142_1172
.LBB142_1169:
	s_mov_b64 s[14:15], 0
	s_mov_b64 s[10:11], s[4:5]
	s_cbranch_execnz .LBB142_1313
.LBB142_1170:
	s_andn2_b64 vcc, exec, s[14:15]
	s_cbranch_vccz .LBB142_1443
	s_branch .LBB142_2020
.LBB142_1171:
	s_mov_b32 s17, 0x7f800001
	s_and_b64 vcc, exec, s[14:15]
	s_cbranch_vccz .LBB142_1174
.LBB142_1172:
	s_and_b32 s8, 0xffff, s16
	s_cmp_lg_u32 s8, 0
	s_mov_b32 s17, 0
	s_cselect_b64 s[8:9], -1, 0
	s_andn2_b64 vcc, exec, s[8:9]
	s_cbranch_vccz .LBB142_1175
	s_branch .LBB142_1176
.LBB142_1173:
	s_mov_b64 s[8:9], 0
	s_mov_b32 s17, 0x7f800001
	s_cbranch_execnz .LBB142_1172
.LBB142_1174:
	s_andn2_b64 vcc, exec, s[8:9]
	s_cbranch_vccnz .LBB142_1176
.LBB142_1175:
	s_and_b32 s9, s3, 7
	s_flbit_i32_b32 s15, s9
	s_min_u32 s15, s15, 32
	s_sub_i32 s16, s15, 28
	s_lshl_b32 s16, s3, s16
	s_lshl_b32 s8, s3, 24
	s_bfe_u32 s14, s3, 0x40003
	s_sub_i32 s15, 29, s15
	s_and_b32 s16, s16, 7
	s_cmp_eq_u32 s14, 0
	s_cselect_b32 s14, s15, s14
	s_cselect_b32 s9, s16, s9
	s_lshl_b32 s14, s14, 23
	s_and_b32 s8, s8, 0x80000000
	s_add_i32 s14, s14, 0x3b800000
	s_lshl_b32 s9, s9, 20
	s_or_b32 s8, s8, s14
	s_or_b32 s17, s8, s9
.LBB142_1176:
	s_bfe_u32 s8, s17, 0x10010
	s_add_i32 s8, s17, s8
	s_addk_i32 s8, 0x7fff
	s_lshr_b32 s14, s8, 16
	v_cmp_o_f32_e64 s[8:9], s17, s17
	s_and_b64 s[8:9], s[8:9], exec
	s_cselect_b32 s8, s14, 0x7fc0
	v_mov_b32_e32 v0, s8
	s_mov_b64 s[8:9], 0
	s_mov_b64 s[14:15], -1
	global_store_dword v[4:5], v0, off
.LBB142_1177:
	s_and_b64 vcc, exec, s[10:11]
	s_cbranch_vccz .LBB142_1189
; %bb.1178:
	s_cmp_eq_u32 s18, 44
	s_mov_b64 s[8:9], -1
	s_cbranch_scc0 .LBB142_1189
; %bb.1179:
	s_and_b32 s14, s3, 0xff
	s_cmpk_lt_i32 s14, 0x80
	s_cbranch_scc1 .LBB142_1183
; %bb.1180:
	s_and_b32 s8, 0xffff, s14
	s_cmpk_eq_i32 s8, 0x80
	s_mov_b64 s[8:9], -1
	s_cbranch_scc0 .LBB142_1182
; %bb.1181:
	s_mov_b64 s[8:9], 0
.LBB142_1182:
	s_mov_b64 s[10:11], 0
	s_branch .LBB142_1184
.LBB142_1183:
	s_mov_b64 s[10:11], -1
	s_mov_b64 s[8:9], 0
.LBB142_1184:
	s_mov_b32 s15, 0x7f800001
	s_and_b64 vcc, exec, s[10:11]
	s_cbranch_vccz .LBB142_1194
; %bb.1185:
	s_and_b32 s15, 0xffff, s14
	s_cmp_lg_u32 s15, 0
	s_cselect_b64 s[8:9], -1, 0
	s_andn2_b64 vcc, exec, s[8:9]
	s_cbranch_vccz .LBB142_1195
.LBB142_1186:
	s_lshr_b32 s8, s15, 23
	s_cmpk_eq_i32 s8, 0xff
	v_mov_b32_e32 v0, 0xff
	s_cbranch_scc1 .LBB142_1188
.LBB142_1187:
	s_bitcmp1_b32 s15, 22
	s_cselect_b64 s[10:11], -1, 0
	s_and_b32 s9, s15, 0x3fffff
	s_or_b32 s9, s8, s9
	s_cmp_lg_u32 s9, 0
	s_cselect_b64 s[14:15], -1, 0
	s_and_b64 s[10:11], s[10:11], s[14:15]
	v_cndmask_b32_e64 v0, 0, 1, s[10:11]
	v_add_u32_e32 v0, s8, v0
.LBB142_1188:
	s_mov_b64 s[8:9], 0
	s_mov_b64 s[14:15], -1
	global_store_byte v[4:5], v0, off
.LBB142_1189:
	s_mov_b64 s[10:11], 0
.LBB142_1190:
	s_and_b64 vcc, exec, s[10:11]
	s_cbranch_vccz .LBB142_1202
; %bb.1191:
	s_cmp_eq_u32 s18, 29
	s_mov_b64 s[8:9], -1
	s_cbranch_scc0 .LBB142_1202
; %bb.1192:
	s_and_b32 s14, s3, 0xff
	s_cmpk_lt_i32 s14, 0x80
	s_cbranch_scc1 .LBB142_1196
; %bb.1193:
	s_and_b32 s8, 0xffff, s14
	s_cmpk_lg_i32 s8, 0x80
	s_mov_b64 s[10:11], 0
	s_cselect_b64 s[8:9], -1, 0
	s_branch .LBB142_1197
.LBB142_1194:
	s_andn2_b64 vcc, exec, s[8:9]
	s_cbranch_vccnz .LBB142_1186
.LBB142_1195:
	s_and_b32 s8, s3, 7
	s_flbit_i32_b32 s10, s8
	s_min_u32 s10, s10, 32
	s_sub_i32 s11, s10, 28
	s_lshl_b32 s11, s3, s11
	s_bfe_u32 s9, s3, 0x40003
	s_sub_i32 s10, 29, s10
	s_and_b32 s11, s11, 7
	s_cmp_eq_u32 s9, 0
	s_cselect_b32 s9, s10, s9
	s_cselect_b32 s8, s11, s8
	s_lshl_b32 s8, s8, 20
	s_lshl_b32 s9, s9, 23
	s_or_b32 s8, s9, s8
	s_add_i32 s15, s8, 0x3b800000
	s_lshr_b32 s8, s15, 23
	s_cmpk_eq_i32 s8, 0xff
	v_mov_b32_e32 v0, 0xff
	s_cbranch_scc0 .LBB142_1187
	s_branch .LBB142_1188
.LBB142_1196:
	s_mov_b64 s[10:11], -1
	s_mov_b64 s[8:9], 0
.LBB142_1197:
	s_andn2_b64 vcc, exec, s[10:11]
	s_cbranch_vccnz .LBB142_1199
; %bb.1198:
	s_and_b32 s8, 0xffff, s14
	s_cmp_lg_u32 s8, 0
	s_cselect_b64 s[8:9], -1, 0
.LBB142_1199:
	v_mov_b32_e32 v0, 0
	s_andn2_b64 vcc, exec, s[8:9]
	v_mov_b32_e32 v1, 0
	s_cbranch_vccnz .LBB142_1201
; %bb.1200:
	s_and_b32 s9, s3, 7
	s_flbit_i32_b32 s11, s9
	s_min_u32 s11, s11, 32
	s_sub_i32 s14, s11, 28
	s_lshl_b32 s14, s3, s14
	s_lshl_b32 s8, s3, 24
	s_bfe_u32 s10, s3, 0x40003
	s_sub_i32 s11, 29, s11
	s_and_b32 s14, s14, 7
	s_cmp_eq_u32 s10, 0
	s_cselect_b32 s10, s11, s10
	s_cselect_b32 s9, s14, s9
	s_lshl_b32 s10, s10, 23
	s_and_b32 s8, s8, 0x80000000
	s_add_i32 s10, s10, 0x3b800000
	s_lshl_b32 s9, s9, 20
	s_or_b32 s8, s8, s10
	s_or_b32 s8, s8, s9
	v_trunc_f32_e32 v0, s8
	v_mul_f32_e32 v1, 0x2f800000, v0
	v_floor_f32_e32 v1, v1
	v_fmac_f32_e32 v0, 0xcf800000, v1
	v_cvt_u32_f32_e32 v0, v0
	v_cvt_u32_f32_e32 v1, v1
.LBB142_1201:
	global_store_dwordx2 v[4:5], v[0:1], off
	s_mov_b64 s[8:9], 0
	s_mov_b64 s[14:15], -1
.LBB142_1202:
	s_mov_b64 s[10:11], 0
.LBB142_1203:
	s_and_b64 vcc, exec, s[10:11]
	s_cbranch_vccz .LBB142_1227
; %bb.1204:
	s_cmp_lt_i32 s18, 27
	s_mov_b64 s[10:11], -1
	s_cbranch_scc1 .LBB142_1224
; %bb.1205:
	s_cmp_gt_i32 s18, 27
	s_cbranch_scc0 .LBB142_1214
; %bb.1206:
	s_and_b32 s16, s3, 0xff
	s_cmpk_lt_i32 s16, 0x80
	s_cbranch_scc1 .LBB142_1208
; %bb.1207:
	s_and_b32 s10, 0xffff, s16
	s_cmpk_lg_i32 s10, 0x80
	s_mov_b64 s[14:15], 0
	s_cselect_b64 s[10:11], -1, 0
	s_branch .LBB142_1209
.LBB142_1208:
	s_mov_b64 s[14:15], -1
	s_mov_b64 s[10:11], 0
.LBB142_1209:
	s_andn2_b64 vcc, exec, s[14:15]
	s_cbranch_vccnz .LBB142_1211
; %bb.1210:
	s_and_b32 s10, 0xffff, s16
	s_cmp_lg_u32 s10, 0
	s_cselect_b64 s[10:11], -1, 0
.LBB142_1211:
	s_andn2_b64 vcc, exec, s[10:11]
	v_mov_b32_e32 v0, 0
	s_cbranch_vccnz .LBB142_1213
; %bb.1212:
	s_and_b32 s11, s3, 7
	s_flbit_i32_b32 s15, s11
	s_min_u32 s15, s15, 32
	s_sub_i32 s16, s15, 28
	s_lshl_b32 s16, s3, s16
	s_lshl_b32 s10, s3, 24
	s_bfe_u32 s14, s3, 0x40003
	s_sub_i32 s15, 29, s15
	s_and_b32 s16, s16, 7
	s_cmp_eq_u32 s14, 0
	s_cselect_b32 s14, s15, s14
	s_cselect_b32 s11, s16, s11
	s_lshl_b32 s14, s14, 23
	s_and_b32 s10, s10, 0x80000000
	s_add_i32 s14, s14, 0x3b800000
	s_lshl_b32 s11, s11, 20
	s_or_b32 s10, s10, s14
	s_or_b32 s10, s10, s11
	v_cvt_u32_f32_e32 v0, s10
.LBB142_1213:
	global_store_dword v[4:5], v0, off
	s_mov_b64 s[10:11], 0
.LBB142_1214:
	s_and_b64 vcc, exec, s[10:11]
	s_cbranch_vccz .LBB142_1223
; %bb.1215:
	s_and_b32 s16, s3, 0xff
	s_cmpk_lt_i32 s16, 0x80
	s_cbranch_scc1 .LBB142_1217
; %bb.1216:
	s_and_b32 s10, 0xffff, s16
	s_cmpk_lg_i32 s10, 0x80
	s_mov_b64 s[14:15], 0
	s_cselect_b64 s[10:11], -1, 0
	s_branch .LBB142_1218
.LBB142_1217:
	s_mov_b64 s[14:15], -1
	s_mov_b64 s[10:11], 0
.LBB142_1218:
	s_andn2_b64 vcc, exec, s[14:15]
	s_cbranch_vccnz .LBB142_1220
; %bb.1219:
	s_and_b32 s10, 0xffff, s16
	s_cmp_lg_u32 s10, 0
	s_cselect_b64 s[10:11], -1, 0
.LBB142_1220:
	s_andn2_b64 vcc, exec, s[10:11]
	v_mov_b32_e32 v0, 0
	s_cbranch_vccnz .LBB142_1222
; %bb.1221:
	s_and_b32 s11, s3, 7
	s_flbit_i32_b32 s15, s11
	s_min_u32 s15, s15, 32
	s_sub_i32 s16, s15, 28
	s_lshl_b32 s16, s3, s16
	s_lshl_b32 s10, s3, 24
	s_bfe_u32 s14, s3, 0x40003
	s_sub_i32 s15, 29, s15
	s_and_b32 s16, s16, 7
	s_cmp_eq_u32 s14, 0
	s_cselect_b32 s14, s15, s14
	s_cselect_b32 s11, s16, s11
	s_lshl_b32 s14, s14, 23
	s_and_b32 s10, s10, 0x80000000
	s_add_i32 s14, s14, 0x3b800000
	s_lshl_b32 s11, s11, 20
	s_or_b32 s10, s10, s14
	s_or_b32 s10, s10, s11
	v_cvt_u32_f32_e32 v0, s10
.LBB142_1222:
	global_store_short v[4:5], v0, off
.LBB142_1223:
	s_mov_b64 s[10:11], 0
.LBB142_1224:
	s_andn2_b64 vcc, exec, s[10:11]
	s_cbranch_vccnz .LBB142_1226
; %bb.1225:
	v_mov_b32_e32 v0, s3
	global_store_byte v[4:5], v0, off
.LBB142_1226:
	s_mov_b64 s[14:15], -1
.LBB142_1227:
	s_mov_b64 s[10:11], 0
.LBB142_1228:
	s_and_b64 vcc, exec, s[10:11]
	s_cbranch_vccz .LBB142_1309
; %bb.1229:
	s_cmp_gt_i32 s18, 22
	s_mov_b64 s[10:11], -1
	s_cbranch_scc0 .LBB142_1293
; %bb.1230:
	s_cmp_lt_i32 s18, 24
	s_cbranch_scc1 .LBB142_1271
; %bb.1231:
	s_cmp_gt_i32 s18, 24
	s_cbranch_scc0 .LBB142_1249
; %bb.1232:
	s_and_b32 s15, s3, 0xff
	s_cmpk_lt_i32 s15, 0x80
	s_cbranch_scc1 .LBB142_1238
; %bb.1233:
	s_and_b32 s10, 0xffff, s15
	s_cmpk_eq_i32 s10, 0x80
	s_mov_b64 s[10:11], -1
	s_cbranch_scc0 .LBB142_1235
; %bb.1234:
	s_mov_b64 s[10:11], 0
	s_mov_b32 s14, 0x7f800001
	s_and_b64 vcc, exec, s[12:13]
	s_cbranch_vccz .LBB142_1239
	s_branch .LBB142_1236
.LBB142_1235:
	s_mov_b32 s14, 0x7f800001
	s_and_b64 vcc, exec, s[12:13]
	s_cbranch_vccz .LBB142_1239
.LBB142_1236:
	s_and_b32 s10, 0xffff, s15
	s_cmp_lg_u32 s10, 0
	s_mov_b32 s14, 0
	s_cselect_b64 s[10:11], -1, 0
	s_andn2_b64 vcc, exec, s[10:11]
	s_cbranch_vccz .LBB142_1240
.LBB142_1237:
	s_and_b32 s10, s14, 0x7fffffff
	s_cmp_gt_u32 s10, 0x477fffff
	v_mov_b32_e32 v1, 0x80
	s_cbranch_scc0 .LBB142_1241
	s_branch .LBB142_1248
.LBB142_1238:
	s_mov_b64 s[10:11], 0
	s_mov_b32 s14, 0x7f800001
	s_cbranch_execnz .LBB142_1236
.LBB142_1239:
	s_andn2_b64 vcc, exec, s[10:11]
	s_cbranch_vccnz .LBB142_1237
.LBB142_1240:
	s_and_b32 s11, s3, 7
	s_flbit_i32_b32 s13, s11
	s_min_u32 s13, s13, 32
	s_sub_i32 s14, s13, 28
	s_lshl_b32 s14, s3, s14
	s_lshl_b32 s10, s3, 24
	s_bfe_u32 s12, s3, 0x40003
	s_sub_i32 s13, 29, s13
	s_and_b32 s14, s14, 7
	s_cmp_eq_u32 s12, 0
	s_cselect_b32 s12, s13, s12
	s_cselect_b32 s11, s14, s11
	s_lshl_b32 s12, s12, 23
	s_and_b32 s10, s10, 0x80000000
	s_add_i32 s12, s12, 0x3b800000
	s_lshl_b32 s11, s11, 20
	s_or_b32 s10, s10, s12
	s_or_b32 s14, s10, s11
	s_and_b32 s10, s14, 0x7fffffff
	s_cmp_gt_u32 s10, 0x477fffff
	v_mov_b32_e32 v1, 0x80
	s_cbranch_scc1 .LBB142_1248
.LBB142_1241:
	s_cmp_gt_u32 s10, 0x37ffffff
	s_cbranch_scc0 .LBB142_1243
; %bb.1242:
	s_bfe_u32 s10, s14, 0x10015
	s_add_i32 s10, s14, s10
	s_add_i32 s10, s10, 0x88fffff
	s_lshr_b32 s15, s10, 21
	s_mov_b64 s[12:13], 0
	s_mov_b64 s[10:11], -1
	s_branch .LBB142_1244
.LBB142_1243:
	s_mov_b64 s[12:13], -1
	s_mov_b64 s[10:11], 0
                                        ; implicit-def: $sgpr15
.LBB142_1244:
	s_andn2_b64 vcc, exec, s[12:13]
	v_mov_b32_e32 v0, s15
	s_cbranch_vccnz .LBB142_1246
; %bb.1245:
	v_mov_b32_e32 v0, 0x42800000
	v_add_f32_e64 v0, |s14|, v0
	v_and_b32_e32 v0, 0xff, v0
	v_cmp_ne_u32_e64 s[10:11], 0, v0
.LBB142_1246:
	s_andn2_b64 vcc, exec, s[10:11]
	v_mov_b32_e32 v1, 0
	s_cbranch_vccnz .LBB142_1248
; %bb.1247:
	s_lshr_b32 s10, s14, 24
	s_and_b32 s10, s10, 0x80
	v_or_b32_e32 v1, s10, v0
.LBB142_1248:
	global_store_byte v[4:5], v1, off
	s_mov_b64 s[10:11], 0
.LBB142_1249:
	s_and_b64 vcc, exec, s[10:11]
	s_cbranch_vccz .LBB142_1270
; %bb.1250:
	s_and_b32 s15, s3, 0xff
	s_cmpk_lt_i32 s15, 0x80
	s_cbranch_scc1 .LBB142_1254
; %bb.1251:
	s_and_b32 s10, 0xffff, s15
	s_cmpk_eq_i32 s10, 0x80
	s_mov_b64 s[10:11], -1
	s_cbranch_scc0 .LBB142_1253
; %bb.1252:
	s_mov_b64 s[10:11], 0
.LBB142_1253:
	s_mov_b64 s[12:13], 0
	s_branch .LBB142_1255
.LBB142_1254:
	s_mov_b64 s[12:13], -1
	s_mov_b64 s[10:11], 0
.LBB142_1255:
	s_mov_b32 s14, 0x7f800001
	s_and_b64 vcc, exec, s[12:13]
	s_cbranch_vccz .LBB142_1260
; %bb.1256:
	s_and_b32 s10, 0xffff, s15
	s_cmp_lg_u32 s10, 0
	s_mov_b32 s14, 0
	s_cselect_b64 s[10:11], -1, 0
	s_andn2_b64 vcc, exec, s[10:11]
	s_cbranch_vccz .LBB142_1261
.LBB142_1257:
	s_and_b32 s12, s14, 0x7fffffff
	s_cmp_lt_u32 s12, 0x43f00000
	s_cbranch_scc0 .LBB142_1262
.LBB142_1258:
	s_cmp_gt_u32 s12, 0x3c7fffff
	s_cbranch_scc0 .LBB142_1263
; %bb.1259:
	s_bfe_u32 s10, s14, 0x10014
	s_add_i32 s10, s14, s10
	s_add_i32 s10, s10, 0x407ffff
	s_lshr_b32 s11, s10, 20
	s_and_b32 s10, s10, 0xff00000
	s_cmp_lg_u32 s10, 0x7f00000
	s_cselect_b32 s13, s11, 0x7e
	s_mov_b64 s[10:11], 0
	s_branch .LBB142_1264
.LBB142_1260:
	s_andn2_b64 vcc, exec, s[10:11]
	s_cbranch_vccnz .LBB142_1257
.LBB142_1261:
	s_and_b32 s11, s3, 7
	s_flbit_i32_b32 s13, s11
	s_min_u32 s13, s13, 32
	s_sub_i32 s14, s13, 28
	s_lshl_b32 s14, s3, s14
	s_lshl_b32 s10, s3, 24
	s_bfe_u32 s12, s3, 0x40003
	s_sub_i32 s13, 29, s13
	s_and_b32 s14, s14, 7
	s_cmp_eq_u32 s12, 0
	s_cselect_b32 s12, s13, s12
	s_cselect_b32 s11, s14, s11
	s_lshl_b32 s12, s12, 23
	s_and_b32 s10, s10, 0x80000000
	s_add_i32 s12, s12, 0x3b800000
	s_lshl_b32 s11, s11, 20
	s_or_b32 s10, s10, s12
	s_or_b32 s14, s10, s11
	s_and_b32 s12, s14, 0x7fffffff
	s_cmp_lt_u32 s12, 0x43f00000
	s_cbranch_scc1 .LBB142_1258
.LBB142_1262:
	s_mov_b64 s[10:11], -1
                                        ; implicit-def: $vgpr0
	s_branch .LBB142_1267
.LBB142_1263:
	s_mov_b64 s[10:11], -1
                                        ; implicit-def: $sgpr13
.LBB142_1264:
	s_andn2_b64 vcc, exec, s[10:11]
	v_mov_b32_e32 v0, s13
	s_cbranch_vccnz .LBB142_1266
; %bb.1265:
	v_mov_b32_e32 v0, 0x46800000
	v_add_f32_e64 v0, |s14|, v0
.LBB142_1266:
	s_mov_b64 s[10:11], 0
.LBB142_1267:
	s_andn2_b64 vcc, exec, s[10:11]
	s_cbranch_vccnz .LBB142_1269
; %bb.1268:
	s_cmp_gt_u32 s12, 0x7f800000
	s_movk_i32 s10, 0x7f
	s_cselect_b32 s10, s10, 0x7e
	v_mov_b32_e32 v0, s10
.LBB142_1269:
	s_lshr_b32 s10, s14, 24
	s_and_b32 s10, s10, 0x80
	v_or_b32_e32 v0, s10, v0
	global_store_byte v[4:5], v0, off
.LBB142_1270:
	s_mov_b64 s[10:11], 0
.LBB142_1271:
	s_andn2_b64 vcc, exec, s[10:11]
	s_cbranch_vccnz .LBB142_1292
; %bb.1272:
	s_and_b32 s15, s3, 0xff
	s_cmpk_lt_i32 s15, 0x80
	s_cbranch_scc1 .LBB142_1276
; %bb.1273:
	s_and_b32 s10, 0xffff, s15
	s_cmpk_eq_i32 s10, 0x80
	s_mov_b64 s[10:11], -1
	s_cbranch_scc0 .LBB142_1275
; %bb.1274:
	s_mov_b64 s[10:11], 0
.LBB142_1275:
	s_mov_b64 s[12:13], 0
	s_branch .LBB142_1277
.LBB142_1276:
	s_mov_b64 s[12:13], -1
	s_mov_b64 s[10:11], 0
.LBB142_1277:
	s_mov_b32 s14, 0x7f800001
	s_and_b64 vcc, exec, s[12:13]
	s_cbranch_vccz .LBB142_1282
; %bb.1278:
	s_and_b32 s10, 0xffff, s15
	s_cmp_lg_u32 s10, 0
	s_mov_b32 s14, 0
	s_cselect_b64 s[10:11], -1, 0
	s_andn2_b64 vcc, exec, s[10:11]
	s_cbranch_vccz .LBB142_1283
.LBB142_1279:
	s_and_b32 s12, s14, 0x7fffffff
	s_cmp_lt_u32 s12, 0x47800000
	s_cbranch_scc0 .LBB142_1284
.LBB142_1280:
	s_cmp_gt_u32 s12, 0x387fffff
	s_cbranch_scc0 .LBB142_1285
; %bb.1281:
	s_bfe_u32 s10, s14, 0x10015
	s_add_i32 s10, s14, s10
	s_add_i32 s10, s10, 0x80fffff
	s_lshr_b32 s13, s10, 21
	s_mov_b64 s[10:11], 0
	s_branch .LBB142_1286
.LBB142_1282:
	s_andn2_b64 vcc, exec, s[10:11]
	s_cbranch_vccnz .LBB142_1279
.LBB142_1283:
	s_and_b32 s11, s3, 7
	s_flbit_i32_b32 s13, s11
	s_min_u32 s13, s13, 32
	s_sub_i32 s14, s13, 28
	s_lshl_b32 s14, s3, s14
	s_lshl_b32 s10, s3, 24
	s_bfe_u32 s12, s3, 0x40003
	s_sub_i32 s13, 29, s13
	s_and_b32 s14, s14, 7
	s_cmp_eq_u32 s12, 0
	s_cselect_b32 s12, s13, s12
	s_cselect_b32 s11, s14, s11
	s_lshl_b32 s12, s12, 23
	s_and_b32 s10, s10, 0x80000000
	s_add_i32 s12, s12, 0x3b800000
	s_lshl_b32 s11, s11, 20
	s_or_b32 s10, s10, s12
	s_or_b32 s14, s10, s11
	s_and_b32 s12, s14, 0x7fffffff
	s_cmp_lt_u32 s12, 0x47800000
	s_cbranch_scc1 .LBB142_1280
.LBB142_1284:
	s_mov_b64 s[10:11], -1
                                        ; implicit-def: $vgpr0
	s_branch .LBB142_1289
.LBB142_1285:
	s_mov_b64 s[10:11], -1
                                        ; implicit-def: $sgpr13
.LBB142_1286:
	s_andn2_b64 vcc, exec, s[10:11]
	v_mov_b32_e32 v0, s13
	s_cbranch_vccnz .LBB142_1288
; %bb.1287:
	v_mov_b32_e32 v0, 0x43000000
	v_add_f32_e64 v0, |s14|, v0
.LBB142_1288:
	s_mov_b64 s[10:11], 0
.LBB142_1289:
	s_andn2_b64 vcc, exec, s[10:11]
	s_cbranch_vccnz .LBB142_1291
; %bb.1290:
	s_cmp_gt_u32 s12, 0x7f800000
	s_movk_i32 s10, 0x7f
	s_cselect_b32 s10, s10, 0x7c
	v_mov_b32_e32 v0, s10
.LBB142_1291:
	s_lshr_b32 s10, s14, 24
	s_and_b32 s10, s10, 0x80
	v_or_b32_e32 v0, s10, v0
	global_store_byte v[4:5], v0, off
.LBB142_1292:
	s_mov_b64 s[10:11], 0
	s_mov_b64 s[14:15], -1
.LBB142_1293:
	s_andn2_b64 vcc, exec, s[10:11]
	s_mov_b64 s[12:13], 0
	s_cbranch_vccnz .LBB142_1309
; %bb.1294:
	s_cmp_gt_i32 s18, 14
	s_mov_b64 s[10:11], -1
	s_cbranch_scc0 .LBB142_1307
; %bb.1295:
	s_cmp_eq_u32 s18, 15
	s_mov_b64 s[8:9], -1
	s_cbranch_scc0 .LBB142_1306
; %bb.1296:
	s_and_b32 s12, s3, 0xff
	s_cmpk_lt_i32 s12, 0x80
	s_cbranch_scc1 .LBB142_1300
; %bb.1297:
	s_and_b32 s8, 0xffff, s12
	s_cmpk_eq_i32 s8, 0x80
	s_mov_b64 s[8:9], -1
	s_cbranch_scc0 .LBB142_1299
; %bb.1298:
	s_mov_b64 s[8:9], 0
.LBB142_1299:
	s_mov_b64 s[10:11], 0
	s_branch .LBB142_1301
.LBB142_1300:
	s_mov_b64 s[8:9], 0
.LBB142_1301:
	s_mov_b32 s13, 0x7f800001
	s_and_b64 vcc, exec, s[10:11]
	s_cbranch_vccz .LBB142_1303
; %bb.1302:
	s_and_b32 s8, 0xffff, s12
	s_cmp_lg_u32 s8, 0
	s_mov_b32 s13, 0
	s_cselect_b64 s[8:9], -1, 0
.LBB142_1303:
	s_andn2_b64 vcc, exec, s[8:9]
	s_cbranch_vccnz .LBB142_1305
; %bb.1304:
	s_and_b32 s9, s3, 7
	s_flbit_i32_b32 s11, s9
	s_min_u32 s11, s11, 32
	s_sub_i32 s12, s11, 28
	s_lshl_b32 s12, s3, s12
	s_lshl_b32 s8, s3, 24
	s_bfe_u32 s10, s3, 0x40003
	s_sub_i32 s11, 29, s11
	s_and_b32 s12, s12, 7
	s_cmp_eq_u32 s10, 0
	s_cselect_b32 s10, s11, s10
	s_cselect_b32 s9, s12, s9
	s_lshl_b32 s10, s10, 23
	s_and_b32 s8, s8, 0x80000000
	s_add_i32 s10, s10, 0x3b800000
	s_lshl_b32 s9, s9, 20
	s_or_b32 s8, s8, s10
	s_or_b32 s13, s8, s9
.LBB142_1305:
	s_bfe_u32 s8, s13, 0x10010
	s_add_i32 s8, s13, s8
	s_addk_i32 s8, 0x7fff
	s_lshr_b32 s10, s8, 16
	v_cmp_o_f32_e64 s[8:9], s13, s13
	s_and_b64 s[8:9], s[8:9], exec
	s_cselect_b32 s8, s10, 0x7fc0
	v_mov_b32_e32 v0, s8
	global_store_short v[4:5], v0, off
	s_mov_b64 s[8:9], 0
	s_mov_b64 s[14:15], -1
.LBB142_1306:
	s_mov_b64 s[10:11], 0
.LBB142_1307:
	s_mov_b64 s[12:13], 0
	s_and_b64 vcc, exec, s[10:11]
	s_cbranch_vccz .LBB142_1309
; %bb.1308:
	s_cmp_lg_u32 s18, 11
	s_mov_b64 s[12:13], -1
	s_cselect_b64 s[8:9], -1, 0
.LBB142_1309:
	s_and_b64 vcc, exec, s[8:9]
	s_mov_b64 s[10:11], s[4:5]
	s_cbranch_vccnz .LBB142_1321
; %bb.1310:
	s_andn2_b64 vcc, exec, s[12:13]
	s_cbranch_vccnz .LBB142_1312
.LBB142_1311:
	s_and_b32 s8, s3, 0xff
	s_cmp_lg_u32 s8, 0
	s_cselect_b64 s[8:9], -1, 0
	v_cndmask_b32_e64 v0, 0, 1, s[8:9]
	s_mov_b64 s[14:15], -1
	global_store_byte v[4:5], v0, off
.LBB142_1312:
	s_branch .LBB142_1170
.LBB142_1313:
	s_cmp_lt_i32 s18, 5
	s_mov_b64 s[8:9], -1
	s_cbranch_scc1 .LBB142_1391
; %bb.1314:
	s_cmp_lt_i32 s18, 8
	s_cbranch_scc1 .LBB142_1353
; %bb.1315:
	s_cmp_lt_i32 s18, 9
	s_cbranch_scc1 .LBB142_1341
; %bb.1316:
	s_cmp_gt_i32 s18, 9
	s_cbranch_scc0 .LBB142_1329
; %bb.1317:
	s_and_b32 s14, s3, 0xff
	s_cmpk_lt_i32 s14, 0x80
	s_cbranch_scc1 .LBB142_1322
; %bb.1318:
	s_and_b32 s8, 0xffff, s14
	s_cmpk_eq_i32 s8, 0x80
	s_mov_b64 s[8:9], -1
	s_cbranch_scc0 .LBB142_1320
; %bb.1319:
	s_mov_b64 s[8:9], 0
.LBB142_1320:
	s_mov_b64 s[12:13], 0
	s_branch .LBB142_1323
.LBB142_1321:
	s_or_b64 s[10:11], s[4:5], exec
	s_trap 2
	s_cbranch_execz .LBB142_1311
	s_branch .LBB142_1312
.LBB142_1322:
	s_mov_b64 s[12:13], -1
	s_mov_b64 s[8:9], 0
.LBB142_1323:
	s_and_b64 vcc, exec, s[12:13]
	s_cbranch_vccz .LBB142_1325
; %bb.1324:
	s_and_b32 s8, 0xffff, s14
	s_cmp_lg_u32 s8, 0
	s_mov_b64 s[12:13], 0
	s_cselect_b64 s[8:9], -1, 0
	s_branch .LBB142_1326
.LBB142_1325:
	s_mov_b32 s13, 0x7ff80000
	s_brev_b32 s12, 4
.LBB142_1326:
	v_mov_b32_e32 v0, s12
	s_andn2_b64 vcc, exec, s[8:9]
	v_mov_b32_e32 v1, s13
	s_cbranch_vccnz .LBB142_1328
; %bb.1327:
	s_and_b32 s9, s3, 7
	s_flbit_i32_b32 s13, s9
	s_min_u32 s13, s13, 32
	s_sub_i32 s14, s13, 28
	s_lshl_b32 s14, s3, s14
	s_lshl_b32 s8, s3, 24
	s_bfe_u32 s12, s3, 0x40003
	s_sub_i32 s13, 29, s13
	s_and_b32 s14, s14, 7
	s_cmp_eq_u32 s12, 0
	s_cselect_b32 s12, s13, s12
	s_cselect_b32 s9, s14, s9
	s_lshl_b32 s12, s12, 23
	s_and_b32 s8, s8, 0x80000000
	s_add_i32 s12, s12, 0x3b800000
	s_lshl_b32 s9, s9, 20
	s_or_b32 s8, s8, s12
	s_or_b32 s8, s8, s9
	v_cvt_f64_f32_e32 v[0:1], s8
.LBB142_1328:
	v_mov_b32_e32 v2, 0
	v_mov_b32_e32 v3, v2
	global_store_dwordx4 v[4:5], v[0:3], off
	s_mov_b64 s[8:9], 0
.LBB142_1329:
	s_and_b64 vcc, exec, s[8:9]
	s_cbranch_vccz .LBB142_1340
; %bb.1330:
	s_and_b32 s14, s3, 0xff
	s_cmpk_lt_i32 s14, 0x80
	s_cbranch_scc1 .LBB142_1334
; %bb.1331:
	s_and_b32 s8, 0xffff, s14
	s_cmpk_eq_i32 s8, 0x80
	s_mov_b64 s[8:9], -1
	s_cbranch_scc0 .LBB142_1333
; %bb.1332:
	s_mov_b64 s[8:9], 0
.LBB142_1333:
	s_mov_b64 s[12:13], 0
	s_branch .LBB142_1335
.LBB142_1334:
	s_mov_b64 s[12:13], -1
	s_mov_b64 s[8:9], 0
.LBB142_1335:
	s_mov_b32 s15, 0x7f800001
	s_and_b64 vcc, exec, s[12:13]
	s_cbranch_vccz .LBB142_1337
; %bb.1336:
	s_and_b32 s15, 0xffff, s14
	s_cmp_lg_u32 s15, 0
	s_cselect_b64 s[8:9], -1, 0
.LBB142_1337:
	s_andn2_b64 vcc, exec, s[8:9]
	s_cbranch_vccnz .LBB142_1339
; %bb.1338:
	s_and_b32 s9, s3, 7
	s_flbit_i32_b32 s13, s9
	s_min_u32 s13, s13, 32
	s_sub_i32 s14, s13, 28
	s_lshl_b32 s14, s3, s14
	s_lshl_b32 s8, s3, 24
	s_bfe_u32 s12, s3, 0x40003
	s_sub_i32 s13, 29, s13
	s_and_b32 s14, s14, 7
	s_cmp_eq_u32 s12, 0
	s_cselect_b32 s12, s13, s12
	s_cselect_b32 s9, s14, s9
	s_lshl_b32 s12, s12, 23
	s_and_b32 s8, s8, 0x80000000
	s_add_i32 s12, s12, 0x3b800000
	s_lshl_b32 s9, s9, 20
	s_or_b32 s8, s8, s12
	s_or_b32 s15, s8, s9
.LBB142_1339:
	v_mov_b32_e32 v0, s15
	v_mov_b32_e32 v1, 0
	global_store_dwordx2 v[4:5], v[0:1], off
.LBB142_1340:
	s_mov_b64 s[8:9], 0
.LBB142_1341:
	s_andn2_b64 vcc, exec, s[8:9]
	s_cbranch_vccnz .LBB142_1352
; %bb.1342:
	s_and_b32 s14, s3, 0xff
	s_cmpk_lt_i32 s14, 0x80
	s_cbranch_scc1 .LBB142_1346
; %bb.1343:
	s_and_b32 s8, 0xffff, s14
	s_cmpk_eq_i32 s8, 0x80
	s_mov_b64 s[8:9], -1
	s_cbranch_scc0 .LBB142_1345
; %bb.1344:
	s_mov_b64 s[8:9], 0
.LBB142_1345:
	s_mov_b64 s[12:13], 0
	s_branch .LBB142_1347
.LBB142_1346:
	s_mov_b64 s[12:13], -1
	s_mov_b64 s[8:9], 0
.LBB142_1347:
	s_movk_i32 s15, 0x7e00
	s_and_b64 vcc, exec, s[12:13]
	s_cbranch_vccz .LBB142_1349
; %bb.1348:
	s_and_b32 s15, 0xffff, s14
	s_cmp_lg_u32 s15, 0
	s_cselect_b64 s[8:9], -1, 0
.LBB142_1349:
	s_andn2_b64 vcc, exec, s[8:9]
	v_mov_b32_e32 v0, s15
	s_cbranch_vccnz .LBB142_1351
; %bb.1350:
	s_and_b32 s9, s3, 7
	s_flbit_i32_b32 s13, s9
	s_min_u32 s13, s13, 32
	s_sub_i32 s14, s13, 28
	s_lshl_b32 s14, s3, s14
	s_lshl_b32 s8, s3, 24
	s_bfe_u32 s12, s3, 0x40003
	s_sub_i32 s13, 29, s13
	s_and_b32 s14, s14, 7
	s_cmp_eq_u32 s12, 0
	s_cselect_b32 s12, s13, s12
	s_cselect_b32 s9, s14, s9
	s_lshl_b32 s12, s12, 23
	s_and_b32 s8, s8, 0x80000000
	s_add_i32 s12, s12, 0x3b800000
	s_lshl_b32 s9, s9, 20
	s_or_b32 s8, s8, s12
	s_or_b32 s8, s8, s9
	v_cvt_f16_f32_e32 v0, s8
.LBB142_1351:
	global_store_dword v[4:5], v0, off
.LBB142_1352:
	s_mov_b64 s[8:9], 0
.LBB142_1353:
	s_andn2_b64 vcc, exec, s[8:9]
	s_cbranch_vccnz .LBB142_1390
; %bb.1354:
	s_cmp_lt_i32 s18, 6
	s_mov_b64 s[8:9], -1
	s_cbranch_scc1 .LBB142_1379
; %bb.1355:
	s_cmp_gt_i32 s18, 6
	s_cbranch_scc0 .LBB142_1367
; %bb.1356:
	s_and_b32 s14, s3, 0xff
	s_cmpk_lt_i32 s14, 0x80
	s_cbranch_scc1 .LBB142_1360
; %bb.1357:
	s_and_b32 s8, 0xffff, s14
	s_cmpk_eq_i32 s8, 0x80
	s_mov_b64 s[8:9], -1
	s_cbranch_scc0 .LBB142_1359
; %bb.1358:
	s_mov_b64 s[8:9], 0
.LBB142_1359:
	s_mov_b64 s[12:13], 0
	s_branch .LBB142_1361
.LBB142_1360:
	s_mov_b64 s[12:13], -1
	s_mov_b64 s[8:9], 0
.LBB142_1361:
	s_and_b64 vcc, exec, s[12:13]
	s_cbranch_vccz .LBB142_1363
; %bb.1362:
	s_and_b32 s8, 0xffff, s14
	s_cmp_lg_u32 s8, 0
	s_mov_b64 s[12:13], 0
	s_cselect_b64 s[8:9], -1, 0
	s_branch .LBB142_1364
.LBB142_1363:
	s_mov_b32 s13, 0x7ff80000
	s_brev_b32 s12, 4
.LBB142_1364:
	v_mov_b32_e32 v0, s12
	s_andn2_b64 vcc, exec, s[8:9]
	v_mov_b32_e32 v1, s13
	s_cbranch_vccnz .LBB142_1366
; %bb.1365:
	s_and_b32 s9, s3, 7
	s_flbit_i32_b32 s13, s9
	s_min_u32 s13, s13, 32
	s_sub_i32 s14, s13, 28
	s_lshl_b32 s14, s3, s14
	s_lshl_b32 s8, s3, 24
	s_bfe_u32 s12, s3, 0x40003
	s_sub_i32 s13, 29, s13
	s_and_b32 s14, s14, 7
	s_cmp_eq_u32 s12, 0
	s_cselect_b32 s12, s13, s12
	s_cselect_b32 s9, s14, s9
	s_lshl_b32 s12, s12, 23
	s_and_b32 s8, s8, 0x80000000
	s_add_i32 s12, s12, 0x3b800000
	s_lshl_b32 s9, s9, 20
	s_or_b32 s8, s8, s12
	s_or_b32 s8, s8, s9
	v_cvt_f64_f32_e32 v[0:1], s8
.LBB142_1366:
	global_store_dwordx2 v[4:5], v[0:1], off
	s_mov_b64 s[8:9], 0
.LBB142_1367:
	s_and_b64 vcc, exec, s[8:9]
	s_cbranch_vccz .LBB142_1378
; %bb.1368:
	s_and_b32 s14, s3, 0xff
	s_cmpk_lt_i32 s14, 0x80
	s_cbranch_scc1 .LBB142_1372
; %bb.1369:
	s_and_b32 s8, 0xffff, s14
	s_cmpk_eq_i32 s8, 0x80
	s_mov_b64 s[8:9], -1
	s_cbranch_scc0 .LBB142_1371
; %bb.1370:
	s_mov_b64 s[8:9], 0
.LBB142_1371:
	s_mov_b64 s[12:13], 0
	s_branch .LBB142_1373
.LBB142_1372:
	s_mov_b64 s[12:13], -1
	s_mov_b64 s[8:9], 0
.LBB142_1373:
	s_mov_b32 s15, 0x7f800001
	s_and_b64 vcc, exec, s[12:13]
	s_cbranch_vccz .LBB142_1375
; %bb.1374:
	s_and_b32 s15, 0xffff, s14
	s_cmp_lg_u32 s15, 0
	s_cselect_b64 s[8:9], -1, 0
.LBB142_1375:
	s_andn2_b64 vcc, exec, s[8:9]
	s_cbranch_vccnz .LBB142_1377
; %bb.1376:
	s_and_b32 s9, s3, 7
	s_flbit_i32_b32 s13, s9
	s_min_u32 s13, s13, 32
	s_sub_i32 s14, s13, 28
	s_lshl_b32 s14, s3, s14
	s_lshl_b32 s8, s3, 24
	s_bfe_u32 s12, s3, 0x40003
	s_sub_i32 s13, 29, s13
	s_and_b32 s14, s14, 7
	s_cmp_eq_u32 s12, 0
	s_cselect_b32 s12, s13, s12
	s_cselect_b32 s9, s14, s9
	s_lshl_b32 s12, s12, 23
	s_and_b32 s8, s8, 0x80000000
	s_add_i32 s12, s12, 0x3b800000
	s_lshl_b32 s9, s9, 20
	s_or_b32 s8, s8, s12
	s_or_b32 s15, s8, s9
.LBB142_1377:
	v_mov_b32_e32 v0, s15
	global_store_dword v[4:5], v0, off
.LBB142_1378:
	s_mov_b64 s[8:9], 0
.LBB142_1379:
	s_andn2_b64 vcc, exec, s[8:9]
	s_cbranch_vccnz .LBB142_1390
; %bb.1380:
	s_and_b32 s14, s3, 0xff
	s_cmpk_lt_i32 s14, 0x80
	s_cbranch_scc1 .LBB142_1384
; %bb.1381:
	s_and_b32 s8, 0xffff, s14
	s_cmpk_eq_i32 s8, 0x80
	s_mov_b64 s[8:9], -1
	s_cbranch_scc0 .LBB142_1383
; %bb.1382:
	s_mov_b64 s[8:9], 0
.LBB142_1383:
	s_mov_b64 s[12:13], 0
	s_branch .LBB142_1385
.LBB142_1384:
	s_mov_b64 s[12:13], -1
	s_mov_b64 s[8:9], 0
.LBB142_1385:
	s_movk_i32 s15, 0x7e00
	s_and_b64 vcc, exec, s[12:13]
	s_cbranch_vccz .LBB142_1387
; %bb.1386:
	s_and_b32 s8, 0xffff, s14
	s_cmp_lg_u32 s8, 0
	s_cselect_b64 s[8:9], -1, 0
	s_mov_b32 s15, s14
.LBB142_1387:
	s_andn2_b64 vcc, exec, s[8:9]
	v_mov_b32_e32 v0, s15
	s_cbranch_vccnz .LBB142_1389
; %bb.1388:
	s_and_b32 s9, s3, 7
	s_flbit_i32_b32 s13, s9
	s_min_u32 s13, s13, 32
	s_sub_i32 s14, s13, 28
	s_lshl_b32 s14, s3, s14
	s_lshl_b32 s8, s3, 24
	s_bfe_u32 s12, s3, 0x40003
	s_sub_i32 s13, 29, s13
	s_and_b32 s14, s14, 7
	s_cmp_eq_u32 s12, 0
	s_cselect_b32 s12, s13, s12
	s_cselect_b32 s9, s14, s9
	s_lshl_b32 s12, s12, 23
	s_and_b32 s8, s8, 0x80000000
	s_add_i32 s12, s12, 0x3b800000
	s_lshl_b32 s9, s9, 20
	s_or_b32 s8, s8, s12
	s_or_b32 s8, s8, s9
	v_cvt_f16_f32_e32 v0, s8
.LBB142_1389:
	global_store_short v[4:5], v0, off
.LBB142_1390:
	s_mov_b64 s[8:9], 0
.LBB142_1391:
	s_andn2_b64 vcc, exec, s[8:9]
	s_cbranch_vccnz .LBB142_1442
; %bb.1392:
	s_cmp_lt_i32 s18, 2
	s_mov_b64 s[8:9], -1
	s_cbranch_scc1 .LBB142_1423
; %bb.1393:
	s_cmp_lt_i32 s18, 3
	s_cbranch_scc1 .LBB142_1413
; %bb.1394:
	s_cmp_gt_i32 s18, 3
	s_cbranch_scc0 .LBB142_1403
; %bb.1395:
	s_and_b32 s14, s3, 0xff
	s_cmpk_lt_i32 s14, 0x80
	s_cbranch_scc1 .LBB142_1397
; %bb.1396:
	s_and_b32 s8, 0xffff, s14
	s_cmpk_lg_i32 s8, 0x80
	s_mov_b64 s[12:13], 0
	s_cselect_b64 s[8:9], -1, 0
	s_branch .LBB142_1398
.LBB142_1397:
	s_mov_b64 s[12:13], -1
	s_mov_b64 s[8:9], 0
.LBB142_1398:
	s_andn2_b64 vcc, exec, s[12:13]
	s_cbranch_vccnz .LBB142_1400
; %bb.1399:
	s_and_b32 s8, 0xffff, s14
	s_cmp_lg_u32 s8, 0
	s_cselect_b64 s[8:9], -1, 0
.LBB142_1400:
	v_mov_b32_e32 v0, 0
	s_andn2_b64 vcc, exec, s[8:9]
	v_mov_b32_e32 v1, 0
	s_cbranch_vccnz .LBB142_1402
; %bb.1401:
	s_and_b32 s9, s3, 7
	s_flbit_i32_b32 s13, s9
	s_min_u32 s13, s13, 32
	s_sub_i32 s14, s13, 28
	s_lshl_b32 s14, s3, s14
	s_lshl_b32 s8, s3, 24
	s_bfe_u32 s12, s3, 0x40003
	s_sub_i32 s13, 29, s13
	s_and_b32 s14, s14, 7
	s_cmp_eq_u32 s12, 0
	s_cselect_b32 s12, s13, s12
	s_cselect_b32 s9, s14, s9
	s_lshl_b32 s12, s12, 23
	s_and_b32 s8, s8, 0x80000000
	s_add_i32 s12, s12, 0x3b800000
	s_lshl_b32 s9, s9, 20
	s_or_b32 s8, s8, s12
	s_or_b32 s8, s8, s9
	v_trunc_f32_e32 v0, s8
	s_mov_b32 s8, 0x2f800000
	v_mul_f32_e64 v1, |v0|, s8
	v_floor_f32_e32 v1, v1
	s_mov_b32 s8, 0xcf800000
	v_fma_f32 v2, v1, s8, |v0|
	v_cvt_u32_f32_e32 v2, v2
	v_cvt_u32_f32_e32 v1, v1
	v_ashrrev_i32_e32 v3, 31, v0
	v_xor_b32_e32 v0, v2, v3
	v_xor_b32_e32 v1, v1, v3
	v_sub_co_u32_e32 v0, vcc, v0, v3
	v_subb_co_u32_e32 v1, vcc, v1, v3, vcc
.LBB142_1402:
	global_store_dwordx2 v[4:5], v[0:1], off
	s_mov_b64 s[8:9], 0
.LBB142_1403:
	s_and_b64 vcc, exec, s[8:9]
	s_cbranch_vccz .LBB142_1412
; %bb.1404:
	s_and_b32 s14, s3, 0xff
	s_cmpk_lt_i32 s14, 0x80
	s_cbranch_scc1 .LBB142_1406
; %bb.1405:
	s_and_b32 s8, 0xffff, s14
	s_cmpk_lg_i32 s8, 0x80
	s_mov_b64 s[12:13], 0
	s_cselect_b64 s[8:9], -1, 0
	s_branch .LBB142_1407
.LBB142_1406:
	s_mov_b64 s[12:13], -1
	s_mov_b64 s[8:9], 0
.LBB142_1407:
	s_andn2_b64 vcc, exec, s[12:13]
	s_cbranch_vccnz .LBB142_1409
; %bb.1408:
	s_and_b32 s8, 0xffff, s14
	s_cmp_lg_u32 s8, 0
	s_cselect_b64 s[8:9], -1, 0
.LBB142_1409:
	s_andn2_b64 vcc, exec, s[8:9]
	v_mov_b32_e32 v0, 0
	s_cbranch_vccnz .LBB142_1411
; %bb.1410:
	s_and_b32 s9, s3, 7
	s_flbit_i32_b32 s13, s9
	s_min_u32 s13, s13, 32
	s_sub_i32 s14, s13, 28
	s_lshl_b32 s14, s3, s14
	s_lshl_b32 s8, s3, 24
	s_bfe_u32 s12, s3, 0x40003
	s_sub_i32 s13, 29, s13
	s_and_b32 s14, s14, 7
	s_cmp_eq_u32 s12, 0
	s_cselect_b32 s12, s13, s12
	s_cselect_b32 s9, s14, s9
	s_lshl_b32 s12, s12, 23
	s_and_b32 s8, s8, 0x80000000
	s_add_i32 s12, s12, 0x3b800000
	s_lshl_b32 s9, s9, 20
	s_or_b32 s8, s8, s12
	s_or_b32 s8, s8, s9
	v_cvt_i32_f32_e32 v0, s8
.LBB142_1411:
	global_store_dword v[4:5], v0, off
.LBB142_1412:
	s_mov_b64 s[8:9], 0
.LBB142_1413:
	s_andn2_b64 vcc, exec, s[8:9]
	s_cbranch_vccnz .LBB142_1422
; %bb.1414:
	s_and_b32 s14, s3, 0xff
	s_cmpk_lt_i32 s14, 0x80
	s_cbranch_scc1 .LBB142_1416
; %bb.1415:
	s_and_b32 s8, 0xffff, s14
	s_cmpk_lg_i32 s8, 0x80
	s_mov_b64 s[12:13], 0
	s_cselect_b64 s[8:9], -1, 0
	s_branch .LBB142_1417
.LBB142_1416:
	s_mov_b64 s[12:13], -1
	s_mov_b64 s[8:9], 0
.LBB142_1417:
	s_andn2_b64 vcc, exec, s[12:13]
	s_cbranch_vccnz .LBB142_1419
; %bb.1418:
	s_and_b32 s8, 0xffff, s14
	s_cmp_lg_u32 s8, 0
	s_cselect_b64 s[8:9], -1, 0
.LBB142_1419:
	s_andn2_b64 vcc, exec, s[8:9]
	v_mov_b32_e32 v0, 0
	s_cbranch_vccnz .LBB142_1421
; %bb.1420:
	s_and_b32 s9, s3, 7
	s_flbit_i32_b32 s13, s9
	s_min_u32 s13, s13, 32
	s_sub_i32 s14, s13, 28
	s_lshl_b32 s14, s3, s14
	s_lshl_b32 s8, s3, 24
	s_bfe_u32 s12, s3, 0x40003
	s_sub_i32 s13, 29, s13
	s_and_b32 s14, s14, 7
	s_cmp_eq_u32 s12, 0
	s_cselect_b32 s12, s13, s12
	s_cselect_b32 s9, s14, s9
	s_lshl_b32 s12, s12, 23
	s_and_b32 s8, s8, 0x80000000
	s_add_i32 s12, s12, 0x3b800000
	s_lshl_b32 s9, s9, 20
	s_or_b32 s8, s8, s12
	s_or_b32 s8, s8, s9
	v_cvt_i32_f32_e32 v0, s8
.LBB142_1421:
	global_store_short v[4:5], v0, off
.LBB142_1422:
	s_mov_b64 s[8:9], 0
.LBB142_1423:
	s_andn2_b64 vcc, exec, s[8:9]
	s_cbranch_vccnz .LBB142_1442
; %bb.1424:
	s_cmp_gt_i32 s18, 0
	s_mov_b64 s[8:9], -1
	s_cbranch_scc0 .LBB142_1433
; %bb.1425:
	s_and_b32 s14, s3, 0xff
	s_cmpk_lt_i32 s14, 0x80
	s_cbranch_scc1 .LBB142_1427
; %bb.1426:
	s_and_b32 s8, 0xffff, s14
	s_cmpk_lg_i32 s8, 0x80
	s_mov_b64 s[12:13], 0
	s_cselect_b64 s[8:9], -1, 0
	s_branch .LBB142_1428
.LBB142_1427:
	s_mov_b64 s[12:13], -1
	s_mov_b64 s[8:9], 0
.LBB142_1428:
	s_andn2_b64 vcc, exec, s[12:13]
	s_cbranch_vccnz .LBB142_1430
; %bb.1429:
	s_and_b32 s8, 0xffff, s14
	s_cmp_lg_u32 s8, 0
	s_cselect_b64 s[8:9], -1, 0
.LBB142_1430:
	s_andn2_b64 vcc, exec, s[8:9]
	v_mov_b32_e32 v0, 0
	s_cbranch_vccnz .LBB142_1432
; %bb.1431:
	s_and_b32 s9, s3, 7
	s_flbit_i32_b32 s13, s9
	s_min_u32 s13, s13, 32
	s_sub_i32 s14, s13, 28
	s_lshl_b32 s14, s3, s14
	s_lshl_b32 s8, s3, 24
	s_bfe_u32 s12, s3, 0x40003
	s_sub_i32 s13, 29, s13
	s_and_b32 s14, s14, 7
	s_cmp_eq_u32 s12, 0
	s_cselect_b32 s12, s13, s12
	s_cselect_b32 s9, s14, s9
	s_lshl_b32 s12, s12, 23
	s_and_b32 s8, s8, 0x80000000
	s_add_i32 s12, s12, 0x3b800000
	s_lshl_b32 s9, s9, 20
	s_or_b32 s8, s8, s12
	s_or_b32 s8, s8, s9
	v_cvt_i32_f32_e32 v0, s8
.LBB142_1432:
	global_store_byte v[4:5], v0, off
	s_mov_b64 s[8:9], 0
.LBB142_1433:
	s_and_b64 vcc, exec, s[8:9]
	s_cbranch_vccz .LBB142_1442
; %bb.1434:
	s_and_b32 s14, s3, 0xff
	s_cmpk_lt_i32 s14, 0x80
	s_cbranch_scc1 .LBB142_1436
; %bb.1435:
	s_and_b32 s8, 0xffff, s14
	s_cmpk_lg_i32 s8, 0x80
	s_mov_b64 s[12:13], 0
	s_cselect_b64 s[8:9], -1, 0
	s_branch .LBB142_1437
.LBB142_1436:
	s_mov_b64 s[12:13], -1
	s_mov_b64 s[8:9], 0
.LBB142_1437:
	s_andn2_b64 vcc, exec, s[12:13]
	s_cbranch_vccnz .LBB142_1439
; %bb.1438:
	s_and_b32 s8, 0xffff, s14
	s_cmp_lg_u32 s8, 0
	s_cselect_b64 s[8:9], -1, 0
.LBB142_1439:
	s_andn2_b64 vcc, exec, s[8:9]
	v_mov_b32_e32 v0, 0
	s_cbranch_vccnz .LBB142_1441
; %bb.1440:
	s_and_b32 s9, s3, 7
	s_flbit_i32_b32 s13, s9
	s_min_u32 s13, s13, 32
	s_sub_i32 s14, s13, 28
	s_lshl_b32 s14, s3, s14
	s_lshl_b32 s8, s3, 24
	s_bfe_u32 s12, s3, 0x40003
	s_sub_i32 s13, 29, s13
	s_and_b32 s14, s14, 7
	s_cmp_eq_u32 s12, 0
	s_cselect_b32 s12, s13, s12
	s_cselect_b32 s9, s14, s9
	s_lshl_b32 s12, s12, 23
	s_and_b32 s8, s8, 0x80000000
	s_add_i32 s12, s12, 0x3b800000
	s_lshl_b32 s9, s9, 20
	s_or_b32 s8, s8, s12
	s_or_b32 s8, s8, s9
	v_trunc_f32_e32 v0, s8
	s_mov_b32 s8, 0x2f800000
	v_mul_f32_e64 v1, |v0|, s8
	v_floor_f32_e32 v1, v1
	s_mov_b32 s8, 0xcf800000
	v_fma_f32 v1, v1, s8, |v0|
	v_cvt_u32_f32_e32 v1, v1
	v_ashrrev_i32_e32 v0, 31, v0
	v_xor_b32_e32 v1, v1, v0
	v_sub_u32_e32 v0, v1, v0
.LBB142_1441:
	global_store_byte v[4:5], v0, off
.LBB142_1442:
.LBB142_1443:
	s_lshl_b32 s2, s2, 7
	v_add_u32_e32 v6, s2, v6
	v_ashrrev_i32_e32 v0, 31, v6
	v_mov_b32_e32 v1, s1
	v_add_co_u32_e32 v4, vcc, s0, v6
	s_cmp_lt_i32 s18, 11
	v_addc_co_u32_e32 v5, vcc, v1, v0, vcc
	s_cbranch_scc1 .LBB142_1452
; %bb.1444:
	s_mov_b64 s[16:17], -1
	s_mov_b64 s[12:13], 0
	s_cmp_gt_i32 s18, 25
	s_mov_b64 s[14:15], 0
	s_mov_b64 s[8:9], 0
	s_cbranch_scc0 .LBB142_1511
; %bb.1445:
	s_cmp_gt_i32 s18, 28
	s_cbranch_scc0 .LBB142_1486
; %bb.1446:
	s_cmp_gt_i32 s18, 43
	;; [unrolled: 3-line block ×3, first 2 shown]
	s_cbranch_scc0 .LBB142_1460
; %bb.1448:
	s_mov_b64 s[8:9], -1
	s_mov_b64 s[16:17], 0
	s_cmp_eq_u32 s18, 46
	s_cbranch_scc0 .LBB142_1460
; %bb.1449:
	s_and_b32 s19, s3, 0xff
	s_cmpk_lt_i32 s19, 0x80
	s_cbranch_scc1 .LBB142_1456
; %bb.1450:
	s_and_b32 s8, 0xffff, s19
	s_cmpk_eq_i32 s8, 0x80
	s_mov_b64 s[8:9], -1
	s_cbranch_scc0 .LBB142_1454
; %bb.1451:
	s_mov_b64 s[8:9], 0
	s_mov_b32 s20, 0x7f800001
	s_and_b64 vcc, exec, s[14:15]
	s_cbranch_vccz .LBB142_1457
	s_branch .LBB142_1455
.LBB142_1452:
	s_mov_b64 s[14:15], 0
	s_cbranch_execnz .LBB142_1596
.LBB142_1453:
	s_andn2_b64 vcc, exec, s[14:15]
	s_cbranch_vccz .LBB142_1726
	s_branch .LBB142_2020
.LBB142_1454:
	s_mov_b32 s20, 0x7f800001
	s_and_b64 vcc, exec, s[14:15]
	s_cbranch_vccz .LBB142_1457
.LBB142_1455:
	s_and_b32 s8, 0xffff, s19
	s_cmp_lg_u32 s8, 0
	s_mov_b32 s20, 0
	s_cselect_b64 s[8:9], -1, 0
	s_andn2_b64 vcc, exec, s[8:9]
	s_cbranch_vccz .LBB142_1458
	s_branch .LBB142_1459
.LBB142_1456:
	s_mov_b64 s[8:9], 0
	s_mov_b32 s20, 0x7f800001
	s_cbranch_execnz .LBB142_1455
.LBB142_1457:
	s_andn2_b64 vcc, exec, s[8:9]
	s_cbranch_vccnz .LBB142_1459
.LBB142_1458:
	s_and_b32 s9, s3, 7
	s_flbit_i32_b32 s15, s9
	s_min_u32 s15, s15, 32
	s_sub_i32 s19, s15, 28
	s_lshl_b32 s19, s3, s19
	s_lshl_b32 s8, s3, 24
	s_bfe_u32 s14, s3, 0x40003
	s_sub_i32 s15, 29, s15
	s_and_b32 s19, s19, 7
	s_cmp_eq_u32 s14, 0
	s_cselect_b32 s14, s15, s14
	s_cselect_b32 s9, s19, s9
	s_lshl_b32 s14, s14, 23
	s_and_b32 s8, s8, 0x80000000
	s_add_i32 s14, s14, 0x3b800000
	s_lshl_b32 s9, s9, 20
	s_or_b32 s8, s8, s14
	s_or_b32 s20, s8, s9
.LBB142_1459:
	s_bfe_u32 s8, s20, 0x10010
	s_add_i32 s8, s20, s8
	s_addk_i32 s8, 0x7fff
	s_lshr_b32 s14, s8, 16
	v_cmp_o_f32_e64 s[8:9], s20, s20
	s_and_b64 s[8:9], s[8:9], exec
	s_cselect_b32 s8, s14, 0x7fc0
	v_mov_b32_e32 v0, s8
	s_mov_b64 s[8:9], 0
	s_mov_b64 s[14:15], -1
	global_store_dword v[4:5], v0, off
.LBB142_1460:
	s_and_b64 vcc, exec, s[16:17]
	s_cbranch_vccz .LBB142_1472
; %bb.1461:
	s_cmp_eq_u32 s18, 44
	s_mov_b64 s[8:9], -1
	s_cbranch_scc0 .LBB142_1472
; %bb.1462:
	s_and_b32 s16, s3, 0xff
	s_cmpk_lt_i32 s16, 0x80
	s_cbranch_scc1 .LBB142_1466
; %bb.1463:
	s_and_b32 s8, 0xffff, s16
	s_cmpk_eq_i32 s8, 0x80
	s_mov_b64 s[8:9], -1
	s_cbranch_scc0 .LBB142_1465
; %bb.1464:
	s_mov_b64 s[8:9], 0
.LBB142_1465:
	s_mov_b64 s[14:15], 0
	s_branch .LBB142_1467
.LBB142_1466:
	s_mov_b64 s[14:15], -1
	s_mov_b64 s[8:9], 0
.LBB142_1467:
	s_mov_b32 s17, 0x7f800001
	s_and_b64 vcc, exec, s[14:15]
	s_cbranch_vccz .LBB142_1477
; %bb.1468:
	s_and_b32 s17, 0xffff, s16
	s_cmp_lg_u32 s17, 0
	s_cselect_b64 s[8:9], -1, 0
	s_andn2_b64 vcc, exec, s[8:9]
	s_cbranch_vccz .LBB142_1478
.LBB142_1469:
	s_lshr_b32 s8, s17, 23
	s_cmpk_eq_i32 s8, 0xff
	v_mov_b32_e32 v0, 0xff
	s_cbranch_scc1 .LBB142_1471
.LBB142_1470:
	s_bitcmp1_b32 s17, 22
	s_cselect_b64 s[14:15], -1, 0
	s_and_b32 s9, s17, 0x3fffff
	s_or_b32 s9, s8, s9
	s_cmp_lg_u32 s9, 0
	s_cselect_b64 s[16:17], -1, 0
	s_and_b64 s[14:15], s[14:15], s[16:17]
	v_cndmask_b32_e64 v0, 0, 1, s[14:15]
	v_add_u32_e32 v0, s8, v0
.LBB142_1471:
	s_mov_b64 s[8:9], 0
	s_mov_b64 s[14:15], -1
	global_store_byte v[4:5], v0, off
.LBB142_1472:
	s_mov_b64 s[16:17], 0
.LBB142_1473:
	s_and_b64 vcc, exec, s[16:17]
	s_cbranch_vccz .LBB142_1485
; %bb.1474:
	s_cmp_eq_u32 s18, 29
	s_mov_b64 s[8:9], -1
	s_cbranch_scc0 .LBB142_1485
; %bb.1475:
	s_and_b32 s16, s3, 0xff
	s_cmpk_lt_i32 s16, 0x80
	s_cbranch_scc1 .LBB142_1479
; %bb.1476:
	s_and_b32 s8, 0xffff, s16
	s_cmpk_lg_i32 s8, 0x80
	s_mov_b64 s[14:15], 0
	s_cselect_b64 s[8:9], -1, 0
	s_branch .LBB142_1480
.LBB142_1477:
	s_andn2_b64 vcc, exec, s[8:9]
	s_cbranch_vccnz .LBB142_1469
.LBB142_1478:
	s_and_b32 s8, s3, 7
	s_flbit_i32_b32 s14, s8
	s_min_u32 s14, s14, 32
	s_sub_i32 s15, s14, 28
	s_lshl_b32 s15, s3, s15
	s_bfe_u32 s9, s3, 0x40003
	s_sub_i32 s14, 29, s14
	s_and_b32 s15, s15, 7
	s_cmp_eq_u32 s9, 0
	s_cselect_b32 s9, s14, s9
	s_cselect_b32 s8, s15, s8
	s_lshl_b32 s8, s8, 20
	s_lshl_b32 s9, s9, 23
	s_or_b32 s8, s9, s8
	s_add_i32 s17, s8, 0x3b800000
	s_lshr_b32 s8, s17, 23
	s_cmpk_eq_i32 s8, 0xff
	v_mov_b32_e32 v0, 0xff
	s_cbranch_scc0 .LBB142_1470
	s_branch .LBB142_1471
.LBB142_1479:
	s_mov_b64 s[14:15], -1
	s_mov_b64 s[8:9], 0
.LBB142_1480:
	s_andn2_b64 vcc, exec, s[14:15]
	s_cbranch_vccnz .LBB142_1482
; %bb.1481:
	s_and_b32 s8, 0xffff, s16
	s_cmp_lg_u32 s8, 0
	s_cselect_b64 s[8:9], -1, 0
.LBB142_1482:
	v_mov_b32_e32 v0, 0
	s_andn2_b64 vcc, exec, s[8:9]
	v_mov_b32_e32 v1, 0
	s_cbranch_vccnz .LBB142_1484
; %bb.1483:
	s_and_b32 s9, s3, 7
	s_flbit_i32_b32 s15, s9
	s_min_u32 s15, s15, 32
	s_sub_i32 s16, s15, 28
	s_lshl_b32 s16, s3, s16
	s_lshl_b32 s8, s3, 24
	s_bfe_u32 s14, s3, 0x40003
	s_sub_i32 s15, 29, s15
	s_and_b32 s16, s16, 7
	s_cmp_eq_u32 s14, 0
	s_cselect_b32 s14, s15, s14
	s_cselect_b32 s9, s16, s9
	s_lshl_b32 s14, s14, 23
	s_and_b32 s8, s8, 0x80000000
	s_add_i32 s14, s14, 0x3b800000
	s_lshl_b32 s9, s9, 20
	s_or_b32 s8, s8, s14
	s_or_b32 s8, s8, s9
	v_trunc_f32_e32 v0, s8
	v_mul_f32_e32 v1, 0x2f800000, v0
	v_floor_f32_e32 v1, v1
	v_fmac_f32_e32 v0, 0xcf800000, v1
	v_cvt_u32_f32_e32 v0, v0
	v_cvt_u32_f32_e32 v1, v1
.LBB142_1484:
	global_store_dwordx2 v[4:5], v[0:1], off
	s_mov_b64 s[8:9], 0
	s_mov_b64 s[14:15], -1
.LBB142_1485:
	s_mov_b64 s[16:17], 0
.LBB142_1486:
	s_and_b64 vcc, exec, s[16:17]
	s_cbranch_vccz .LBB142_1510
; %bb.1487:
	s_cmp_lt_i32 s18, 27
	s_mov_b64 s[14:15], -1
	s_cbranch_scc1 .LBB142_1507
; %bb.1488:
	s_cmp_gt_i32 s18, 27
	s_cbranch_scc0 .LBB142_1497
; %bb.1489:
	s_and_b32 s19, s3, 0xff
	s_cmpk_lt_i32 s19, 0x80
	s_cbranch_scc1 .LBB142_1491
; %bb.1490:
	s_and_b32 s14, 0xffff, s19
	s_cmpk_lg_i32 s14, 0x80
	s_mov_b64 s[16:17], 0
	s_cselect_b64 s[14:15], -1, 0
	s_branch .LBB142_1492
.LBB142_1491:
	s_mov_b64 s[16:17], -1
	s_mov_b64 s[14:15], 0
.LBB142_1492:
	s_andn2_b64 vcc, exec, s[16:17]
	s_cbranch_vccnz .LBB142_1494
; %bb.1493:
	s_and_b32 s14, 0xffff, s19
	s_cmp_lg_u32 s14, 0
	s_cselect_b64 s[14:15], -1, 0
.LBB142_1494:
	s_andn2_b64 vcc, exec, s[14:15]
	v_mov_b32_e32 v0, 0
	s_cbranch_vccnz .LBB142_1496
; %bb.1495:
	s_and_b32 s15, s3, 7
	s_flbit_i32_b32 s17, s15
	s_min_u32 s17, s17, 32
	s_sub_i32 s19, s17, 28
	s_lshl_b32 s19, s3, s19
	s_lshl_b32 s14, s3, 24
	s_bfe_u32 s16, s3, 0x40003
	s_sub_i32 s17, 29, s17
	s_and_b32 s19, s19, 7
	s_cmp_eq_u32 s16, 0
	s_cselect_b32 s16, s17, s16
	s_cselect_b32 s15, s19, s15
	s_lshl_b32 s16, s16, 23
	s_and_b32 s14, s14, 0x80000000
	s_add_i32 s16, s16, 0x3b800000
	s_lshl_b32 s15, s15, 20
	s_or_b32 s14, s14, s16
	s_or_b32 s14, s14, s15
	v_cvt_u32_f32_e32 v0, s14
.LBB142_1496:
	global_store_dword v[4:5], v0, off
	s_mov_b64 s[14:15], 0
.LBB142_1497:
	s_and_b64 vcc, exec, s[14:15]
	s_cbranch_vccz .LBB142_1506
; %bb.1498:
	s_and_b32 s19, s3, 0xff
	s_cmpk_lt_i32 s19, 0x80
	s_cbranch_scc1 .LBB142_1500
; %bb.1499:
	s_and_b32 s14, 0xffff, s19
	s_cmpk_lg_i32 s14, 0x80
	s_mov_b64 s[16:17], 0
	s_cselect_b64 s[14:15], -1, 0
	s_branch .LBB142_1501
.LBB142_1500:
	s_mov_b64 s[16:17], -1
	s_mov_b64 s[14:15], 0
.LBB142_1501:
	s_andn2_b64 vcc, exec, s[16:17]
	s_cbranch_vccnz .LBB142_1503
; %bb.1502:
	s_and_b32 s14, 0xffff, s19
	s_cmp_lg_u32 s14, 0
	s_cselect_b64 s[14:15], -1, 0
.LBB142_1503:
	s_andn2_b64 vcc, exec, s[14:15]
	v_mov_b32_e32 v0, 0
	s_cbranch_vccnz .LBB142_1505
; %bb.1504:
	s_and_b32 s15, s3, 7
	s_flbit_i32_b32 s17, s15
	s_min_u32 s17, s17, 32
	s_sub_i32 s19, s17, 28
	s_lshl_b32 s19, s3, s19
	s_lshl_b32 s14, s3, 24
	s_bfe_u32 s16, s3, 0x40003
	s_sub_i32 s17, 29, s17
	s_and_b32 s19, s19, 7
	s_cmp_eq_u32 s16, 0
	s_cselect_b32 s16, s17, s16
	s_cselect_b32 s15, s19, s15
	s_lshl_b32 s16, s16, 23
	s_and_b32 s14, s14, 0x80000000
	s_add_i32 s16, s16, 0x3b800000
	s_lshl_b32 s15, s15, 20
	s_or_b32 s14, s14, s16
	s_or_b32 s14, s14, s15
	v_cvt_u32_f32_e32 v0, s14
.LBB142_1505:
	global_store_short v[4:5], v0, off
.LBB142_1506:
	s_mov_b64 s[14:15], 0
.LBB142_1507:
	s_andn2_b64 vcc, exec, s[14:15]
	s_cbranch_vccnz .LBB142_1509
; %bb.1508:
	v_mov_b32_e32 v0, s3
	global_store_byte v[4:5], v0, off
.LBB142_1509:
	s_mov_b64 s[14:15], -1
.LBB142_1510:
	s_mov_b64 s[16:17], 0
.LBB142_1511:
	s_and_b64 vcc, exec, s[16:17]
	s_cbranch_vccz .LBB142_1592
; %bb.1512:
	s_cmp_gt_i32 s18, 22
	s_mov_b64 s[12:13], -1
	s_cbranch_scc0 .LBB142_1577
; %bb.1513:
	s_cmp_lt_i32 s18, 24
	s_cbranch_scc1 .LBB142_1555
; %bb.1514:
	s_cmp_gt_i32 s18, 24
	s_cbranch_scc0 .LBB142_1533
; %bb.1515:
	s_and_b32 s17, s3, 0xff
	s_cmpk_lt_i32 s17, 0x80
	s_cbranch_scc1 .LBB142_1519
; %bb.1516:
	s_and_b32 s12, 0xffff, s17
	s_cmpk_eq_i32 s12, 0x80
	s_mov_b64 s[12:13], -1
	s_cbranch_scc0 .LBB142_1518
; %bb.1517:
	s_mov_b64 s[12:13], 0
.LBB142_1518:
	s_mov_b64 s[14:15], 0
	s_branch .LBB142_1520
.LBB142_1519:
	s_mov_b64 s[14:15], -1
	s_mov_b64 s[12:13], 0
.LBB142_1520:
	s_mov_b32 s16, 0x7f800001
	s_and_b64 vcc, exec, s[14:15]
	s_cbranch_vccz .LBB142_1523
; %bb.1521:
	s_and_b32 s12, 0xffff, s17
	s_cmp_lg_u32 s12, 0
	s_mov_b32 s16, 0
	s_cselect_b64 s[12:13], -1, 0
	s_andn2_b64 vcc, exec, s[12:13]
	s_cbranch_vccz .LBB142_1524
.LBB142_1522:
	s_and_b32 s12, s16, 0x7fffffff
	s_cmp_gt_u32 s12, 0x477fffff
	v_mov_b32_e32 v1, 0x80
	s_cbranch_scc0 .LBB142_1525
	s_branch .LBB142_1532
.LBB142_1523:
	s_andn2_b64 vcc, exec, s[12:13]
	s_cbranch_vccnz .LBB142_1522
.LBB142_1524:
	s_and_b32 s13, s3, 7
	s_flbit_i32_b32 s15, s13
	s_min_u32 s15, s15, 32
	s_sub_i32 s16, s15, 28
	s_lshl_b32 s16, s3, s16
	s_lshl_b32 s12, s3, 24
	s_bfe_u32 s14, s3, 0x40003
	s_sub_i32 s15, 29, s15
	s_and_b32 s16, s16, 7
	s_cmp_eq_u32 s14, 0
	s_cselect_b32 s14, s15, s14
	s_cselect_b32 s13, s16, s13
	s_lshl_b32 s14, s14, 23
	s_and_b32 s12, s12, 0x80000000
	s_add_i32 s14, s14, 0x3b800000
	s_lshl_b32 s13, s13, 20
	s_or_b32 s12, s12, s14
	s_or_b32 s16, s12, s13
	s_and_b32 s12, s16, 0x7fffffff
	s_cmp_gt_u32 s12, 0x477fffff
	v_mov_b32_e32 v1, 0x80
	s_cbranch_scc1 .LBB142_1532
.LBB142_1525:
	s_cmp_gt_u32 s12, 0x37ffffff
	s_cbranch_scc0 .LBB142_1527
; %bb.1526:
	s_bfe_u32 s12, s16, 0x10015
	s_add_i32 s12, s16, s12
	s_add_i32 s12, s12, 0x88fffff
	s_lshr_b32 s17, s12, 21
	s_mov_b64 s[14:15], 0
	s_mov_b64 s[12:13], -1
	s_branch .LBB142_1528
.LBB142_1527:
	s_mov_b64 s[14:15], -1
	s_mov_b64 s[12:13], 0
                                        ; implicit-def: $sgpr17
.LBB142_1528:
	s_andn2_b64 vcc, exec, s[14:15]
	v_mov_b32_e32 v0, s17
	s_cbranch_vccnz .LBB142_1530
; %bb.1529:
	v_mov_b32_e32 v0, 0x42800000
	v_add_f32_e64 v0, |s16|, v0
	v_and_b32_e32 v0, 0xff, v0
	v_cmp_ne_u32_e64 s[12:13], 0, v0
.LBB142_1530:
	s_andn2_b64 vcc, exec, s[12:13]
	v_mov_b32_e32 v1, 0
	s_cbranch_vccnz .LBB142_1532
; %bb.1531:
	s_lshr_b32 s12, s16, 24
	s_and_b32 s12, s12, 0x80
	v_or_b32_e32 v1, s12, v0
.LBB142_1532:
	global_store_byte v[4:5], v1, off
	s_mov_b64 s[12:13], 0
.LBB142_1533:
	s_and_b64 vcc, exec, s[12:13]
	s_cbranch_vccz .LBB142_1554
; %bb.1534:
	s_and_b32 s17, s3, 0xff
	s_cmpk_lt_i32 s17, 0x80
	s_cbranch_scc1 .LBB142_1538
; %bb.1535:
	s_and_b32 s12, 0xffff, s17
	s_cmpk_eq_i32 s12, 0x80
	s_mov_b64 s[12:13], -1
	s_cbranch_scc0 .LBB142_1537
; %bb.1536:
	s_mov_b64 s[12:13], 0
.LBB142_1537:
	s_mov_b64 s[14:15], 0
	s_branch .LBB142_1539
.LBB142_1538:
	s_mov_b64 s[14:15], -1
	s_mov_b64 s[12:13], 0
.LBB142_1539:
	s_mov_b32 s16, 0x7f800001
	s_and_b64 vcc, exec, s[14:15]
	s_cbranch_vccz .LBB142_1544
; %bb.1540:
	s_and_b32 s12, 0xffff, s17
	s_cmp_lg_u32 s12, 0
	s_mov_b32 s16, 0
	s_cselect_b64 s[12:13], -1, 0
	s_andn2_b64 vcc, exec, s[12:13]
	s_cbranch_vccz .LBB142_1545
.LBB142_1541:
	s_and_b32 s14, s16, 0x7fffffff
	s_cmp_lt_u32 s14, 0x43f00000
	s_cbranch_scc0 .LBB142_1546
.LBB142_1542:
	s_cmp_gt_u32 s14, 0x3c7fffff
	s_cbranch_scc0 .LBB142_1547
; %bb.1543:
	s_bfe_u32 s12, s16, 0x10014
	s_add_i32 s12, s16, s12
	s_add_i32 s12, s12, 0x407ffff
	s_lshr_b32 s13, s12, 20
	s_and_b32 s12, s12, 0xff00000
	s_cmp_lg_u32 s12, 0x7f00000
	s_cselect_b32 s15, s13, 0x7e
	s_mov_b64 s[12:13], 0
	s_branch .LBB142_1548
.LBB142_1544:
	s_andn2_b64 vcc, exec, s[12:13]
	s_cbranch_vccnz .LBB142_1541
.LBB142_1545:
	s_and_b32 s13, s3, 7
	s_flbit_i32_b32 s15, s13
	s_min_u32 s15, s15, 32
	s_sub_i32 s16, s15, 28
	s_lshl_b32 s16, s3, s16
	s_lshl_b32 s12, s3, 24
	s_bfe_u32 s14, s3, 0x40003
	s_sub_i32 s15, 29, s15
	s_and_b32 s16, s16, 7
	s_cmp_eq_u32 s14, 0
	s_cselect_b32 s14, s15, s14
	s_cselect_b32 s13, s16, s13
	s_lshl_b32 s14, s14, 23
	s_and_b32 s12, s12, 0x80000000
	s_add_i32 s14, s14, 0x3b800000
	s_lshl_b32 s13, s13, 20
	s_or_b32 s12, s12, s14
	s_or_b32 s16, s12, s13
	s_and_b32 s14, s16, 0x7fffffff
	s_cmp_lt_u32 s14, 0x43f00000
	s_cbranch_scc1 .LBB142_1542
.LBB142_1546:
	s_mov_b64 s[12:13], -1
                                        ; implicit-def: $vgpr0
	s_branch .LBB142_1551
.LBB142_1547:
	s_mov_b64 s[12:13], -1
                                        ; implicit-def: $sgpr15
.LBB142_1548:
	s_andn2_b64 vcc, exec, s[12:13]
	v_mov_b32_e32 v0, s15
	s_cbranch_vccnz .LBB142_1550
; %bb.1549:
	v_mov_b32_e32 v0, 0x46800000
	v_add_f32_e64 v0, |s16|, v0
.LBB142_1550:
	s_mov_b64 s[12:13], 0
.LBB142_1551:
	s_andn2_b64 vcc, exec, s[12:13]
	s_cbranch_vccnz .LBB142_1553
; %bb.1552:
	s_cmp_gt_u32 s14, 0x7f800000
	s_movk_i32 s12, 0x7f
	s_cselect_b32 s12, s12, 0x7e
	v_mov_b32_e32 v0, s12
.LBB142_1553:
	s_lshr_b32 s12, s16, 24
	s_and_b32 s12, s12, 0x80
	v_or_b32_e32 v0, s12, v0
	global_store_byte v[4:5], v0, off
.LBB142_1554:
	s_mov_b64 s[12:13], 0
.LBB142_1555:
	s_andn2_b64 vcc, exec, s[12:13]
	s_cbranch_vccnz .LBB142_1576
; %bb.1556:
	s_and_b32 s17, s3, 0xff
	s_cmpk_lt_i32 s17, 0x80
	s_cbranch_scc1 .LBB142_1560
; %bb.1557:
	s_and_b32 s12, 0xffff, s17
	s_cmpk_eq_i32 s12, 0x80
	s_mov_b64 s[12:13], -1
	s_cbranch_scc0 .LBB142_1559
; %bb.1558:
	s_mov_b64 s[12:13], 0
.LBB142_1559:
	s_mov_b64 s[14:15], 0
	s_branch .LBB142_1561
.LBB142_1560:
	s_mov_b64 s[14:15], -1
	s_mov_b64 s[12:13], 0
.LBB142_1561:
	s_mov_b32 s16, 0x7f800001
	s_and_b64 vcc, exec, s[14:15]
	s_cbranch_vccz .LBB142_1566
; %bb.1562:
	s_and_b32 s12, 0xffff, s17
	s_cmp_lg_u32 s12, 0
	s_mov_b32 s16, 0
	s_cselect_b64 s[12:13], -1, 0
	s_andn2_b64 vcc, exec, s[12:13]
	s_cbranch_vccz .LBB142_1567
.LBB142_1563:
	s_and_b32 s14, s16, 0x7fffffff
	s_cmp_lt_u32 s14, 0x47800000
	s_cbranch_scc0 .LBB142_1568
.LBB142_1564:
	s_cmp_gt_u32 s14, 0x387fffff
	s_cbranch_scc0 .LBB142_1569
; %bb.1565:
	s_bfe_u32 s12, s16, 0x10015
	s_add_i32 s12, s16, s12
	s_add_i32 s12, s12, 0x80fffff
	s_lshr_b32 s15, s12, 21
	s_mov_b64 s[12:13], 0
	s_branch .LBB142_1570
.LBB142_1566:
	s_andn2_b64 vcc, exec, s[12:13]
	s_cbranch_vccnz .LBB142_1563
.LBB142_1567:
	s_and_b32 s13, s3, 7
	s_flbit_i32_b32 s15, s13
	s_min_u32 s15, s15, 32
	s_sub_i32 s16, s15, 28
	s_lshl_b32 s16, s3, s16
	s_lshl_b32 s12, s3, 24
	s_bfe_u32 s14, s3, 0x40003
	s_sub_i32 s15, 29, s15
	s_and_b32 s16, s16, 7
	s_cmp_eq_u32 s14, 0
	s_cselect_b32 s14, s15, s14
	s_cselect_b32 s13, s16, s13
	s_lshl_b32 s14, s14, 23
	s_and_b32 s12, s12, 0x80000000
	s_add_i32 s14, s14, 0x3b800000
	s_lshl_b32 s13, s13, 20
	s_or_b32 s12, s12, s14
	s_or_b32 s16, s12, s13
	s_and_b32 s14, s16, 0x7fffffff
	s_cmp_lt_u32 s14, 0x47800000
	s_cbranch_scc1 .LBB142_1564
.LBB142_1568:
	s_mov_b64 s[12:13], -1
                                        ; implicit-def: $vgpr0
	s_branch .LBB142_1573
.LBB142_1569:
	s_mov_b64 s[12:13], -1
                                        ; implicit-def: $sgpr15
.LBB142_1570:
	s_andn2_b64 vcc, exec, s[12:13]
	v_mov_b32_e32 v0, s15
	s_cbranch_vccnz .LBB142_1572
; %bb.1571:
	v_mov_b32_e32 v0, 0x43000000
	v_add_f32_e64 v0, |s16|, v0
.LBB142_1572:
	s_mov_b64 s[12:13], 0
.LBB142_1573:
	s_andn2_b64 vcc, exec, s[12:13]
	s_cbranch_vccnz .LBB142_1575
; %bb.1574:
	s_cmp_gt_u32 s14, 0x7f800000
	s_movk_i32 s12, 0x7f
	s_cselect_b32 s12, s12, 0x7c
	v_mov_b32_e32 v0, s12
.LBB142_1575:
	s_lshr_b32 s12, s16, 24
	s_and_b32 s12, s12, 0x80
	v_or_b32_e32 v0, s12, v0
	global_store_byte v[4:5], v0, off
.LBB142_1576:
	s_mov_b64 s[12:13], 0
	s_mov_b64 s[14:15], -1
.LBB142_1577:
	s_andn2_b64 vcc, exec, s[12:13]
	s_mov_b64 s[12:13], 0
	s_cbranch_vccnz .LBB142_1592
; %bb.1578:
	s_cmp_gt_i32 s18, 14
	s_mov_b64 s[16:17], -1
	s_cbranch_scc0 .LBB142_1590
; %bb.1579:
	s_cmp_eq_u32 s18, 15
	s_mov_b64 s[8:9], -1
	s_cbranch_scc0 .LBB142_1589
; %bb.1580:
	s_and_b32 s14, s3, 0xff
	s_cmpk_lt_i32 s14, 0x80
	s_cbranch_scc1 .LBB142_1585
; %bb.1581:
	s_and_b32 s8, 0xffff, s14
	s_cmpk_eq_i32 s8, 0x80
	s_mov_b64 s[8:9], -1
	s_cbranch_scc0 .LBB142_1583
; %bb.1582:
	s_mov_b64 s[8:9], 0
	s_mov_b32 s15, 0x7f800001
	s_and_b64 vcc, exec, s[12:13]
	s_cbranch_vccz .LBB142_1586
	s_branch .LBB142_1584
.LBB142_1583:
	s_mov_b32 s15, 0x7f800001
	s_and_b64 vcc, exec, s[12:13]
	s_cbranch_vccz .LBB142_1586
.LBB142_1584:
	s_and_b32 s8, 0xffff, s14
	s_cmp_lg_u32 s8, 0
	s_mov_b32 s15, 0
	s_cselect_b64 s[8:9], -1, 0
	s_andn2_b64 vcc, exec, s[8:9]
	s_cbranch_vccz .LBB142_1587
	s_branch .LBB142_1588
.LBB142_1585:
	s_mov_b64 s[8:9], 0
	s_mov_b32 s15, 0x7f800001
	s_cbranch_execnz .LBB142_1584
.LBB142_1586:
	s_andn2_b64 vcc, exec, s[8:9]
	s_cbranch_vccnz .LBB142_1588
.LBB142_1587:
	s_and_b32 s9, s3, 7
	s_flbit_i32_b32 s13, s9
	s_min_u32 s13, s13, 32
	s_sub_i32 s14, s13, 28
	s_lshl_b32 s14, s3, s14
	s_lshl_b32 s8, s3, 24
	s_bfe_u32 s12, s3, 0x40003
	s_sub_i32 s13, 29, s13
	s_and_b32 s14, s14, 7
	s_cmp_eq_u32 s12, 0
	s_cselect_b32 s12, s13, s12
	s_cselect_b32 s9, s14, s9
	s_lshl_b32 s12, s12, 23
	s_and_b32 s8, s8, 0x80000000
	s_add_i32 s12, s12, 0x3b800000
	s_lshl_b32 s9, s9, 20
	s_or_b32 s8, s8, s12
	s_or_b32 s15, s8, s9
.LBB142_1588:
	s_bfe_u32 s8, s15, 0x10010
	s_add_i32 s8, s15, s8
	s_addk_i32 s8, 0x7fff
	s_lshr_b32 s12, s8, 16
	v_cmp_o_f32_e64 s[8:9], s15, s15
	s_and_b64 s[8:9], s[8:9], exec
	s_cselect_b32 s8, s12, 0x7fc0
	v_mov_b32_e32 v0, s8
	global_store_short v[4:5], v0, off
	s_mov_b64 s[8:9], 0
	s_mov_b64 s[14:15], -1
.LBB142_1589:
	s_mov_b64 s[16:17], 0
.LBB142_1590:
	s_mov_b64 s[12:13], 0
	s_and_b64 vcc, exec, s[16:17]
	s_cbranch_vccz .LBB142_1592
; %bb.1591:
	s_cmp_lg_u32 s18, 11
	s_mov_b64 s[12:13], -1
	s_cselect_b64 s[8:9], -1, 0
.LBB142_1592:
	s_and_b64 vcc, exec, s[8:9]
	s_cbranch_vccnz .LBB142_1604
; %bb.1593:
	s_andn2_b64 vcc, exec, s[12:13]
	s_cbranch_vccnz .LBB142_1595
.LBB142_1594:
	s_and_b32 s8, s3, 0xff
	s_cmp_lg_u32 s8, 0
	s_cselect_b64 s[8:9], -1, 0
	v_cndmask_b32_e64 v0, 0, 1, s[8:9]
	s_mov_b64 s[14:15], -1
	global_store_byte v[4:5], v0, off
.LBB142_1595:
	s_branch .LBB142_1453
.LBB142_1596:
	s_cmp_lt_i32 s18, 5
	s_mov_b64 s[8:9], -1
	s_cbranch_scc1 .LBB142_1674
; %bb.1597:
	s_cmp_lt_i32 s18, 8
	s_cbranch_scc1 .LBB142_1636
; %bb.1598:
	s_cmp_lt_i32 s18, 9
	s_cbranch_scc1 .LBB142_1624
; %bb.1599:
	s_cmp_gt_i32 s18, 9
	s_cbranch_scc0 .LBB142_1612
; %bb.1600:
	s_and_b32 s14, s3, 0xff
	s_cmpk_lt_i32 s14, 0x80
	s_cbranch_scc1 .LBB142_1605
; %bb.1601:
	s_and_b32 s8, 0xffff, s14
	s_cmpk_eq_i32 s8, 0x80
	s_mov_b64 s[8:9], -1
	s_cbranch_scc0 .LBB142_1603
; %bb.1602:
	s_mov_b64 s[8:9], 0
.LBB142_1603:
	s_mov_b64 s[12:13], 0
	s_branch .LBB142_1606
.LBB142_1604:
	s_trap 2
	s_or_b64 s[10:11], s[10:11], exec
	s_cbranch_execz .LBB142_1594
	s_branch .LBB142_1595
.LBB142_1605:
	s_mov_b64 s[12:13], -1
	s_mov_b64 s[8:9], 0
.LBB142_1606:
	s_and_b64 vcc, exec, s[12:13]
	s_cbranch_vccz .LBB142_1608
; %bb.1607:
	s_and_b32 s8, 0xffff, s14
	s_cmp_lg_u32 s8, 0
	s_mov_b64 s[12:13], 0
	s_cselect_b64 s[8:9], -1, 0
	s_branch .LBB142_1609
.LBB142_1608:
	s_mov_b32 s13, 0x7ff80000
	s_brev_b32 s12, 4
.LBB142_1609:
	v_mov_b32_e32 v0, s12
	s_andn2_b64 vcc, exec, s[8:9]
	v_mov_b32_e32 v1, s13
	s_cbranch_vccnz .LBB142_1611
; %bb.1610:
	s_and_b32 s9, s3, 7
	s_flbit_i32_b32 s13, s9
	s_min_u32 s13, s13, 32
	s_sub_i32 s14, s13, 28
	s_lshl_b32 s14, s3, s14
	s_lshl_b32 s8, s3, 24
	s_bfe_u32 s12, s3, 0x40003
	s_sub_i32 s13, 29, s13
	s_and_b32 s14, s14, 7
	s_cmp_eq_u32 s12, 0
	s_cselect_b32 s12, s13, s12
	s_cselect_b32 s9, s14, s9
	s_lshl_b32 s12, s12, 23
	s_and_b32 s8, s8, 0x80000000
	s_add_i32 s12, s12, 0x3b800000
	s_lshl_b32 s9, s9, 20
	s_or_b32 s8, s8, s12
	s_or_b32 s8, s8, s9
	v_cvt_f64_f32_e32 v[0:1], s8
.LBB142_1611:
	v_mov_b32_e32 v2, 0
	v_mov_b32_e32 v3, v2
	global_store_dwordx4 v[4:5], v[0:3], off
	s_mov_b64 s[8:9], 0
.LBB142_1612:
	s_and_b64 vcc, exec, s[8:9]
	s_cbranch_vccz .LBB142_1623
; %bb.1613:
	s_and_b32 s14, s3, 0xff
	s_cmpk_lt_i32 s14, 0x80
	s_cbranch_scc1 .LBB142_1617
; %bb.1614:
	s_and_b32 s8, 0xffff, s14
	s_cmpk_eq_i32 s8, 0x80
	s_mov_b64 s[8:9], -1
	s_cbranch_scc0 .LBB142_1616
; %bb.1615:
	s_mov_b64 s[8:9], 0
.LBB142_1616:
	s_mov_b64 s[12:13], 0
	s_branch .LBB142_1618
.LBB142_1617:
	s_mov_b64 s[12:13], -1
	s_mov_b64 s[8:9], 0
.LBB142_1618:
	s_mov_b32 s15, 0x7f800001
	s_and_b64 vcc, exec, s[12:13]
	s_cbranch_vccz .LBB142_1620
; %bb.1619:
	s_and_b32 s15, 0xffff, s14
	s_cmp_lg_u32 s15, 0
	s_cselect_b64 s[8:9], -1, 0
.LBB142_1620:
	s_andn2_b64 vcc, exec, s[8:9]
	s_cbranch_vccnz .LBB142_1622
; %bb.1621:
	s_and_b32 s9, s3, 7
	s_flbit_i32_b32 s13, s9
	s_min_u32 s13, s13, 32
	s_sub_i32 s14, s13, 28
	s_lshl_b32 s14, s3, s14
	s_lshl_b32 s8, s3, 24
	s_bfe_u32 s12, s3, 0x40003
	s_sub_i32 s13, 29, s13
	s_and_b32 s14, s14, 7
	s_cmp_eq_u32 s12, 0
	s_cselect_b32 s12, s13, s12
	s_cselect_b32 s9, s14, s9
	s_lshl_b32 s12, s12, 23
	s_and_b32 s8, s8, 0x80000000
	s_add_i32 s12, s12, 0x3b800000
	s_lshl_b32 s9, s9, 20
	s_or_b32 s8, s8, s12
	s_or_b32 s15, s8, s9
.LBB142_1622:
	v_mov_b32_e32 v0, s15
	v_mov_b32_e32 v1, 0
	global_store_dwordx2 v[4:5], v[0:1], off
.LBB142_1623:
	s_mov_b64 s[8:9], 0
.LBB142_1624:
	s_andn2_b64 vcc, exec, s[8:9]
	s_cbranch_vccnz .LBB142_1635
; %bb.1625:
	s_and_b32 s14, s3, 0xff
	s_cmpk_lt_i32 s14, 0x80
	s_cbranch_scc1 .LBB142_1629
; %bb.1626:
	s_and_b32 s8, 0xffff, s14
	s_cmpk_eq_i32 s8, 0x80
	s_mov_b64 s[8:9], -1
	s_cbranch_scc0 .LBB142_1628
; %bb.1627:
	s_mov_b64 s[8:9], 0
.LBB142_1628:
	s_mov_b64 s[12:13], 0
	s_branch .LBB142_1630
.LBB142_1629:
	s_mov_b64 s[12:13], -1
	s_mov_b64 s[8:9], 0
.LBB142_1630:
	s_movk_i32 s15, 0x7e00
	s_and_b64 vcc, exec, s[12:13]
	s_cbranch_vccz .LBB142_1632
; %bb.1631:
	s_and_b32 s15, 0xffff, s14
	s_cmp_lg_u32 s15, 0
	s_cselect_b64 s[8:9], -1, 0
.LBB142_1632:
	s_andn2_b64 vcc, exec, s[8:9]
	v_mov_b32_e32 v0, s15
	s_cbranch_vccnz .LBB142_1634
; %bb.1633:
	s_and_b32 s9, s3, 7
	s_flbit_i32_b32 s13, s9
	s_min_u32 s13, s13, 32
	s_sub_i32 s14, s13, 28
	s_lshl_b32 s14, s3, s14
	s_lshl_b32 s8, s3, 24
	s_bfe_u32 s12, s3, 0x40003
	s_sub_i32 s13, 29, s13
	s_and_b32 s14, s14, 7
	s_cmp_eq_u32 s12, 0
	s_cselect_b32 s12, s13, s12
	s_cselect_b32 s9, s14, s9
	s_lshl_b32 s12, s12, 23
	s_and_b32 s8, s8, 0x80000000
	s_add_i32 s12, s12, 0x3b800000
	s_lshl_b32 s9, s9, 20
	s_or_b32 s8, s8, s12
	s_or_b32 s8, s8, s9
	v_cvt_f16_f32_e32 v0, s8
.LBB142_1634:
	global_store_dword v[4:5], v0, off
.LBB142_1635:
	s_mov_b64 s[8:9], 0
.LBB142_1636:
	s_andn2_b64 vcc, exec, s[8:9]
	s_cbranch_vccnz .LBB142_1673
; %bb.1637:
	s_cmp_lt_i32 s18, 6
	s_mov_b64 s[8:9], -1
	s_cbranch_scc1 .LBB142_1662
; %bb.1638:
	s_cmp_gt_i32 s18, 6
	s_cbranch_scc0 .LBB142_1650
; %bb.1639:
	s_and_b32 s14, s3, 0xff
	s_cmpk_lt_i32 s14, 0x80
	s_cbranch_scc1 .LBB142_1643
; %bb.1640:
	s_and_b32 s8, 0xffff, s14
	s_cmpk_eq_i32 s8, 0x80
	s_mov_b64 s[8:9], -1
	s_cbranch_scc0 .LBB142_1642
; %bb.1641:
	s_mov_b64 s[8:9], 0
.LBB142_1642:
	s_mov_b64 s[12:13], 0
	s_branch .LBB142_1644
.LBB142_1643:
	s_mov_b64 s[12:13], -1
	s_mov_b64 s[8:9], 0
.LBB142_1644:
	s_and_b64 vcc, exec, s[12:13]
	s_cbranch_vccz .LBB142_1646
; %bb.1645:
	s_and_b32 s8, 0xffff, s14
	s_cmp_lg_u32 s8, 0
	s_mov_b64 s[12:13], 0
	s_cselect_b64 s[8:9], -1, 0
	s_branch .LBB142_1647
.LBB142_1646:
	s_mov_b32 s13, 0x7ff80000
	s_brev_b32 s12, 4
.LBB142_1647:
	v_mov_b32_e32 v0, s12
	s_andn2_b64 vcc, exec, s[8:9]
	v_mov_b32_e32 v1, s13
	s_cbranch_vccnz .LBB142_1649
; %bb.1648:
	s_and_b32 s9, s3, 7
	s_flbit_i32_b32 s13, s9
	s_min_u32 s13, s13, 32
	s_sub_i32 s14, s13, 28
	s_lshl_b32 s14, s3, s14
	s_lshl_b32 s8, s3, 24
	s_bfe_u32 s12, s3, 0x40003
	s_sub_i32 s13, 29, s13
	s_and_b32 s14, s14, 7
	s_cmp_eq_u32 s12, 0
	s_cselect_b32 s12, s13, s12
	s_cselect_b32 s9, s14, s9
	s_lshl_b32 s12, s12, 23
	s_and_b32 s8, s8, 0x80000000
	s_add_i32 s12, s12, 0x3b800000
	s_lshl_b32 s9, s9, 20
	s_or_b32 s8, s8, s12
	s_or_b32 s8, s8, s9
	v_cvt_f64_f32_e32 v[0:1], s8
.LBB142_1649:
	global_store_dwordx2 v[4:5], v[0:1], off
	s_mov_b64 s[8:9], 0
.LBB142_1650:
	s_and_b64 vcc, exec, s[8:9]
	s_cbranch_vccz .LBB142_1661
; %bb.1651:
	s_and_b32 s14, s3, 0xff
	s_cmpk_lt_i32 s14, 0x80
	s_cbranch_scc1 .LBB142_1655
; %bb.1652:
	s_and_b32 s8, 0xffff, s14
	s_cmpk_eq_i32 s8, 0x80
	s_mov_b64 s[8:9], -1
	s_cbranch_scc0 .LBB142_1654
; %bb.1653:
	s_mov_b64 s[8:9], 0
.LBB142_1654:
	s_mov_b64 s[12:13], 0
	s_branch .LBB142_1656
.LBB142_1655:
	s_mov_b64 s[12:13], -1
	s_mov_b64 s[8:9], 0
.LBB142_1656:
	s_mov_b32 s15, 0x7f800001
	s_and_b64 vcc, exec, s[12:13]
	s_cbranch_vccz .LBB142_1658
; %bb.1657:
	s_and_b32 s15, 0xffff, s14
	s_cmp_lg_u32 s15, 0
	s_cselect_b64 s[8:9], -1, 0
.LBB142_1658:
	s_andn2_b64 vcc, exec, s[8:9]
	s_cbranch_vccnz .LBB142_1660
; %bb.1659:
	s_and_b32 s9, s3, 7
	s_flbit_i32_b32 s13, s9
	s_min_u32 s13, s13, 32
	s_sub_i32 s14, s13, 28
	s_lshl_b32 s14, s3, s14
	s_lshl_b32 s8, s3, 24
	s_bfe_u32 s12, s3, 0x40003
	s_sub_i32 s13, 29, s13
	s_and_b32 s14, s14, 7
	s_cmp_eq_u32 s12, 0
	s_cselect_b32 s12, s13, s12
	s_cselect_b32 s9, s14, s9
	s_lshl_b32 s12, s12, 23
	s_and_b32 s8, s8, 0x80000000
	s_add_i32 s12, s12, 0x3b800000
	s_lshl_b32 s9, s9, 20
	s_or_b32 s8, s8, s12
	s_or_b32 s15, s8, s9
.LBB142_1660:
	v_mov_b32_e32 v0, s15
	global_store_dword v[4:5], v0, off
.LBB142_1661:
	s_mov_b64 s[8:9], 0
.LBB142_1662:
	s_andn2_b64 vcc, exec, s[8:9]
	s_cbranch_vccnz .LBB142_1673
; %bb.1663:
	s_and_b32 s14, s3, 0xff
	s_cmpk_lt_i32 s14, 0x80
	s_cbranch_scc1 .LBB142_1667
; %bb.1664:
	s_and_b32 s8, 0xffff, s14
	s_cmpk_eq_i32 s8, 0x80
	s_mov_b64 s[8:9], -1
	s_cbranch_scc0 .LBB142_1666
; %bb.1665:
	s_mov_b64 s[8:9], 0
.LBB142_1666:
	s_mov_b64 s[12:13], 0
	s_branch .LBB142_1668
.LBB142_1667:
	s_mov_b64 s[12:13], -1
	s_mov_b64 s[8:9], 0
.LBB142_1668:
	s_movk_i32 s15, 0x7e00
	s_and_b64 vcc, exec, s[12:13]
	s_cbranch_vccz .LBB142_1670
; %bb.1669:
	s_and_b32 s8, 0xffff, s14
	s_cmp_lg_u32 s8, 0
	s_cselect_b64 s[8:9], -1, 0
	s_mov_b32 s15, s14
.LBB142_1670:
	s_andn2_b64 vcc, exec, s[8:9]
	v_mov_b32_e32 v0, s15
	s_cbranch_vccnz .LBB142_1672
; %bb.1671:
	s_and_b32 s9, s3, 7
	s_flbit_i32_b32 s13, s9
	s_min_u32 s13, s13, 32
	s_sub_i32 s14, s13, 28
	s_lshl_b32 s14, s3, s14
	s_lshl_b32 s8, s3, 24
	s_bfe_u32 s12, s3, 0x40003
	s_sub_i32 s13, 29, s13
	s_and_b32 s14, s14, 7
	s_cmp_eq_u32 s12, 0
	s_cselect_b32 s12, s13, s12
	s_cselect_b32 s9, s14, s9
	s_lshl_b32 s12, s12, 23
	s_and_b32 s8, s8, 0x80000000
	s_add_i32 s12, s12, 0x3b800000
	s_lshl_b32 s9, s9, 20
	s_or_b32 s8, s8, s12
	s_or_b32 s8, s8, s9
	v_cvt_f16_f32_e32 v0, s8
.LBB142_1672:
	global_store_short v[4:5], v0, off
.LBB142_1673:
	s_mov_b64 s[8:9], 0
.LBB142_1674:
	s_andn2_b64 vcc, exec, s[8:9]
	s_cbranch_vccnz .LBB142_1725
; %bb.1675:
	s_cmp_lt_i32 s18, 2
	s_mov_b64 s[8:9], -1
	s_cbranch_scc1 .LBB142_1706
; %bb.1676:
	s_cmp_lt_i32 s18, 3
	s_cbranch_scc1 .LBB142_1696
; %bb.1677:
	s_cmp_gt_i32 s18, 3
	s_cbranch_scc0 .LBB142_1686
; %bb.1678:
	s_and_b32 s14, s3, 0xff
	s_cmpk_lt_i32 s14, 0x80
	s_cbranch_scc1 .LBB142_1680
; %bb.1679:
	s_and_b32 s8, 0xffff, s14
	s_cmpk_lg_i32 s8, 0x80
	s_mov_b64 s[12:13], 0
	s_cselect_b64 s[8:9], -1, 0
	s_branch .LBB142_1681
.LBB142_1680:
	s_mov_b64 s[12:13], -1
	s_mov_b64 s[8:9], 0
.LBB142_1681:
	s_andn2_b64 vcc, exec, s[12:13]
	s_cbranch_vccnz .LBB142_1683
; %bb.1682:
	s_and_b32 s8, 0xffff, s14
	s_cmp_lg_u32 s8, 0
	s_cselect_b64 s[8:9], -1, 0
.LBB142_1683:
	v_mov_b32_e32 v0, 0
	s_andn2_b64 vcc, exec, s[8:9]
	v_mov_b32_e32 v1, 0
	s_cbranch_vccnz .LBB142_1685
; %bb.1684:
	s_and_b32 s9, s3, 7
	s_flbit_i32_b32 s13, s9
	s_min_u32 s13, s13, 32
	s_sub_i32 s14, s13, 28
	s_lshl_b32 s14, s3, s14
	s_lshl_b32 s8, s3, 24
	s_bfe_u32 s12, s3, 0x40003
	s_sub_i32 s13, 29, s13
	s_and_b32 s14, s14, 7
	s_cmp_eq_u32 s12, 0
	s_cselect_b32 s12, s13, s12
	s_cselect_b32 s9, s14, s9
	s_lshl_b32 s12, s12, 23
	s_and_b32 s8, s8, 0x80000000
	s_add_i32 s12, s12, 0x3b800000
	s_lshl_b32 s9, s9, 20
	s_or_b32 s8, s8, s12
	s_or_b32 s8, s8, s9
	v_trunc_f32_e32 v0, s8
	s_mov_b32 s8, 0x2f800000
	v_mul_f32_e64 v1, |v0|, s8
	v_floor_f32_e32 v1, v1
	s_mov_b32 s8, 0xcf800000
	v_fma_f32 v2, v1, s8, |v0|
	v_cvt_u32_f32_e32 v2, v2
	v_cvt_u32_f32_e32 v1, v1
	v_ashrrev_i32_e32 v3, 31, v0
	v_xor_b32_e32 v0, v2, v3
	v_xor_b32_e32 v1, v1, v3
	v_sub_co_u32_e32 v0, vcc, v0, v3
	v_subb_co_u32_e32 v1, vcc, v1, v3, vcc
.LBB142_1685:
	global_store_dwordx2 v[4:5], v[0:1], off
	s_mov_b64 s[8:9], 0
.LBB142_1686:
	s_and_b64 vcc, exec, s[8:9]
	s_cbranch_vccz .LBB142_1695
; %bb.1687:
	s_and_b32 s14, s3, 0xff
	s_cmpk_lt_i32 s14, 0x80
	s_cbranch_scc1 .LBB142_1689
; %bb.1688:
	s_and_b32 s8, 0xffff, s14
	s_cmpk_lg_i32 s8, 0x80
	s_mov_b64 s[12:13], 0
	s_cselect_b64 s[8:9], -1, 0
	s_branch .LBB142_1690
.LBB142_1689:
	s_mov_b64 s[12:13], -1
	s_mov_b64 s[8:9], 0
.LBB142_1690:
	s_andn2_b64 vcc, exec, s[12:13]
	s_cbranch_vccnz .LBB142_1692
; %bb.1691:
	s_and_b32 s8, 0xffff, s14
	s_cmp_lg_u32 s8, 0
	s_cselect_b64 s[8:9], -1, 0
.LBB142_1692:
	s_andn2_b64 vcc, exec, s[8:9]
	v_mov_b32_e32 v0, 0
	s_cbranch_vccnz .LBB142_1694
; %bb.1693:
	s_and_b32 s9, s3, 7
	s_flbit_i32_b32 s13, s9
	s_min_u32 s13, s13, 32
	s_sub_i32 s14, s13, 28
	s_lshl_b32 s14, s3, s14
	s_lshl_b32 s8, s3, 24
	s_bfe_u32 s12, s3, 0x40003
	s_sub_i32 s13, 29, s13
	s_and_b32 s14, s14, 7
	s_cmp_eq_u32 s12, 0
	s_cselect_b32 s12, s13, s12
	s_cselect_b32 s9, s14, s9
	s_lshl_b32 s12, s12, 23
	s_and_b32 s8, s8, 0x80000000
	s_add_i32 s12, s12, 0x3b800000
	s_lshl_b32 s9, s9, 20
	s_or_b32 s8, s8, s12
	s_or_b32 s8, s8, s9
	v_cvt_i32_f32_e32 v0, s8
.LBB142_1694:
	global_store_dword v[4:5], v0, off
.LBB142_1695:
	s_mov_b64 s[8:9], 0
.LBB142_1696:
	s_andn2_b64 vcc, exec, s[8:9]
	s_cbranch_vccnz .LBB142_1705
; %bb.1697:
	s_and_b32 s14, s3, 0xff
	s_cmpk_lt_i32 s14, 0x80
	s_cbranch_scc1 .LBB142_1699
; %bb.1698:
	s_and_b32 s8, 0xffff, s14
	s_cmpk_lg_i32 s8, 0x80
	s_mov_b64 s[12:13], 0
	s_cselect_b64 s[8:9], -1, 0
	s_branch .LBB142_1700
.LBB142_1699:
	s_mov_b64 s[12:13], -1
	s_mov_b64 s[8:9], 0
.LBB142_1700:
	s_andn2_b64 vcc, exec, s[12:13]
	s_cbranch_vccnz .LBB142_1702
; %bb.1701:
	s_and_b32 s8, 0xffff, s14
	s_cmp_lg_u32 s8, 0
	s_cselect_b64 s[8:9], -1, 0
.LBB142_1702:
	s_andn2_b64 vcc, exec, s[8:9]
	v_mov_b32_e32 v0, 0
	s_cbranch_vccnz .LBB142_1704
; %bb.1703:
	s_and_b32 s9, s3, 7
	s_flbit_i32_b32 s13, s9
	s_min_u32 s13, s13, 32
	s_sub_i32 s14, s13, 28
	s_lshl_b32 s14, s3, s14
	s_lshl_b32 s8, s3, 24
	s_bfe_u32 s12, s3, 0x40003
	s_sub_i32 s13, 29, s13
	s_and_b32 s14, s14, 7
	s_cmp_eq_u32 s12, 0
	s_cselect_b32 s12, s13, s12
	s_cselect_b32 s9, s14, s9
	s_lshl_b32 s12, s12, 23
	s_and_b32 s8, s8, 0x80000000
	s_add_i32 s12, s12, 0x3b800000
	s_lshl_b32 s9, s9, 20
	s_or_b32 s8, s8, s12
	s_or_b32 s8, s8, s9
	v_cvt_i32_f32_e32 v0, s8
.LBB142_1704:
	global_store_short v[4:5], v0, off
.LBB142_1705:
	s_mov_b64 s[8:9], 0
.LBB142_1706:
	s_andn2_b64 vcc, exec, s[8:9]
	s_cbranch_vccnz .LBB142_1725
; %bb.1707:
	s_cmp_gt_i32 s18, 0
	s_mov_b64 s[8:9], -1
	s_cbranch_scc0 .LBB142_1716
; %bb.1708:
	s_and_b32 s14, s3, 0xff
	s_cmpk_lt_i32 s14, 0x80
	s_cbranch_scc1 .LBB142_1710
; %bb.1709:
	s_and_b32 s8, 0xffff, s14
	s_cmpk_lg_i32 s8, 0x80
	s_mov_b64 s[12:13], 0
	s_cselect_b64 s[8:9], -1, 0
	s_branch .LBB142_1711
.LBB142_1710:
	s_mov_b64 s[12:13], -1
	s_mov_b64 s[8:9], 0
.LBB142_1711:
	s_andn2_b64 vcc, exec, s[12:13]
	s_cbranch_vccnz .LBB142_1713
; %bb.1712:
	s_and_b32 s8, 0xffff, s14
	s_cmp_lg_u32 s8, 0
	s_cselect_b64 s[8:9], -1, 0
.LBB142_1713:
	s_andn2_b64 vcc, exec, s[8:9]
	v_mov_b32_e32 v0, 0
	s_cbranch_vccnz .LBB142_1715
; %bb.1714:
	s_and_b32 s9, s3, 7
	s_flbit_i32_b32 s13, s9
	s_min_u32 s13, s13, 32
	s_sub_i32 s14, s13, 28
	s_lshl_b32 s14, s3, s14
	s_lshl_b32 s8, s3, 24
	s_bfe_u32 s12, s3, 0x40003
	s_sub_i32 s13, 29, s13
	s_and_b32 s14, s14, 7
	s_cmp_eq_u32 s12, 0
	s_cselect_b32 s12, s13, s12
	s_cselect_b32 s9, s14, s9
	s_lshl_b32 s12, s12, 23
	s_and_b32 s8, s8, 0x80000000
	s_add_i32 s12, s12, 0x3b800000
	s_lshl_b32 s9, s9, 20
	s_or_b32 s8, s8, s12
	s_or_b32 s8, s8, s9
	v_cvt_i32_f32_e32 v0, s8
.LBB142_1715:
	global_store_byte v[4:5], v0, off
	s_mov_b64 s[8:9], 0
.LBB142_1716:
	s_and_b64 vcc, exec, s[8:9]
	s_cbranch_vccz .LBB142_1725
; %bb.1717:
	s_and_b32 s14, s3, 0xff
	s_cmpk_lt_i32 s14, 0x80
	s_cbranch_scc1 .LBB142_1719
; %bb.1718:
	s_and_b32 s8, 0xffff, s14
	s_cmpk_lg_i32 s8, 0x80
	s_mov_b64 s[12:13], 0
	s_cselect_b64 s[8:9], -1, 0
	s_branch .LBB142_1720
.LBB142_1719:
	s_mov_b64 s[12:13], -1
	s_mov_b64 s[8:9], 0
.LBB142_1720:
	s_andn2_b64 vcc, exec, s[12:13]
	s_cbranch_vccnz .LBB142_1722
; %bb.1721:
	s_and_b32 s8, 0xffff, s14
	s_cmp_lg_u32 s8, 0
	s_cselect_b64 s[8:9], -1, 0
.LBB142_1722:
	s_andn2_b64 vcc, exec, s[8:9]
	v_mov_b32_e32 v0, 0
	s_cbranch_vccnz .LBB142_1724
; %bb.1723:
	s_and_b32 s9, s3, 7
	s_flbit_i32_b32 s13, s9
	s_min_u32 s13, s13, 32
	s_sub_i32 s14, s13, 28
	s_lshl_b32 s14, s3, s14
	s_lshl_b32 s8, s3, 24
	s_bfe_u32 s12, s3, 0x40003
	s_sub_i32 s13, 29, s13
	s_and_b32 s14, s14, 7
	s_cmp_eq_u32 s12, 0
	s_cselect_b32 s12, s13, s12
	s_cselect_b32 s9, s14, s9
	s_lshl_b32 s12, s12, 23
	s_and_b32 s8, s8, 0x80000000
	s_add_i32 s12, s12, 0x3b800000
	s_lshl_b32 s9, s9, 20
	s_or_b32 s8, s8, s12
	s_or_b32 s8, s8, s9
	v_trunc_f32_e32 v0, s8
	s_mov_b32 s8, 0x2f800000
	v_mul_f32_e64 v1, |v0|, s8
	v_floor_f32_e32 v1, v1
	s_mov_b32 s8, 0xcf800000
	v_fma_f32 v1, v1, s8, |v0|
	v_cvt_u32_f32_e32 v1, v1
	v_ashrrev_i32_e32 v0, 31, v0
	v_xor_b32_e32 v1, v1, v0
	v_sub_u32_e32 v0, v1, v0
.LBB142_1724:
	global_store_byte v[4:5], v0, off
.LBB142_1725:
.LBB142_1726:
	v_add_u32_e32 v6, s2, v6
	v_ashrrev_i32_e32 v0, 31, v6
	v_mov_b32_e32 v1, s1
	v_add_co_u32_e32 v4, vcc, s0, v6
	s_cmp_lt_i32 s18, 11
	v_addc_co_u32_e32 v5, vcc, v1, v0, vcc
	s_cbranch_scc1 .LBB142_1735
; %bb.1727:
	s_mov_b64 s[16:17], -1
	s_mov_b64 s[12:13], 0
	s_cmp_gt_i32 s18, 25
	s_mov_b64 s[14:15], 0
	s_mov_b64 s[8:9], 0
	s_cbranch_scc0 .LBB142_1805
; %bb.1728:
	s_cmp_gt_i32 s18, 28
	s_cbranch_scc0 .LBB142_1780
; %bb.1729:
	s_cmp_gt_i32 s18, 43
	s_cbranch_scc0 .LBB142_1767
; %bb.1730:
	s_cmp_gt_i32 s18, 45
	s_cbranch_scc0 .LBB142_1754
; %bb.1731:
	s_mov_b64 s[8:9], -1
	s_mov_b64 s[16:17], 0
	s_cmp_eq_u32 s18, 46
	s_cbranch_scc0 .LBB142_1754
; %bb.1732:
	s_and_b32 s19, s3, 0xff
	s_cmpk_lt_i32 s19, 0x80
	s_cbranch_scc1 .LBB142_1750
; %bb.1733:
	s_and_b32 s8, 0xffff, s19
	s_cmpk_eq_i32 s8, 0x80
	s_mov_b64 s[8:9], -1
	s_cbranch_scc0 .LBB142_1748
; %bb.1734:
	s_mov_b64 s[8:9], 0
	s_mov_b32 s20, 0x7f800001
	s_and_b64 vcc, exec, s[14:15]
	s_cbranch_vccz .LBB142_1751
	s_branch .LBB142_1749
.LBB142_1735:
	s_mov_b64 s[14:15], 0
	s_cbranch_execnz .LBB142_1890
.LBB142_1736:
	s_andn2_b64 vcc, exec, s[14:15]
	s_cbranch_vccnz .LBB142_2020
.LBB142_1737:
	v_add_u32_e32 v0, s2, v6
	v_ashrrev_i32_e32 v1, 31, v0
	v_mov_b32_e32 v2, s1
	v_add_co_u32_e32 v4, vcc, s0, v0
	s_cmp_lt_i32 s18, 11
	v_addc_co_u32_e32 v5, vcc, v2, v1, vcc
	s_cbranch_scc1 .LBB142_1747
; %bb.1738:
	s_mov_b64 s[12:13], -1
	s_mov_b64 s[8:9], 0
	s_cmp_gt_i32 s18, 25
	s_mov_b64 s[0:1], 0
	s_cbranch_scc0 .LBB142_2213
; %bb.1739:
	s_cmp_gt_i32 s18, 28
	s_cbranch_scc0 .LBB142_2189
; %bb.1740:
	s_cmp_gt_i32 s18, 43
	;; [unrolled: 3-line block ×3, first 2 shown]
	s_cbranch_scc0 .LBB142_2163
; %bb.1742:
	s_cmp_eq_u32 s18, 46
	s_mov_b64 s[0:1], -1
	s_cbranch_scc0 .LBB142_2162
; %bb.1743:
	s_and_b32 s2, s3, 0xff
	s_cmpk_lt_i32 s2, 0x80
	s_cbranch_scc1 .LBB142_2156
; %bb.1744:
	s_and_b32 s0, 0xffff, s2
	s_cmpk_eq_i32 s0, 0x80
	s_mov_b64 s[0:1], -1
	s_cbranch_scc0 .LBB142_1746
; %bb.1745:
	s_mov_b64 s[0:1], 0
.LBB142_1746:
	s_mov_b64 s[12:13], 0
	s_branch .LBB142_2157
.LBB142_1747:
	s_mov_b64 s[8:9], 0
	s_mov_b64 s[0:1], -1
	s_branch .LBB142_2021
.LBB142_1748:
	s_mov_b32 s20, 0x7f800001
	s_and_b64 vcc, exec, s[14:15]
	s_cbranch_vccz .LBB142_1751
.LBB142_1749:
	s_and_b32 s8, 0xffff, s19
	s_cmp_lg_u32 s8, 0
	s_mov_b32 s20, 0
	s_cselect_b64 s[8:9], -1, 0
	s_andn2_b64 vcc, exec, s[8:9]
	s_cbranch_vccz .LBB142_1752
	s_branch .LBB142_1753
.LBB142_1750:
	s_mov_b64 s[8:9], 0
	s_mov_b32 s20, 0x7f800001
	s_cbranch_execnz .LBB142_1749
.LBB142_1751:
	s_andn2_b64 vcc, exec, s[8:9]
	s_cbranch_vccnz .LBB142_1753
.LBB142_1752:
	s_and_b32 s9, s3, 7
	s_flbit_i32_b32 s15, s9
	s_min_u32 s15, s15, 32
	s_sub_i32 s19, s15, 28
	s_lshl_b32 s19, s3, s19
	s_lshl_b32 s8, s3, 24
	s_bfe_u32 s14, s3, 0x40003
	s_sub_i32 s15, 29, s15
	s_and_b32 s19, s19, 7
	s_cmp_eq_u32 s14, 0
	s_cselect_b32 s14, s15, s14
	s_cselect_b32 s9, s19, s9
	s_lshl_b32 s14, s14, 23
	s_and_b32 s8, s8, 0x80000000
	s_add_i32 s14, s14, 0x3b800000
	s_lshl_b32 s9, s9, 20
	s_or_b32 s8, s8, s14
	s_or_b32 s20, s8, s9
.LBB142_1753:
	s_bfe_u32 s8, s20, 0x10010
	s_add_i32 s8, s20, s8
	s_addk_i32 s8, 0x7fff
	s_lshr_b32 s14, s8, 16
	v_cmp_o_f32_e64 s[8:9], s20, s20
	s_and_b64 s[8:9], s[8:9], exec
	s_cselect_b32 s8, s14, 0x7fc0
	v_mov_b32_e32 v0, s8
	s_mov_b64 s[8:9], 0
	s_mov_b64 s[14:15], -1
	global_store_dword v[4:5], v0, off
.LBB142_1754:
	s_and_b64 vcc, exec, s[16:17]
	s_cbranch_vccz .LBB142_1766
; %bb.1755:
	s_cmp_eq_u32 s18, 44
	s_mov_b64 s[8:9], -1
	s_cbranch_scc0 .LBB142_1766
; %bb.1756:
	s_and_b32 s16, s3, 0xff
	s_cmpk_lt_i32 s16, 0x80
	s_cbranch_scc1 .LBB142_1760
; %bb.1757:
	s_and_b32 s8, 0xffff, s16
	s_cmpk_eq_i32 s8, 0x80
	s_mov_b64 s[8:9], -1
	s_cbranch_scc0 .LBB142_1759
; %bb.1758:
	s_mov_b64 s[8:9], 0
.LBB142_1759:
	s_mov_b64 s[14:15], 0
	s_branch .LBB142_1761
.LBB142_1760:
	s_mov_b64 s[14:15], -1
	s_mov_b64 s[8:9], 0
.LBB142_1761:
	s_mov_b32 s17, 0x7f800001
	s_and_b64 vcc, exec, s[14:15]
	s_cbranch_vccz .LBB142_1771
; %bb.1762:
	s_and_b32 s17, 0xffff, s16
	s_cmp_lg_u32 s17, 0
	s_cselect_b64 s[8:9], -1, 0
	s_andn2_b64 vcc, exec, s[8:9]
	s_cbranch_vccz .LBB142_1772
.LBB142_1763:
	s_lshr_b32 s8, s17, 23
	s_cmpk_eq_i32 s8, 0xff
	v_mov_b32_e32 v0, 0xff
	s_cbranch_scc1 .LBB142_1765
.LBB142_1764:
	s_bitcmp1_b32 s17, 22
	s_cselect_b64 s[14:15], -1, 0
	s_and_b32 s9, s17, 0x3fffff
	s_or_b32 s9, s8, s9
	s_cmp_lg_u32 s9, 0
	s_cselect_b64 s[16:17], -1, 0
	s_and_b64 s[14:15], s[14:15], s[16:17]
	v_cndmask_b32_e64 v0, 0, 1, s[14:15]
	v_add_u32_e32 v0, s8, v0
.LBB142_1765:
	s_mov_b64 s[8:9], 0
	s_mov_b64 s[14:15], -1
	global_store_byte v[4:5], v0, off
.LBB142_1766:
	s_mov_b64 s[16:17], 0
.LBB142_1767:
	s_and_b64 vcc, exec, s[16:17]
	s_cbranch_vccz .LBB142_1779
; %bb.1768:
	s_cmp_eq_u32 s18, 29
	s_mov_b64 s[8:9], -1
	s_cbranch_scc0 .LBB142_1779
; %bb.1769:
	s_and_b32 s16, s3, 0xff
	s_cmpk_lt_i32 s16, 0x80
	s_cbranch_scc1 .LBB142_1773
; %bb.1770:
	s_and_b32 s8, 0xffff, s16
	s_cmpk_lg_i32 s8, 0x80
	s_mov_b64 s[14:15], 0
	s_cselect_b64 s[8:9], -1, 0
	s_branch .LBB142_1774
.LBB142_1771:
	s_andn2_b64 vcc, exec, s[8:9]
	s_cbranch_vccnz .LBB142_1763
.LBB142_1772:
	s_and_b32 s8, s3, 7
	s_flbit_i32_b32 s14, s8
	s_min_u32 s14, s14, 32
	s_sub_i32 s15, s14, 28
	s_lshl_b32 s15, s3, s15
	s_bfe_u32 s9, s3, 0x40003
	s_sub_i32 s14, 29, s14
	s_and_b32 s15, s15, 7
	s_cmp_eq_u32 s9, 0
	s_cselect_b32 s9, s14, s9
	s_cselect_b32 s8, s15, s8
	s_lshl_b32 s8, s8, 20
	s_lshl_b32 s9, s9, 23
	s_or_b32 s8, s9, s8
	s_add_i32 s17, s8, 0x3b800000
	s_lshr_b32 s8, s17, 23
	s_cmpk_eq_i32 s8, 0xff
	v_mov_b32_e32 v0, 0xff
	s_cbranch_scc0 .LBB142_1764
	s_branch .LBB142_1765
.LBB142_1773:
	s_mov_b64 s[14:15], -1
	s_mov_b64 s[8:9], 0
.LBB142_1774:
	s_andn2_b64 vcc, exec, s[14:15]
	s_cbranch_vccnz .LBB142_1776
; %bb.1775:
	s_and_b32 s8, 0xffff, s16
	s_cmp_lg_u32 s8, 0
	s_cselect_b64 s[8:9], -1, 0
.LBB142_1776:
	v_mov_b32_e32 v0, 0
	s_andn2_b64 vcc, exec, s[8:9]
	v_mov_b32_e32 v1, 0
	s_cbranch_vccnz .LBB142_1778
; %bb.1777:
	s_and_b32 s9, s3, 7
	s_flbit_i32_b32 s15, s9
	s_min_u32 s15, s15, 32
	s_sub_i32 s16, s15, 28
	s_lshl_b32 s16, s3, s16
	s_lshl_b32 s8, s3, 24
	s_bfe_u32 s14, s3, 0x40003
	s_sub_i32 s15, 29, s15
	s_and_b32 s16, s16, 7
	s_cmp_eq_u32 s14, 0
	s_cselect_b32 s14, s15, s14
	s_cselect_b32 s9, s16, s9
	s_lshl_b32 s14, s14, 23
	s_and_b32 s8, s8, 0x80000000
	s_add_i32 s14, s14, 0x3b800000
	s_lshl_b32 s9, s9, 20
	s_or_b32 s8, s8, s14
	s_or_b32 s8, s8, s9
	v_trunc_f32_e32 v0, s8
	v_mul_f32_e32 v1, 0x2f800000, v0
	v_floor_f32_e32 v1, v1
	v_fmac_f32_e32 v0, 0xcf800000, v1
	v_cvt_u32_f32_e32 v0, v0
	v_cvt_u32_f32_e32 v1, v1
.LBB142_1778:
	global_store_dwordx2 v[4:5], v[0:1], off
	s_mov_b64 s[8:9], 0
	s_mov_b64 s[14:15], -1
.LBB142_1779:
	s_mov_b64 s[16:17], 0
.LBB142_1780:
	s_and_b64 vcc, exec, s[16:17]
	s_cbranch_vccz .LBB142_1804
; %bb.1781:
	s_cmp_lt_i32 s18, 27
	s_mov_b64 s[14:15], -1
	s_cbranch_scc1 .LBB142_1801
; %bb.1782:
	s_cmp_gt_i32 s18, 27
	s_cbranch_scc0 .LBB142_1791
; %bb.1783:
	s_and_b32 s19, s3, 0xff
	s_cmpk_lt_i32 s19, 0x80
	s_cbranch_scc1 .LBB142_1785
; %bb.1784:
	s_and_b32 s14, 0xffff, s19
	s_cmpk_lg_i32 s14, 0x80
	s_mov_b64 s[16:17], 0
	s_cselect_b64 s[14:15], -1, 0
	s_branch .LBB142_1786
.LBB142_1785:
	s_mov_b64 s[16:17], -1
	s_mov_b64 s[14:15], 0
.LBB142_1786:
	s_andn2_b64 vcc, exec, s[16:17]
	s_cbranch_vccnz .LBB142_1788
; %bb.1787:
	s_and_b32 s14, 0xffff, s19
	s_cmp_lg_u32 s14, 0
	s_cselect_b64 s[14:15], -1, 0
.LBB142_1788:
	s_andn2_b64 vcc, exec, s[14:15]
	v_mov_b32_e32 v0, 0
	s_cbranch_vccnz .LBB142_1790
; %bb.1789:
	s_and_b32 s15, s3, 7
	s_flbit_i32_b32 s17, s15
	s_min_u32 s17, s17, 32
	s_sub_i32 s19, s17, 28
	s_lshl_b32 s19, s3, s19
	s_lshl_b32 s14, s3, 24
	s_bfe_u32 s16, s3, 0x40003
	s_sub_i32 s17, 29, s17
	s_and_b32 s19, s19, 7
	s_cmp_eq_u32 s16, 0
	s_cselect_b32 s16, s17, s16
	s_cselect_b32 s15, s19, s15
	s_lshl_b32 s16, s16, 23
	s_and_b32 s14, s14, 0x80000000
	s_add_i32 s16, s16, 0x3b800000
	s_lshl_b32 s15, s15, 20
	s_or_b32 s14, s14, s16
	s_or_b32 s14, s14, s15
	v_cvt_u32_f32_e32 v0, s14
.LBB142_1790:
	global_store_dword v[4:5], v0, off
	s_mov_b64 s[14:15], 0
.LBB142_1791:
	s_and_b64 vcc, exec, s[14:15]
	s_cbranch_vccz .LBB142_1800
; %bb.1792:
	s_and_b32 s19, s3, 0xff
	s_cmpk_lt_i32 s19, 0x80
	s_cbranch_scc1 .LBB142_1794
; %bb.1793:
	s_and_b32 s14, 0xffff, s19
	s_cmpk_lg_i32 s14, 0x80
	s_mov_b64 s[16:17], 0
	s_cselect_b64 s[14:15], -1, 0
	s_branch .LBB142_1795
.LBB142_1794:
	s_mov_b64 s[16:17], -1
	s_mov_b64 s[14:15], 0
.LBB142_1795:
	s_andn2_b64 vcc, exec, s[16:17]
	s_cbranch_vccnz .LBB142_1797
; %bb.1796:
	s_and_b32 s14, 0xffff, s19
	s_cmp_lg_u32 s14, 0
	s_cselect_b64 s[14:15], -1, 0
.LBB142_1797:
	s_andn2_b64 vcc, exec, s[14:15]
	v_mov_b32_e32 v0, 0
	s_cbranch_vccnz .LBB142_1799
; %bb.1798:
	s_and_b32 s15, s3, 7
	s_flbit_i32_b32 s17, s15
	s_min_u32 s17, s17, 32
	s_sub_i32 s19, s17, 28
	s_lshl_b32 s19, s3, s19
	s_lshl_b32 s14, s3, 24
	s_bfe_u32 s16, s3, 0x40003
	s_sub_i32 s17, 29, s17
	s_and_b32 s19, s19, 7
	s_cmp_eq_u32 s16, 0
	s_cselect_b32 s16, s17, s16
	s_cselect_b32 s15, s19, s15
	s_lshl_b32 s16, s16, 23
	s_and_b32 s14, s14, 0x80000000
	s_add_i32 s16, s16, 0x3b800000
	s_lshl_b32 s15, s15, 20
	s_or_b32 s14, s14, s16
	s_or_b32 s14, s14, s15
	v_cvt_u32_f32_e32 v0, s14
.LBB142_1799:
	global_store_short v[4:5], v0, off
.LBB142_1800:
	s_mov_b64 s[14:15], 0
.LBB142_1801:
	s_andn2_b64 vcc, exec, s[14:15]
	s_cbranch_vccnz .LBB142_1803
; %bb.1802:
	v_mov_b32_e32 v0, s3
	global_store_byte v[4:5], v0, off
.LBB142_1803:
	s_mov_b64 s[14:15], -1
.LBB142_1804:
	s_mov_b64 s[16:17], 0
.LBB142_1805:
	s_and_b64 vcc, exec, s[16:17]
	s_cbranch_vccz .LBB142_1886
; %bb.1806:
	s_cmp_gt_i32 s18, 22
	s_mov_b64 s[12:13], -1
	s_cbranch_scc0 .LBB142_1871
; %bb.1807:
	s_cmp_lt_i32 s18, 24
	s_cbranch_scc1 .LBB142_1849
; %bb.1808:
	s_cmp_gt_i32 s18, 24
	s_cbranch_scc0 .LBB142_1827
; %bb.1809:
	s_and_b32 s17, s3, 0xff
	s_cmpk_lt_i32 s17, 0x80
	s_cbranch_scc1 .LBB142_1813
; %bb.1810:
	s_and_b32 s12, 0xffff, s17
	s_cmpk_eq_i32 s12, 0x80
	s_mov_b64 s[12:13], -1
	s_cbranch_scc0 .LBB142_1812
; %bb.1811:
	s_mov_b64 s[12:13], 0
.LBB142_1812:
	s_mov_b64 s[14:15], 0
	s_branch .LBB142_1814
.LBB142_1813:
	s_mov_b64 s[14:15], -1
	s_mov_b64 s[12:13], 0
.LBB142_1814:
	s_mov_b32 s16, 0x7f800001
	s_and_b64 vcc, exec, s[14:15]
	s_cbranch_vccz .LBB142_1817
; %bb.1815:
	s_and_b32 s12, 0xffff, s17
	s_cmp_lg_u32 s12, 0
	s_mov_b32 s16, 0
	s_cselect_b64 s[12:13], -1, 0
	s_andn2_b64 vcc, exec, s[12:13]
	s_cbranch_vccz .LBB142_1818
.LBB142_1816:
	s_and_b32 s12, s16, 0x7fffffff
	s_cmp_gt_u32 s12, 0x477fffff
	v_mov_b32_e32 v1, 0x80
	s_cbranch_scc0 .LBB142_1819
	s_branch .LBB142_1826
.LBB142_1817:
	s_andn2_b64 vcc, exec, s[12:13]
	s_cbranch_vccnz .LBB142_1816
.LBB142_1818:
	s_and_b32 s13, s3, 7
	s_flbit_i32_b32 s15, s13
	s_min_u32 s15, s15, 32
	s_sub_i32 s16, s15, 28
	s_lshl_b32 s16, s3, s16
	s_lshl_b32 s12, s3, 24
	s_bfe_u32 s14, s3, 0x40003
	s_sub_i32 s15, 29, s15
	s_and_b32 s16, s16, 7
	s_cmp_eq_u32 s14, 0
	s_cselect_b32 s14, s15, s14
	s_cselect_b32 s13, s16, s13
	s_lshl_b32 s14, s14, 23
	s_and_b32 s12, s12, 0x80000000
	s_add_i32 s14, s14, 0x3b800000
	s_lshl_b32 s13, s13, 20
	s_or_b32 s12, s12, s14
	s_or_b32 s16, s12, s13
	s_and_b32 s12, s16, 0x7fffffff
	s_cmp_gt_u32 s12, 0x477fffff
	v_mov_b32_e32 v1, 0x80
	s_cbranch_scc1 .LBB142_1826
.LBB142_1819:
	s_cmp_gt_u32 s12, 0x37ffffff
	s_cbranch_scc0 .LBB142_1821
; %bb.1820:
	s_bfe_u32 s12, s16, 0x10015
	s_add_i32 s12, s16, s12
	s_add_i32 s12, s12, 0x88fffff
	s_lshr_b32 s17, s12, 21
	s_mov_b64 s[14:15], 0
	s_mov_b64 s[12:13], -1
	s_branch .LBB142_1822
.LBB142_1821:
	s_mov_b64 s[14:15], -1
	s_mov_b64 s[12:13], 0
                                        ; implicit-def: $sgpr17
.LBB142_1822:
	s_andn2_b64 vcc, exec, s[14:15]
	v_mov_b32_e32 v0, s17
	s_cbranch_vccnz .LBB142_1824
; %bb.1823:
	v_mov_b32_e32 v0, 0x42800000
	v_add_f32_e64 v0, |s16|, v0
	v_and_b32_e32 v0, 0xff, v0
	v_cmp_ne_u32_e64 s[12:13], 0, v0
.LBB142_1824:
	s_andn2_b64 vcc, exec, s[12:13]
	v_mov_b32_e32 v1, 0
	s_cbranch_vccnz .LBB142_1826
; %bb.1825:
	s_lshr_b32 s12, s16, 24
	s_and_b32 s12, s12, 0x80
	v_or_b32_e32 v1, s12, v0
.LBB142_1826:
	global_store_byte v[4:5], v1, off
	s_mov_b64 s[12:13], 0
.LBB142_1827:
	s_and_b64 vcc, exec, s[12:13]
	s_cbranch_vccz .LBB142_1848
; %bb.1828:
	s_and_b32 s17, s3, 0xff
	s_cmpk_lt_i32 s17, 0x80
	s_cbranch_scc1 .LBB142_1832
; %bb.1829:
	s_and_b32 s12, 0xffff, s17
	s_cmpk_eq_i32 s12, 0x80
	s_mov_b64 s[12:13], -1
	s_cbranch_scc0 .LBB142_1831
; %bb.1830:
	s_mov_b64 s[12:13], 0
.LBB142_1831:
	s_mov_b64 s[14:15], 0
	s_branch .LBB142_1833
.LBB142_1832:
	s_mov_b64 s[14:15], -1
	s_mov_b64 s[12:13], 0
.LBB142_1833:
	s_mov_b32 s16, 0x7f800001
	s_and_b64 vcc, exec, s[14:15]
	s_cbranch_vccz .LBB142_1838
; %bb.1834:
	s_and_b32 s12, 0xffff, s17
	s_cmp_lg_u32 s12, 0
	s_mov_b32 s16, 0
	s_cselect_b64 s[12:13], -1, 0
	s_andn2_b64 vcc, exec, s[12:13]
	s_cbranch_vccz .LBB142_1839
.LBB142_1835:
	s_and_b32 s14, s16, 0x7fffffff
	s_cmp_lt_u32 s14, 0x43f00000
	s_cbranch_scc0 .LBB142_1840
.LBB142_1836:
	s_cmp_gt_u32 s14, 0x3c7fffff
	s_cbranch_scc0 .LBB142_1841
; %bb.1837:
	s_bfe_u32 s12, s16, 0x10014
	s_add_i32 s12, s16, s12
	s_add_i32 s12, s12, 0x407ffff
	s_lshr_b32 s13, s12, 20
	s_and_b32 s12, s12, 0xff00000
	s_cmp_lg_u32 s12, 0x7f00000
	s_cselect_b32 s15, s13, 0x7e
	s_mov_b64 s[12:13], 0
	s_branch .LBB142_1842
.LBB142_1838:
	s_andn2_b64 vcc, exec, s[12:13]
	s_cbranch_vccnz .LBB142_1835
.LBB142_1839:
	s_and_b32 s13, s3, 7
	s_flbit_i32_b32 s15, s13
	s_min_u32 s15, s15, 32
	s_sub_i32 s16, s15, 28
	s_lshl_b32 s16, s3, s16
	s_lshl_b32 s12, s3, 24
	s_bfe_u32 s14, s3, 0x40003
	s_sub_i32 s15, 29, s15
	s_and_b32 s16, s16, 7
	s_cmp_eq_u32 s14, 0
	s_cselect_b32 s14, s15, s14
	s_cselect_b32 s13, s16, s13
	s_lshl_b32 s14, s14, 23
	s_and_b32 s12, s12, 0x80000000
	s_add_i32 s14, s14, 0x3b800000
	s_lshl_b32 s13, s13, 20
	s_or_b32 s12, s12, s14
	s_or_b32 s16, s12, s13
	s_and_b32 s14, s16, 0x7fffffff
	s_cmp_lt_u32 s14, 0x43f00000
	s_cbranch_scc1 .LBB142_1836
.LBB142_1840:
	s_mov_b64 s[12:13], -1
                                        ; implicit-def: $vgpr0
	s_branch .LBB142_1845
.LBB142_1841:
	s_mov_b64 s[12:13], -1
                                        ; implicit-def: $sgpr15
.LBB142_1842:
	s_andn2_b64 vcc, exec, s[12:13]
	v_mov_b32_e32 v0, s15
	s_cbranch_vccnz .LBB142_1844
; %bb.1843:
	v_mov_b32_e32 v0, 0x46800000
	v_add_f32_e64 v0, |s16|, v0
.LBB142_1844:
	s_mov_b64 s[12:13], 0
.LBB142_1845:
	s_andn2_b64 vcc, exec, s[12:13]
	s_cbranch_vccnz .LBB142_1847
; %bb.1846:
	s_cmp_gt_u32 s14, 0x7f800000
	s_movk_i32 s12, 0x7f
	s_cselect_b32 s12, s12, 0x7e
	v_mov_b32_e32 v0, s12
.LBB142_1847:
	s_lshr_b32 s12, s16, 24
	s_and_b32 s12, s12, 0x80
	v_or_b32_e32 v0, s12, v0
	global_store_byte v[4:5], v0, off
.LBB142_1848:
	s_mov_b64 s[12:13], 0
.LBB142_1849:
	s_andn2_b64 vcc, exec, s[12:13]
	s_cbranch_vccnz .LBB142_1870
; %bb.1850:
	s_and_b32 s17, s3, 0xff
	s_cmpk_lt_i32 s17, 0x80
	s_cbranch_scc1 .LBB142_1854
; %bb.1851:
	s_and_b32 s12, 0xffff, s17
	s_cmpk_eq_i32 s12, 0x80
	s_mov_b64 s[12:13], -1
	s_cbranch_scc0 .LBB142_1853
; %bb.1852:
	s_mov_b64 s[12:13], 0
.LBB142_1853:
	s_mov_b64 s[14:15], 0
	s_branch .LBB142_1855
.LBB142_1854:
	s_mov_b64 s[14:15], -1
	s_mov_b64 s[12:13], 0
.LBB142_1855:
	s_mov_b32 s16, 0x7f800001
	s_and_b64 vcc, exec, s[14:15]
	s_cbranch_vccz .LBB142_1860
; %bb.1856:
	s_and_b32 s12, 0xffff, s17
	s_cmp_lg_u32 s12, 0
	s_mov_b32 s16, 0
	s_cselect_b64 s[12:13], -1, 0
	s_andn2_b64 vcc, exec, s[12:13]
	s_cbranch_vccz .LBB142_1861
.LBB142_1857:
	s_and_b32 s14, s16, 0x7fffffff
	s_cmp_lt_u32 s14, 0x47800000
	s_cbranch_scc0 .LBB142_1862
.LBB142_1858:
	s_cmp_gt_u32 s14, 0x387fffff
	s_cbranch_scc0 .LBB142_1863
; %bb.1859:
	s_bfe_u32 s12, s16, 0x10015
	s_add_i32 s12, s16, s12
	s_add_i32 s12, s12, 0x80fffff
	s_lshr_b32 s15, s12, 21
	s_mov_b64 s[12:13], 0
	s_branch .LBB142_1864
.LBB142_1860:
	s_andn2_b64 vcc, exec, s[12:13]
	s_cbranch_vccnz .LBB142_1857
.LBB142_1861:
	s_and_b32 s13, s3, 7
	s_flbit_i32_b32 s15, s13
	s_min_u32 s15, s15, 32
	s_sub_i32 s16, s15, 28
	s_lshl_b32 s16, s3, s16
	s_lshl_b32 s12, s3, 24
	s_bfe_u32 s14, s3, 0x40003
	s_sub_i32 s15, 29, s15
	s_and_b32 s16, s16, 7
	s_cmp_eq_u32 s14, 0
	s_cselect_b32 s14, s15, s14
	s_cselect_b32 s13, s16, s13
	s_lshl_b32 s14, s14, 23
	s_and_b32 s12, s12, 0x80000000
	s_add_i32 s14, s14, 0x3b800000
	s_lshl_b32 s13, s13, 20
	s_or_b32 s12, s12, s14
	s_or_b32 s16, s12, s13
	s_and_b32 s14, s16, 0x7fffffff
	s_cmp_lt_u32 s14, 0x47800000
	s_cbranch_scc1 .LBB142_1858
.LBB142_1862:
	s_mov_b64 s[12:13], -1
                                        ; implicit-def: $vgpr0
	s_branch .LBB142_1867
.LBB142_1863:
	s_mov_b64 s[12:13], -1
                                        ; implicit-def: $sgpr15
.LBB142_1864:
	s_andn2_b64 vcc, exec, s[12:13]
	v_mov_b32_e32 v0, s15
	s_cbranch_vccnz .LBB142_1866
; %bb.1865:
	v_mov_b32_e32 v0, 0x43000000
	v_add_f32_e64 v0, |s16|, v0
.LBB142_1866:
	s_mov_b64 s[12:13], 0
.LBB142_1867:
	s_andn2_b64 vcc, exec, s[12:13]
	s_cbranch_vccnz .LBB142_1869
; %bb.1868:
	s_cmp_gt_u32 s14, 0x7f800000
	s_movk_i32 s12, 0x7f
	s_cselect_b32 s12, s12, 0x7c
	v_mov_b32_e32 v0, s12
.LBB142_1869:
	s_lshr_b32 s12, s16, 24
	s_and_b32 s12, s12, 0x80
	v_or_b32_e32 v0, s12, v0
	global_store_byte v[4:5], v0, off
.LBB142_1870:
	s_mov_b64 s[12:13], 0
	s_mov_b64 s[14:15], -1
.LBB142_1871:
	s_andn2_b64 vcc, exec, s[12:13]
	s_mov_b64 s[12:13], 0
	s_cbranch_vccnz .LBB142_1886
; %bb.1872:
	s_cmp_gt_i32 s18, 14
	s_mov_b64 s[16:17], -1
	s_cbranch_scc0 .LBB142_1884
; %bb.1873:
	s_cmp_eq_u32 s18, 15
	s_mov_b64 s[8:9], -1
	s_cbranch_scc0 .LBB142_1883
; %bb.1874:
	s_and_b32 s14, s3, 0xff
	s_cmpk_lt_i32 s14, 0x80
	s_cbranch_scc1 .LBB142_1879
; %bb.1875:
	s_and_b32 s8, 0xffff, s14
	s_cmpk_eq_i32 s8, 0x80
	s_mov_b64 s[8:9], -1
	s_cbranch_scc0 .LBB142_1877
; %bb.1876:
	s_mov_b64 s[8:9], 0
	s_mov_b32 s15, 0x7f800001
	s_and_b64 vcc, exec, s[12:13]
	s_cbranch_vccz .LBB142_1880
	s_branch .LBB142_1878
.LBB142_1877:
	s_mov_b32 s15, 0x7f800001
	s_and_b64 vcc, exec, s[12:13]
	s_cbranch_vccz .LBB142_1880
.LBB142_1878:
	s_and_b32 s8, 0xffff, s14
	s_cmp_lg_u32 s8, 0
	s_mov_b32 s15, 0
	s_cselect_b64 s[8:9], -1, 0
	s_andn2_b64 vcc, exec, s[8:9]
	s_cbranch_vccz .LBB142_1881
	s_branch .LBB142_1882
.LBB142_1879:
	s_mov_b64 s[8:9], 0
	s_mov_b32 s15, 0x7f800001
	s_cbranch_execnz .LBB142_1878
.LBB142_1880:
	s_andn2_b64 vcc, exec, s[8:9]
	s_cbranch_vccnz .LBB142_1882
.LBB142_1881:
	s_and_b32 s9, s3, 7
	s_flbit_i32_b32 s13, s9
	s_min_u32 s13, s13, 32
	s_sub_i32 s14, s13, 28
	s_lshl_b32 s14, s3, s14
	s_lshl_b32 s8, s3, 24
	s_bfe_u32 s12, s3, 0x40003
	s_sub_i32 s13, 29, s13
	s_and_b32 s14, s14, 7
	s_cmp_eq_u32 s12, 0
	s_cselect_b32 s12, s13, s12
	s_cselect_b32 s9, s14, s9
	s_lshl_b32 s12, s12, 23
	s_and_b32 s8, s8, 0x80000000
	s_add_i32 s12, s12, 0x3b800000
	s_lshl_b32 s9, s9, 20
	s_or_b32 s8, s8, s12
	s_or_b32 s15, s8, s9
.LBB142_1882:
	s_bfe_u32 s8, s15, 0x10010
	s_add_i32 s8, s15, s8
	s_addk_i32 s8, 0x7fff
	s_lshr_b32 s12, s8, 16
	v_cmp_o_f32_e64 s[8:9], s15, s15
	s_and_b64 s[8:9], s[8:9], exec
	s_cselect_b32 s8, s12, 0x7fc0
	v_mov_b32_e32 v0, s8
	global_store_short v[4:5], v0, off
	s_mov_b64 s[8:9], 0
	s_mov_b64 s[14:15], -1
.LBB142_1883:
	s_mov_b64 s[16:17], 0
.LBB142_1884:
	s_mov_b64 s[12:13], 0
	s_and_b64 vcc, exec, s[16:17]
	s_cbranch_vccz .LBB142_1886
; %bb.1885:
	s_cmp_lg_u32 s18, 11
	s_mov_b64 s[12:13], -1
	s_cselect_b64 s[8:9], -1, 0
.LBB142_1886:
	s_and_b64 vcc, exec, s[8:9]
	s_cbranch_vccnz .LBB142_1898
; %bb.1887:
	s_andn2_b64 vcc, exec, s[12:13]
	s_cbranch_vccnz .LBB142_1889
.LBB142_1888:
	s_and_b32 s8, s3, 0xff
	s_cmp_lg_u32 s8, 0
	s_cselect_b64 s[8:9], -1, 0
	v_cndmask_b32_e64 v0, 0, 1, s[8:9]
	s_mov_b64 s[14:15], -1
	global_store_byte v[4:5], v0, off
.LBB142_1889:
	s_branch .LBB142_1736
.LBB142_1890:
	s_cmp_lt_i32 s18, 5
	s_mov_b64 s[8:9], -1
	s_cbranch_scc1 .LBB142_1968
; %bb.1891:
	s_cmp_lt_i32 s18, 8
	s_cbranch_scc1 .LBB142_1930
; %bb.1892:
	s_cmp_lt_i32 s18, 9
	s_cbranch_scc1 .LBB142_1918
; %bb.1893:
	s_cmp_gt_i32 s18, 9
	s_cbranch_scc0 .LBB142_1906
; %bb.1894:
	s_and_b32 s14, s3, 0xff
	s_cmpk_lt_i32 s14, 0x80
	s_cbranch_scc1 .LBB142_1899
; %bb.1895:
	s_and_b32 s8, 0xffff, s14
	s_cmpk_eq_i32 s8, 0x80
	s_mov_b64 s[8:9], -1
	s_cbranch_scc0 .LBB142_1897
; %bb.1896:
	s_mov_b64 s[8:9], 0
.LBB142_1897:
	s_mov_b64 s[12:13], 0
	s_branch .LBB142_1900
.LBB142_1898:
	s_trap 2
	s_or_b64 s[10:11], s[10:11], exec
	s_cbranch_execz .LBB142_1888
	s_branch .LBB142_1889
.LBB142_1899:
	s_mov_b64 s[12:13], -1
	s_mov_b64 s[8:9], 0
.LBB142_1900:
	s_and_b64 vcc, exec, s[12:13]
	s_cbranch_vccz .LBB142_1902
; %bb.1901:
	s_and_b32 s8, 0xffff, s14
	s_cmp_lg_u32 s8, 0
	s_mov_b64 s[12:13], 0
	s_cselect_b64 s[8:9], -1, 0
	s_branch .LBB142_1903
.LBB142_1902:
	s_mov_b32 s13, 0x7ff80000
	s_brev_b32 s12, 4
.LBB142_1903:
	v_mov_b32_e32 v0, s12
	s_andn2_b64 vcc, exec, s[8:9]
	v_mov_b32_e32 v1, s13
	s_cbranch_vccnz .LBB142_1905
; %bb.1904:
	s_and_b32 s9, s3, 7
	s_flbit_i32_b32 s13, s9
	s_min_u32 s13, s13, 32
	s_sub_i32 s14, s13, 28
	s_lshl_b32 s14, s3, s14
	s_lshl_b32 s8, s3, 24
	s_bfe_u32 s12, s3, 0x40003
	s_sub_i32 s13, 29, s13
	s_and_b32 s14, s14, 7
	s_cmp_eq_u32 s12, 0
	s_cselect_b32 s12, s13, s12
	s_cselect_b32 s9, s14, s9
	s_lshl_b32 s12, s12, 23
	s_and_b32 s8, s8, 0x80000000
	s_add_i32 s12, s12, 0x3b800000
	s_lshl_b32 s9, s9, 20
	s_or_b32 s8, s8, s12
	s_or_b32 s8, s8, s9
	v_cvt_f64_f32_e32 v[0:1], s8
.LBB142_1905:
	v_mov_b32_e32 v2, 0
	v_mov_b32_e32 v3, v2
	global_store_dwordx4 v[4:5], v[0:3], off
	s_mov_b64 s[8:9], 0
.LBB142_1906:
	s_and_b64 vcc, exec, s[8:9]
	s_cbranch_vccz .LBB142_1917
; %bb.1907:
	s_and_b32 s14, s3, 0xff
	s_cmpk_lt_i32 s14, 0x80
	s_cbranch_scc1 .LBB142_1911
; %bb.1908:
	s_and_b32 s8, 0xffff, s14
	s_cmpk_eq_i32 s8, 0x80
	s_mov_b64 s[8:9], -1
	s_cbranch_scc0 .LBB142_1910
; %bb.1909:
	s_mov_b64 s[8:9], 0
.LBB142_1910:
	s_mov_b64 s[12:13], 0
	s_branch .LBB142_1912
.LBB142_1911:
	s_mov_b64 s[12:13], -1
	s_mov_b64 s[8:9], 0
.LBB142_1912:
	s_mov_b32 s15, 0x7f800001
	s_and_b64 vcc, exec, s[12:13]
	s_cbranch_vccz .LBB142_1914
; %bb.1913:
	s_and_b32 s15, 0xffff, s14
	s_cmp_lg_u32 s15, 0
	s_cselect_b64 s[8:9], -1, 0
.LBB142_1914:
	s_andn2_b64 vcc, exec, s[8:9]
	s_cbranch_vccnz .LBB142_1916
; %bb.1915:
	s_and_b32 s9, s3, 7
	s_flbit_i32_b32 s13, s9
	s_min_u32 s13, s13, 32
	s_sub_i32 s14, s13, 28
	s_lshl_b32 s14, s3, s14
	s_lshl_b32 s8, s3, 24
	s_bfe_u32 s12, s3, 0x40003
	s_sub_i32 s13, 29, s13
	s_and_b32 s14, s14, 7
	s_cmp_eq_u32 s12, 0
	s_cselect_b32 s12, s13, s12
	s_cselect_b32 s9, s14, s9
	s_lshl_b32 s12, s12, 23
	s_and_b32 s8, s8, 0x80000000
	s_add_i32 s12, s12, 0x3b800000
	s_lshl_b32 s9, s9, 20
	s_or_b32 s8, s8, s12
	s_or_b32 s15, s8, s9
.LBB142_1916:
	v_mov_b32_e32 v0, s15
	v_mov_b32_e32 v1, 0
	global_store_dwordx2 v[4:5], v[0:1], off
.LBB142_1917:
	s_mov_b64 s[8:9], 0
.LBB142_1918:
	s_andn2_b64 vcc, exec, s[8:9]
	s_cbranch_vccnz .LBB142_1929
; %bb.1919:
	s_and_b32 s14, s3, 0xff
	s_cmpk_lt_i32 s14, 0x80
	s_cbranch_scc1 .LBB142_1923
; %bb.1920:
	s_and_b32 s8, 0xffff, s14
	s_cmpk_eq_i32 s8, 0x80
	s_mov_b64 s[8:9], -1
	s_cbranch_scc0 .LBB142_1922
; %bb.1921:
	s_mov_b64 s[8:9], 0
.LBB142_1922:
	s_mov_b64 s[12:13], 0
	s_branch .LBB142_1924
.LBB142_1923:
	s_mov_b64 s[12:13], -1
	s_mov_b64 s[8:9], 0
.LBB142_1924:
	s_movk_i32 s15, 0x7e00
	s_and_b64 vcc, exec, s[12:13]
	s_cbranch_vccz .LBB142_1926
; %bb.1925:
	s_and_b32 s15, 0xffff, s14
	s_cmp_lg_u32 s15, 0
	s_cselect_b64 s[8:9], -1, 0
.LBB142_1926:
	s_andn2_b64 vcc, exec, s[8:9]
	v_mov_b32_e32 v0, s15
	s_cbranch_vccnz .LBB142_1928
; %bb.1927:
	s_and_b32 s9, s3, 7
	s_flbit_i32_b32 s13, s9
	s_min_u32 s13, s13, 32
	s_sub_i32 s14, s13, 28
	s_lshl_b32 s14, s3, s14
	s_lshl_b32 s8, s3, 24
	s_bfe_u32 s12, s3, 0x40003
	s_sub_i32 s13, 29, s13
	s_and_b32 s14, s14, 7
	s_cmp_eq_u32 s12, 0
	s_cselect_b32 s12, s13, s12
	s_cselect_b32 s9, s14, s9
	s_lshl_b32 s12, s12, 23
	s_and_b32 s8, s8, 0x80000000
	s_add_i32 s12, s12, 0x3b800000
	s_lshl_b32 s9, s9, 20
	s_or_b32 s8, s8, s12
	s_or_b32 s8, s8, s9
	v_cvt_f16_f32_e32 v0, s8
.LBB142_1928:
	global_store_dword v[4:5], v0, off
.LBB142_1929:
	s_mov_b64 s[8:9], 0
.LBB142_1930:
	s_andn2_b64 vcc, exec, s[8:9]
	s_cbranch_vccnz .LBB142_1967
; %bb.1931:
	s_cmp_lt_i32 s18, 6
	s_mov_b64 s[8:9], -1
	s_cbranch_scc1 .LBB142_1956
; %bb.1932:
	s_cmp_gt_i32 s18, 6
	s_cbranch_scc0 .LBB142_1944
; %bb.1933:
	s_and_b32 s14, s3, 0xff
	s_cmpk_lt_i32 s14, 0x80
	s_cbranch_scc1 .LBB142_1937
; %bb.1934:
	s_and_b32 s8, 0xffff, s14
	s_cmpk_eq_i32 s8, 0x80
	s_mov_b64 s[8:9], -1
	s_cbranch_scc0 .LBB142_1936
; %bb.1935:
	s_mov_b64 s[8:9], 0
.LBB142_1936:
	s_mov_b64 s[12:13], 0
	s_branch .LBB142_1938
.LBB142_1937:
	s_mov_b64 s[12:13], -1
	s_mov_b64 s[8:9], 0
.LBB142_1938:
	s_and_b64 vcc, exec, s[12:13]
	s_cbranch_vccz .LBB142_1940
; %bb.1939:
	s_and_b32 s8, 0xffff, s14
	s_cmp_lg_u32 s8, 0
	s_mov_b64 s[12:13], 0
	s_cselect_b64 s[8:9], -1, 0
	s_branch .LBB142_1941
.LBB142_1940:
	s_mov_b32 s13, 0x7ff80000
	s_brev_b32 s12, 4
.LBB142_1941:
	v_mov_b32_e32 v0, s12
	s_andn2_b64 vcc, exec, s[8:9]
	v_mov_b32_e32 v1, s13
	s_cbranch_vccnz .LBB142_1943
; %bb.1942:
	s_and_b32 s9, s3, 7
	s_flbit_i32_b32 s13, s9
	s_min_u32 s13, s13, 32
	s_sub_i32 s14, s13, 28
	s_lshl_b32 s14, s3, s14
	s_lshl_b32 s8, s3, 24
	s_bfe_u32 s12, s3, 0x40003
	s_sub_i32 s13, 29, s13
	s_and_b32 s14, s14, 7
	s_cmp_eq_u32 s12, 0
	s_cselect_b32 s12, s13, s12
	s_cselect_b32 s9, s14, s9
	s_lshl_b32 s12, s12, 23
	s_and_b32 s8, s8, 0x80000000
	s_add_i32 s12, s12, 0x3b800000
	s_lshl_b32 s9, s9, 20
	s_or_b32 s8, s8, s12
	s_or_b32 s8, s8, s9
	v_cvt_f64_f32_e32 v[0:1], s8
.LBB142_1943:
	global_store_dwordx2 v[4:5], v[0:1], off
	s_mov_b64 s[8:9], 0
.LBB142_1944:
	s_and_b64 vcc, exec, s[8:9]
	s_cbranch_vccz .LBB142_1955
; %bb.1945:
	s_and_b32 s14, s3, 0xff
	s_cmpk_lt_i32 s14, 0x80
	s_cbranch_scc1 .LBB142_1949
; %bb.1946:
	s_and_b32 s8, 0xffff, s14
	s_cmpk_eq_i32 s8, 0x80
	s_mov_b64 s[8:9], -1
	s_cbranch_scc0 .LBB142_1948
; %bb.1947:
	s_mov_b64 s[8:9], 0
.LBB142_1948:
	s_mov_b64 s[12:13], 0
	s_branch .LBB142_1950
.LBB142_1949:
	s_mov_b64 s[12:13], -1
	s_mov_b64 s[8:9], 0
.LBB142_1950:
	s_mov_b32 s15, 0x7f800001
	s_and_b64 vcc, exec, s[12:13]
	s_cbranch_vccz .LBB142_1952
; %bb.1951:
	s_and_b32 s15, 0xffff, s14
	s_cmp_lg_u32 s15, 0
	s_cselect_b64 s[8:9], -1, 0
.LBB142_1952:
	s_andn2_b64 vcc, exec, s[8:9]
	s_cbranch_vccnz .LBB142_1954
; %bb.1953:
	s_and_b32 s9, s3, 7
	s_flbit_i32_b32 s13, s9
	s_min_u32 s13, s13, 32
	s_sub_i32 s14, s13, 28
	s_lshl_b32 s14, s3, s14
	s_lshl_b32 s8, s3, 24
	s_bfe_u32 s12, s3, 0x40003
	s_sub_i32 s13, 29, s13
	s_and_b32 s14, s14, 7
	s_cmp_eq_u32 s12, 0
	s_cselect_b32 s12, s13, s12
	s_cselect_b32 s9, s14, s9
	s_lshl_b32 s12, s12, 23
	s_and_b32 s8, s8, 0x80000000
	s_add_i32 s12, s12, 0x3b800000
	s_lshl_b32 s9, s9, 20
	s_or_b32 s8, s8, s12
	s_or_b32 s15, s8, s9
.LBB142_1954:
	v_mov_b32_e32 v0, s15
	global_store_dword v[4:5], v0, off
.LBB142_1955:
	s_mov_b64 s[8:9], 0
.LBB142_1956:
	s_andn2_b64 vcc, exec, s[8:9]
	s_cbranch_vccnz .LBB142_1967
; %bb.1957:
	s_and_b32 s14, s3, 0xff
	s_cmpk_lt_i32 s14, 0x80
	s_cbranch_scc1 .LBB142_1961
; %bb.1958:
	s_and_b32 s8, 0xffff, s14
	s_cmpk_eq_i32 s8, 0x80
	s_mov_b64 s[8:9], -1
	s_cbranch_scc0 .LBB142_1960
; %bb.1959:
	s_mov_b64 s[8:9], 0
.LBB142_1960:
	s_mov_b64 s[12:13], 0
	s_branch .LBB142_1962
.LBB142_1961:
	s_mov_b64 s[12:13], -1
	s_mov_b64 s[8:9], 0
.LBB142_1962:
	s_movk_i32 s15, 0x7e00
	s_and_b64 vcc, exec, s[12:13]
	s_cbranch_vccz .LBB142_1964
; %bb.1963:
	s_and_b32 s8, 0xffff, s14
	s_cmp_lg_u32 s8, 0
	s_cselect_b64 s[8:9], -1, 0
	s_mov_b32 s15, s14
.LBB142_1964:
	s_andn2_b64 vcc, exec, s[8:9]
	v_mov_b32_e32 v0, s15
	s_cbranch_vccnz .LBB142_1966
; %bb.1965:
	s_and_b32 s9, s3, 7
	s_flbit_i32_b32 s13, s9
	s_min_u32 s13, s13, 32
	s_sub_i32 s14, s13, 28
	s_lshl_b32 s14, s3, s14
	s_lshl_b32 s8, s3, 24
	s_bfe_u32 s12, s3, 0x40003
	s_sub_i32 s13, 29, s13
	s_and_b32 s14, s14, 7
	s_cmp_eq_u32 s12, 0
	s_cselect_b32 s12, s13, s12
	s_cselect_b32 s9, s14, s9
	s_lshl_b32 s12, s12, 23
	s_and_b32 s8, s8, 0x80000000
	s_add_i32 s12, s12, 0x3b800000
	s_lshl_b32 s9, s9, 20
	s_or_b32 s8, s8, s12
	s_or_b32 s8, s8, s9
	v_cvt_f16_f32_e32 v0, s8
.LBB142_1966:
	global_store_short v[4:5], v0, off
.LBB142_1967:
	s_mov_b64 s[8:9], 0
.LBB142_1968:
	s_andn2_b64 vcc, exec, s[8:9]
	s_cbranch_vccnz .LBB142_2019
; %bb.1969:
	s_cmp_lt_i32 s18, 2
	s_mov_b64 s[8:9], -1
	s_cbranch_scc1 .LBB142_2000
; %bb.1970:
	s_cmp_lt_i32 s18, 3
	s_cbranch_scc1 .LBB142_1990
; %bb.1971:
	s_cmp_gt_i32 s18, 3
	s_cbranch_scc0 .LBB142_1980
; %bb.1972:
	s_and_b32 s14, s3, 0xff
	s_cmpk_lt_i32 s14, 0x80
	s_cbranch_scc1 .LBB142_1974
; %bb.1973:
	s_and_b32 s8, 0xffff, s14
	s_cmpk_lg_i32 s8, 0x80
	s_mov_b64 s[12:13], 0
	s_cselect_b64 s[8:9], -1, 0
	s_branch .LBB142_1975
.LBB142_1974:
	s_mov_b64 s[12:13], -1
	s_mov_b64 s[8:9], 0
.LBB142_1975:
	s_andn2_b64 vcc, exec, s[12:13]
	s_cbranch_vccnz .LBB142_1977
; %bb.1976:
	s_and_b32 s8, 0xffff, s14
	s_cmp_lg_u32 s8, 0
	s_cselect_b64 s[8:9], -1, 0
.LBB142_1977:
	v_mov_b32_e32 v0, 0
	s_andn2_b64 vcc, exec, s[8:9]
	v_mov_b32_e32 v1, 0
	s_cbranch_vccnz .LBB142_1979
; %bb.1978:
	s_and_b32 s9, s3, 7
	s_flbit_i32_b32 s13, s9
	s_min_u32 s13, s13, 32
	s_sub_i32 s14, s13, 28
	s_lshl_b32 s14, s3, s14
	s_lshl_b32 s8, s3, 24
	s_bfe_u32 s12, s3, 0x40003
	s_sub_i32 s13, 29, s13
	s_and_b32 s14, s14, 7
	s_cmp_eq_u32 s12, 0
	s_cselect_b32 s12, s13, s12
	s_cselect_b32 s9, s14, s9
	s_lshl_b32 s12, s12, 23
	s_and_b32 s8, s8, 0x80000000
	s_add_i32 s12, s12, 0x3b800000
	s_lshl_b32 s9, s9, 20
	s_or_b32 s8, s8, s12
	s_or_b32 s8, s8, s9
	v_trunc_f32_e32 v0, s8
	s_mov_b32 s8, 0x2f800000
	v_mul_f32_e64 v1, |v0|, s8
	v_floor_f32_e32 v1, v1
	s_mov_b32 s8, 0xcf800000
	v_fma_f32 v2, v1, s8, |v0|
	v_cvt_u32_f32_e32 v2, v2
	v_cvt_u32_f32_e32 v1, v1
	v_ashrrev_i32_e32 v3, 31, v0
	v_xor_b32_e32 v0, v2, v3
	v_xor_b32_e32 v1, v1, v3
	v_sub_co_u32_e32 v0, vcc, v0, v3
	v_subb_co_u32_e32 v1, vcc, v1, v3, vcc
.LBB142_1979:
	global_store_dwordx2 v[4:5], v[0:1], off
	s_mov_b64 s[8:9], 0
.LBB142_1980:
	s_and_b64 vcc, exec, s[8:9]
	s_cbranch_vccz .LBB142_1989
; %bb.1981:
	s_and_b32 s14, s3, 0xff
	s_cmpk_lt_i32 s14, 0x80
	s_cbranch_scc1 .LBB142_1983
; %bb.1982:
	s_and_b32 s8, 0xffff, s14
	s_cmpk_lg_i32 s8, 0x80
	s_mov_b64 s[12:13], 0
	s_cselect_b64 s[8:9], -1, 0
	s_branch .LBB142_1984
.LBB142_1983:
	s_mov_b64 s[12:13], -1
	s_mov_b64 s[8:9], 0
.LBB142_1984:
	s_andn2_b64 vcc, exec, s[12:13]
	s_cbranch_vccnz .LBB142_1986
; %bb.1985:
	s_and_b32 s8, 0xffff, s14
	s_cmp_lg_u32 s8, 0
	s_cselect_b64 s[8:9], -1, 0
.LBB142_1986:
	s_andn2_b64 vcc, exec, s[8:9]
	v_mov_b32_e32 v0, 0
	s_cbranch_vccnz .LBB142_1988
; %bb.1987:
	s_and_b32 s9, s3, 7
	s_flbit_i32_b32 s13, s9
	s_min_u32 s13, s13, 32
	s_sub_i32 s14, s13, 28
	s_lshl_b32 s14, s3, s14
	s_lshl_b32 s8, s3, 24
	s_bfe_u32 s12, s3, 0x40003
	s_sub_i32 s13, 29, s13
	s_and_b32 s14, s14, 7
	s_cmp_eq_u32 s12, 0
	s_cselect_b32 s12, s13, s12
	s_cselect_b32 s9, s14, s9
	s_lshl_b32 s12, s12, 23
	s_and_b32 s8, s8, 0x80000000
	s_add_i32 s12, s12, 0x3b800000
	s_lshl_b32 s9, s9, 20
	s_or_b32 s8, s8, s12
	s_or_b32 s8, s8, s9
	v_cvt_i32_f32_e32 v0, s8
.LBB142_1988:
	global_store_dword v[4:5], v0, off
.LBB142_1989:
	s_mov_b64 s[8:9], 0
.LBB142_1990:
	s_andn2_b64 vcc, exec, s[8:9]
	s_cbranch_vccnz .LBB142_1999
; %bb.1991:
	s_and_b32 s14, s3, 0xff
	s_cmpk_lt_i32 s14, 0x80
	s_cbranch_scc1 .LBB142_1993
; %bb.1992:
	s_and_b32 s8, 0xffff, s14
	s_cmpk_lg_i32 s8, 0x80
	s_mov_b64 s[12:13], 0
	s_cselect_b64 s[8:9], -1, 0
	s_branch .LBB142_1994
.LBB142_1993:
	s_mov_b64 s[12:13], -1
	s_mov_b64 s[8:9], 0
.LBB142_1994:
	s_andn2_b64 vcc, exec, s[12:13]
	s_cbranch_vccnz .LBB142_1996
; %bb.1995:
	s_and_b32 s8, 0xffff, s14
	s_cmp_lg_u32 s8, 0
	s_cselect_b64 s[8:9], -1, 0
.LBB142_1996:
	s_andn2_b64 vcc, exec, s[8:9]
	v_mov_b32_e32 v0, 0
	s_cbranch_vccnz .LBB142_1998
; %bb.1997:
	s_and_b32 s9, s3, 7
	s_flbit_i32_b32 s13, s9
	s_min_u32 s13, s13, 32
	s_sub_i32 s14, s13, 28
	s_lshl_b32 s14, s3, s14
	s_lshl_b32 s8, s3, 24
	s_bfe_u32 s12, s3, 0x40003
	s_sub_i32 s13, 29, s13
	s_and_b32 s14, s14, 7
	s_cmp_eq_u32 s12, 0
	s_cselect_b32 s12, s13, s12
	s_cselect_b32 s9, s14, s9
	s_lshl_b32 s12, s12, 23
	s_and_b32 s8, s8, 0x80000000
	s_add_i32 s12, s12, 0x3b800000
	s_lshl_b32 s9, s9, 20
	s_or_b32 s8, s8, s12
	s_or_b32 s8, s8, s9
	v_cvt_i32_f32_e32 v0, s8
.LBB142_1998:
	global_store_short v[4:5], v0, off
.LBB142_1999:
	s_mov_b64 s[8:9], 0
.LBB142_2000:
	s_andn2_b64 vcc, exec, s[8:9]
	s_cbranch_vccnz .LBB142_2019
; %bb.2001:
	s_cmp_gt_i32 s18, 0
	s_mov_b64 s[8:9], -1
	s_cbranch_scc0 .LBB142_2010
; %bb.2002:
	s_and_b32 s14, s3, 0xff
	s_cmpk_lt_i32 s14, 0x80
	s_cbranch_scc1 .LBB142_2004
; %bb.2003:
	s_and_b32 s8, 0xffff, s14
	s_cmpk_lg_i32 s8, 0x80
	s_mov_b64 s[12:13], 0
	s_cselect_b64 s[8:9], -1, 0
	s_branch .LBB142_2005
.LBB142_2004:
	s_mov_b64 s[12:13], -1
	s_mov_b64 s[8:9], 0
.LBB142_2005:
	s_andn2_b64 vcc, exec, s[12:13]
	s_cbranch_vccnz .LBB142_2007
; %bb.2006:
	s_and_b32 s8, 0xffff, s14
	s_cmp_lg_u32 s8, 0
	s_cselect_b64 s[8:9], -1, 0
.LBB142_2007:
	s_andn2_b64 vcc, exec, s[8:9]
	v_mov_b32_e32 v0, 0
	s_cbranch_vccnz .LBB142_2009
; %bb.2008:
	s_and_b32 s9, s3, 7
	s_flbit_i32_b32 s13, s9
	s_min_u32 s13, s13, 32
	s_sub_i32 s14, s13, 28
	s_lshl_b32 s14, s3, s14
	s_lshl_b32 s8, s3, 24
	s_bfe_u32 s12, s3, 0x40003
	s_sub_i32 s13, 29, s13
	s_and_b32 s14, s14, 7
	s_cmp_eq_u32 s12, 0
	s_cselect_b32 s12, s13, s12
	s_cselect_b32 s9, s14, s9
	s_lshl_b32 s12, s12, 23
	s_and_b32 s8, s8, 0x80000000
	s_add_i32 s12, s12, 0x3b800000
	s_lshl_b32 s9, s9, 20
	s_or_b32 s8, s8, s12
	s_or_b32 s8, s8, s9
	v_cvt_i32_f32_e32 v0, s8
.LBB142_2009:
	global_store_byte v[4:5], v0, off
	s_mov_b64 s[8:9], 0
.LBB142_2010:
	s_and_b64 vcc, exec, s[8:9]
	s_cbranch_vccz .LBB142_2019
; %bb.2011:
	s_and_b32 s14, s3, 0xff
	s_cmpk_lt_i32 s14, 0x80
	s_cbranch_scc1 .LBB142_2013
; %bb.2012:
	s_and_b32 s8, 0xffff, s14
	s_cmpk_lg_i32 s8, 0x80
	s_mov_b64 s[12:13], 0
	s_cselect_b64 s[8:9], -1, 0
	s_branch .LBB142_2014
.LBB142_2013:
	s_mov_b64 s[12:13], -1
	s_mov_b64 s[8:9], 0
.LBB142_2014:
	s_andn2_b64 vcc, exec, s[12:13]
	s_cbranch_vccnz .LBB142_2016
; %bb.2015:
	s_and_b32 s8, 0xffff, s14
	s_cmp_lg_u32 s8, 0
	s_cselect_b64 s[8:9], -1, 0
.LBB142_2016:
	s_andn2_b64 vcc, exec, s[8:9]
	v_mov_b32_e32 v0, 0
	s_cbranch_vccnz .LBB142_2018
; %bb.2017:
	s_and_b32 s9, s3, 7
	s_flbit_i32_b32 s13, s9
	s_min_u32 s13, s13, 32
	s_sub_i32 s14, s13, 28
	s_lshl_b32 s14, s3, s14
	s_lshl_b32 s8, s3, 24
	s_bfe_u32 s12, s3, 0x40003
	s_sub_i32 s13, 29, s13
	s_and_b32 s14, s14, 7
	s_cmp_eq_u32 s12, 0
	s_cselect_b32 s12, s13, s12
	s_cselect_b32 s9, s14, s9
	s_lshl_b32 s12, s12, 23
	s_and_b32 s8, s8, 0x80000000
	s_add_i32 s12, s12, 0x3b800000
	s_lshl_b32 s9, s9, 20
	s_or_b32 s8, s8, s12
	s_or_b32 s8, s8, s9
	v_trunc_f32_e32 v0, s8
	s_mov_b32 s8, 0x2f800000
	v_mul_f32_e64 v1, |v0|, s8
	v_floor_f32_e32 v1, v1
	s_mov_b32 s8, 0xcf800000
	v_fma_f32 v1, v1, s8, |v0|
	v_cvt_u32_f32_e32 v1, v1
	v_ashrrev_i32_e32 v0, 31, v0
	v_xor_b32_e32 v1, v1, v0
	v_sub_u32_e32 v0, v1, v0
.LBB142_2018:
	global_store_byte v[4:5], v0, off
.LBB142_2019:
	s_branch .LBB142_1737
.LBB142_2020:
	s_mov_b64 s[0:1], 0
	s_mov_b64 s[8:9], 0
                                        ; implicit-def: $sgpr30
                                        ; implicit-def: $vgpr4_vgpr5
.LBB142_2021:
	s_and_b64 s[12:13], s[0:1], exec
	s_andn2_b64 s[0:1], s[4:5], exec
	s_and_b64 s[4:5], s[10:11], exec
	s_and_b64 s[8:9], s[8:9], exec
	s_or_b64 s[4:5], s[0:1], s[4:5]
.LBB142_2022:
	s_or_b64 exec, exec, s[6:7]
	s_and_saveexec_b64 s[0:1], s[4:5]
	s_cbranch_execz .LBB142_2025
; %bb.2023:
	; divergent unreachable
	s_or_b64 exec, exec, s[0:1]
	s_and_saveexec_b64 s[0:1], s[8:9]
	s_xor_b64 s[0:1], exec, s[0:1]
	s_cbranch_execnz .LBB142_2026
.LBB142_2024:
	s_or_b64 exec, exec, s[0:1]
	s_and_saveexec_b64 s[0:1], s[12:13]
	s_cbranch_execnz .LBB142_2027
	s_branch .LBB142_2149
.LBB142_2025:
	s_or_b64 exec, exec, s[0:1]
	s_and_saveexec_b64 s[0:1], s[8:9]
	s_xor_b64 s[0:1], exec, s[0:1]
	s_cbranch_execz .LBB142_2024
.LBB142_2026:
	s_and_b32 s2, s3, 0xff
	s_cmp_lg_u32 s2, 0
	s_cselect_b64 s[4:5], -1, 0
	v_cndmask_b32_e64 v0, 0, 1, s[4:5]
	global_store_byte v[4:5], v0, off
	s_or_b64 exec, exec, s[0:1]
	s_and_saveexec_b64 s[0:1], s[12:13]
	s_cbranch_execz .LBB142_2149
.LBB142_2027:
	s_sext_i32_i16 s2, s30
	s_cmp_lt_i32 s2, 5
	s_mov_b64 s[0:1], -1
	s_cbranch_scc1 .LBB142_2104
; %bb.2028:
	s_cmp_lt_i32 s2, 8
	s_cbranch_scc1 .LBB142_2060
; %bb.2029:
	s_cmp_lt_i32 s2, 9
	s_cbranch_scc1 .LBB142_2054
; %bb.2030:
	s_cmp_gt_i32 s2, 9
	s_cbranch_scc0 .LBB142_2042
; %bb.2031:
	s_and_b32 s2, s3, 0xff
	s_cmpk_lt_i32 s2, 0x80
	s_cbranch_scc1 .LBB142_2035
; %bb.2032:
	s_and_b32 s0, 0xffff, s2
	s_cmpk_eq_i32 s0, 0x80
	s_mov_b64 s[0:1], -1
	s_cbranch_scc0 .LBB142_2034
; %bb.2033:
	s_mov_b64 s[0:1], 0
.LBB142_2034:
	s_mov_b64 s[4:5], 0
	s_branch .LBB142_2036
.LBB142_2035:
	s_mov_b64 s[4:5], -1
	s_mov_b64 s[0:1], 0
.LBB142_2036:
	s_and_b64 vcc, exec, s[4:5]
	s_cbranch_vccz .LBB142_2038
; %bb.2037:
	s_and_b32 s0, 0xffff, s2
	s_cmp_lg_u32 s0, 0
	s_mov_b64 s[4:5], 0
	s_cselect_b64 s[0:1], -1, 0
	s_branch .LBB142_2039
.LBB142_2038:
	s_mov_b32 s5, 0x7ff80000
	s_brev_b32 s4, 4
.LBB142_2039:
	v_mov_b32_e32 v0, s4
	s_andn2_b64 vcc, exec, s[0:1]
	v_mov_b32_e32 v1, s5
	s_cbranch_vccnz .LBB142_2041
; %bb.2040:
	s_and_b32 s1, s3, 7
	s_flbit_i32_b32 s4, s1
	s_min_u32 s4, s4, 32
	s_sub_i32 s5, s4, 28
	s_lshl_b32 s5, s3, s5
	s_lshl_b32 s0, s3, 24
	s_bfe_u32 s2, s3, 0x40003
	s_sub_i32 s4, 29, s4
	s_and_b32 s5, s5, 7
	s_cmp_eq_u32 s2, 0
	s_cselect_b32 s2, s4, s2
	s_cselect_b32 s1, s5, s1
	s_lshl_b32 s2, s2, 23
	s_and_b32 s0, s0, 0x80000000
	s_add_i32 s2, s2, 0x3b800000
	s_lshl_b32 s1, s1, 20
	s_or_b32 s0, s0, s2
	s_or_b32 s0, s0, s1
	v_cvt_f64_f32_e32 v[0:1], s0
.LBB142_2041:
	v_mov_b32_e32 v2, 0
	v_mov_b32_e32 v3, v2
	global_store_dwordx4 v[4:5], v[0:3], off
	s_mov_b64 s[0:1], 0
.LBB142_2042:
	s_and_b64 vcc, exec, s[0:1]
	s_cbranch_vccz .LBB142_2053
; %bb.2043:
	s_and_b32 s2, s3, 0xff
	s_cmpk_lt_i32 s2, 0x80
	s_cbranch_scc1 .LBB142_2047
; %bb.2044:
	s_and_b32 s0, 0xffff, s2
	s_cmpk_eq_i32 s0, 0x80
	s_mov_b64 s[0:1], -1
	s_cbranch_scc0 .LBB142_2046
; %bb.2045:
	s_mov_b64 s[0:1], 0
.LBB142_2046:
	s_mov_b64 s[4:5], 0
	s_branch .LBB142_2048
.LBB142_2047:
	s_mov_b64 s[4:5], -1
	s_mov_b64 s[0:1], 0
.LBB142_2048:
	s_mov_b32 s6, 0x7f800001
	s_and_b64 vcc, exec, s[4:5]
	s_cbranch_vccz .LBB142_2050
; %bb.2049:
	s_and_b32 s6, 0xffff, s2
	s_cmp_lg_u32 s6, 0
	s_cselect_b64 s[0:1], -1, 0
.LBB142_2050:
	s_andn2_b64 vcc, exec, s[0:1]
	s_cbranch_vccnz .LBB142_2052
; %bb.2051:
	s_and_b32 s1, s3, 7
	s_flbit_i32_b32 s4, s1
	s_min_u32 s4, s4, 32
	s_sub_i32 s5, s4, 28
	s_lshl_b32 s5, s3, s5
	s_lshl_b32 s0, s3, 24
	s_bfe_u32 s2, s3, 0x40003
	s_sub_i32 s4, 29, s4
	s_and_b32 s5, s5, 7
	s_cmp_eq_u32 s2, 0
	s_cselect_b32 s2, s4, s2
	s_cselect_b32 s1, s5, s1
	s_lshl_b32 s2, s2, 23
	s_and_b32 s0, s0, 0x80000000
	s_add_i32 s2, s2, 0x3b800000
	s_lshl_b32 s1, s1, 20
	s_or_b32 s0, s0, s2
	s_or_b32 s6, s0, s1
.LBB142_2052:
	v_mov_b32_e32 v0, s6
	v_mov_b32_e32 v1, 0
	global_store_dwordx2 v[4:5], v[0:1], off
.LBB142_2053:
	s_mov_b64 s[0:1], 0
.LBB142_2054:
	s_andn2_b64 vcc, exec, s[0:1]
	s_cbranch_vccnz .LBB142_2059
; %bb.2055:
	s_and_b32 s2, s3, 0xff
	s_cmpk_lt_i32 s2, 0x80
	s_cbranch_scc1 .LBB142_2067
; %bb.2056:
	s_and_b32 s0, 0xffff, s2
	s_cmpk_eq_i32 s0, 0x80
	s_mov_b64 s[0:1], -1
	s_cbranch_scc0 .LBB142_2058
; %bb.2057:
	s_mov_b64 s[0:1], 0
.LBB142_2058:
	s_mov_b64 s[4:5], 0
	s_branch .LBB142_2068
.LBB142_2059:
	s_mov_b64 s[0:1], 0
.LBB142_2060:
	s_andn2_b64 vcc, exec, s[0:1]
	s_cbranch_vccnz .LBB142_2103
.LBB142_2061:
	s_sext_i32_i16 s2, s30
	s_cmp_lt_i32 s2, 6
	s_mov_b64 s[0:1], -1
	s_cbranch_scc1 .LBB142_2092
; %bb.2062:
	s_cmp_gt_i32 s2, 6
	s_cbranch_scc0 .LBB142_2080
; %bb.2063:
	s_and_b32 s2, s3, 0xff
	s_cmpk_lt_i32 s2, 0x80
	s_cbranch_scc1 .LBB142_2073
; %bb.2064:
	s_and_b32 s0, 0xffff, s2
	s_cmpk_eq_i32 s0, 0x80
	s_mov_b64 s[0:1], -1
	s_cbranch_scc0 .LBB142_2066
; %bb.2065:
	s_mov_b64 s[0:1], 0
.LBB142_2066:
	s_mov_b64 s[4:5], 0
	s_branch .LBB142_2074
.LBB142_2067:
	s_mov_b64 s[4:5], -1
	s_mov_b64 s[0:1], 0
.LBB142_2068:
	s_movk_i32 s6, 0x7e00
	s_and_b64 vcc, exec, s[4:5]
	s_cbranch_vccz .LBB142_2070
; %bb.2069:
	s_and_b32 s6, 0xffff, s2
	s_cmp_lg_u32 s6, 0
	s_cselect_b64 s[0:1], -1, 0
.LBB142_2070:
	s_andn2_b64 vcc, exec, s[0:1]
	v_mov_b32_e32 v0, s6
	s_cbranch_vccnz .LBB142_2072
; %bb.2071:
	s_and_b32 s1, s3, 7
	s_flbit_i32_b32 s4, s1
	s_min_u32 s4, s4, 32
	s_sub_i32 s5, s4, 28
	s_lshl_b32 s5, s3, s5
	s_lshl_b32 s0, s3, 24
	s_bfe_u32 s2, s3, 0x40003
	s_sub_i32 s4, 29, s4
	s_and_b32 s5, s5, 7
	s_cmp_eq_u32 s2, 0
	s_cselect_b32 s2, s4, s2
	s_cselect_b32 s1, s5, s1
	s_lshl_b32 s2, s2, 23
	s_and_b32 s0, s0, 0x80000000
	s_add_i32 s2, s2, 0x3b800000
	s_lshl_b32 s1, s1, 20
	s_or_b32 s0, s0, s2
	s_or_b32 s0, s0, s1
	v_cvt_f16_f32_e32 v0, s0
.LBB142_2072:
	global_store_dword v[4:5], v0, off
	s_cbranch_execz .LBB142_2061
	s_branch .LBB142_2103
.LBB142_2073:
	s_mov_b64 s[4:5], -1
	s_mov_b64 s[0:1], 0
.LBB142_2074:
	s_and_b64 vcc, exec, s[4:5]
	s_cbranch_vccz .LBB142_2076
; %bb.2075:
	s_and_b32 s0, 0xffff, s2
	s_cmp_lg_u32 s0, 0
	s_mov_b64 s[4:5], 0
	s_cselect_b64 s[0:1], -1, 0
	s_branch .LBB142_2077
.LBB142_2076:
	s_mov_b32 s5, 0x7ff80000
	s_brev_b32 s4, 4
.LBB142_2077:
	v_mov_b32_e32 v0, s4
	s_andn2_b64 vcc, exec, s[0:1]
	v_mov_b32_e32 v1, s5
	s_cbranch_vccnz .LBB142_2079
; %bb.2078:
	s_and_b32 s1, s3, 7
	s_flbit_i32_b32 s4, s1
	s_min_u32 s4, s4, 32
	s_sub_i32 s5, s4, 28
	s_lshl_b32 s5, s3, s5
	s_lshl_b32 s0, s3, 24
	s_bfe_u32 s2, s3, 0x40003
	s_sub_i32 s4, 29, s4
	s_and_b32 s5, s5, 7
	s_cmp_eq_u32 s2, 0
	s_cselect_b32 s2, s4, s2
	s_cselect_b32 s1, s5, s1
	s_lshl_b32 s2, s2, 23
	s_and_b32 s0, s0, 0x80000000
	s_add_i32 s2, s2, 0x3b800000
	s_lshl_b32 s1, s1, 20
	s_or_b32 s0, s0, s2
	s_or_b32 s0, s0, s1
	v_cvt_f64_f32_e32 v[0:1], s0
.LBB142_2079:
	global_store_dwordx2 v[4:5], v[0:1], off
	s_mov_b64 s[0:1], 0
.LBB142_2080:
	s_and_b64 vcc, exec, s[0:1]
	s_cbranch_vccz .LBB142_2091
; %bb.2081:
	s_and_b32 s2, s3, 0xff
	s_cmpk_lt_i32 s2, 0x80
	s_cbranch_scc1 .LBB142_2085
; %bb.2082:
	s_and_b32 s0, 0xffff, s2
	s_cmpk_eq_i32 s0, 0x80
	s_mov_b64 s[0:1], -1
	s_cbranch_scc0 .LBB142_2084
; %bb.2083:
	s_mov_b64 s[0:1], 0
.LBB142_2084:
	s_mov_b64 s[4:5], 0
	s_branch .LBB142_2086
.LBB142_2085:
	s_mov_b64 s[4:5], -1
	s_mov_b64 s[0:1], 0
.LBB142_2086:
	s_mov_b32 s6, 0x7f800001
	s_and_b64 vcc, exec, s[4:5]
	s_cbranch_vccz .LBB142_2088
; %bb.2087:
	s_and_b32 s6, 0xffff, s2
	s_cmp_lg_u32 s6, 0
	s_cselect_b64 s[0:1], -1, 0
.LBB142_2088:
	s_andn2_b64 vcc, exec, s[0:1]
	s_cbranch_vccnz .LBB142_2090
; %bb.2089:
	s_and_b32 s1, s3, 7
	s_flbit_i32_b32 s4, s1
	s_min_u32 s4, s4, 32
	s_sub_i32 s5, s4, 28
	s_lshl_b32 s5, s3, s5
	s_lshl_b32 s0, s3, 24
	s_bfe_u32 s2, s3, 0x40003
	s_sub_i32 s4, 29, s4
	s_and_b32 s5, s5, 7
	s_cmp_eq_u32 s2, 0
	s_cselect_b32 s2, s4, s2
	s_cselect_b32 s1, s5, s1
	s_lshl_b32 s2, s2, 23
	s_and_b32 s0, s0, 0x80000000
	s_add_i32 s2, s2, 0x3b800000
	s_lshl_b32 s1, s1, 20
	s_or_b32 s0, s0, s2
	s_or_b32 s6, s0, s1
.LBB142_2090:
	v_mov_b32_e32 v0, s6
	global_store_dword v[4:5], v0, off
.LBB142_2091:
	s_mov_b64 s[0:1], 0
.LBB142_2092:
	s_andn2_b64 vcc, exec, s[0:1]
	s_cbranch_vccnz .LBB142_2103
; %bb.2093:
	s_and_b32 s2, s3, 0xff
	s_cmpk_lt_i32 s2, 0x80
	s_cbranch_scc1 .LBB142_2097
; %bb.2094:
	s_and_b32 s0, 0xffff, s2
	s_cmpk_eq_i32 s0, 0x80
	s_mov_b64 s[0:1], -1
	s_cbranch_scc0 .LBB142_2096
; %bb.2095:
	s_mov_b64 s[0:1], 0
.LBB142_2096:
	s_mov_b64 s[4:5], 0
	s_branch .LBB142_2098
.LBB142_2097:
	s_mov_b64 s[4:5], -1
	s_mov_b64 s[0:1], 0
.LBB142_2098:
	s_movk_i32 s6, 0x7e00
	s_and_b64 vcc, exec, s[4:5]
	s_cbranch_vccz .LBB142_2100
; %bb.2099:
	s_and_b32 s0, 0xffff, s2
	s_cmp_lg_u32 s0, 0
	s_cselect_b64 s[0:1], -1, 0
	s_mov_b32 s6, s2
.LBB142_2100:
	s_andn2_b64 vcc, exec, s[0:1]
	v_mov_b32_e32 v0, s6
	s_cbranch_vccnz .LBB142_2102
; %bb.2101:
	s_and_b32 s1, s3, 7
	s_flbit_i32_b32 s4, s1
	s_min_u32 s4, s4, 32
	s_sub_i32 s5, s4, 28
	s_lshl_b32 s5, s3, s5
	s_lshl_b32 s0, s3, 24
	s_bfe_u32 s2, s3, 0x40003
	s_sub_i32 s4, 29, s4
	s_and_b32 s5, s5, 7
	s_cmp_eq_u32 s2, 0
	s_cselect_b32 s2, s4, s2
	s_cselect_b32 s1, s5, s1
	s_lshl_b32 s2, s2, 23
	s_and_b32 s0, s0, 0x80000000
	s_add_i32 s2, s2, 0x3b800000
	s_lshl_b32 s1, s1, 20
	s_or_b32 s0, s0, s2
	s_or_b32 s0, s0, s1
	v_cvt_f16_f32_e32 v0, s0
.LBB142_2102:
	global_store_short v[4:5], v0, off
.LBB142_2103:
	s_mov_b64 s[0:1], 0
.LBB142_2104:
	s_andn2_b64 vcc, exec, s[0:1]
	s_cbranch_vccnz .LBB142_2149
; %bb.2105:
	s_sext_i32_i16 s2, s30
	s_cmp_lt_i32 s2, 2
	s_mov_b64 s[0:1], -1
	s_cbranch_scc1 .LBB142_2130
; %bb.2106:
	s_cmp_lt_i32 s2, 3
	s_cbranch_scc1 .LBB142_2126
; %bb.2107:
	s_cmp_gt_i32 s2, 3
	s_cbranch_scc0 .LBB142_2116
; %bb.2108:
	s_and_b32 s2, s3, 0xff
	s_cmpk_lt_i32 s2, 0x80
	s_cbranch_scc1 .LBB142_2110
; %bb.2109:
	s_and_b32 s0, 0xffff, s2
	s_cmpk_lg_i32 s0, 0x80
	s_mov_b64 s[4:5], 0
	s_cselect_b64 s[0:1], -1, 0
	s_branch .LBB142_2111
.LBB142_2110:
	s_mov_b64 s[4:5], -1
	s_mov_b64 s[0:1], 0
.LBB142_2111:
	s_andn2_b64 vcc, exec, s[4:5]
	s_cbranch_vccnz .LBB142_2113
; %bb.2112:
	s_and_b32 s0, 0xffff, s2
	s_cmp_lg_u32 s0, 0
	s_cselect_b64 s[0:1], -1, 0
.LBB142_2113:
	v_mov_b32_e32 v0, 0
	s_andn2_b64 vcc, exec, s[0:1]
	v_mov_b32_e32 v1, 0
	s_cbranch_vccnz .LBB142_2115
; %bb.2114:
	s_and_b32 s1, s3, 7
	s_flbit_i32_b32 s4, s1
	s_min_u32 s4, s4, 32
	s_sub_i32 s5, s4, 28
	s_lshl_b32 s5, s3, s5
	s_lshl_b32 s0, s3, 24
	s_bfe_u32 s2, s3, 0x40003
	s_sub_i32 s4, 29, s4
	s_and_b32 s5, s5, 7
	s_cmp_eq_u32 s2, 0
	s_cselect_b32 s2, s4, s2
	s_cselect_b32 s1, s5, s1
	s_lshl_b32 s2, s2, 23
	s_and_b32 s0, s0, 0x80000000
	s_add_i32 s2, s2, 0x3b800000
	s_lshl_b32 s1, s1, 20
	s_or_b32 s0, s0, s2
	s_or_b32 s0, s0, s1
	v_trunc_f32_e32 v0, s0
	s_mov_b32 s0, 0x2f800000
	v_mul_f32_e64 v1, |v0|, s0
	v_floor_f32_e32 v1, v1
	s_mov_b32 s0, 0xcf800000
	v_fma_f32 v2, v1, s0, |v0|
	v_cvt_u32_f32_e32 v2, v2
	v_cvt_u32_f32_e32 v1, v1
	v_ashrrev_i32_e32 v3, 31, v0
	v_xor_b32_e32 v0, v2, v3
	v_xor_b32_e32 v1, v1, v3
	v_sub_co_u32_e32 v0, vcc, v0, v3
	v_subb_co_u32_e32 v1, vcc, v1, v3, vcc
.LBB142_2115:
	global_store_dwordx2 v[4:5], v[0:1], off
	s_mov_b64 s[0:1], 0
.LBB142_2116:
	s_and_b64 vcc, exec, s[0:1]
	s_cbranch_vccz .LBB142_2125
; %bb.2117:
	s_and_b32 s2, s3, 0xff
	s_cmpk_lt_i32 s2, 0x80
	s_cbranch_scc1 .LBB142_2119
; %bb.2118:
	s_and_b32 s0, 0xffff, s2
	s_cmpk_lg_i32 s0, 0x80
	s_mov_b64 s[4:5], 0
	s_cselect_b64 s[0:1], -1, 0
	s_branch .LBB142_2120
.LBB142_2119:
	s_mov_b64 s[4:5], -1
	s_mov_b64 s[0:1], 0
.LBB142_2120:
	s_andn2_b64 vcc, exec, s[4:5]
	s_cbranch_vccnz .LBB142_2122
; %bb.2121:
	s_and_b32 s0, 0xffff, s2
	s_cmp_lg_u32 s0, 0
	s_cselect_b64 s[0:1], -1, 0
.LBB142_2122:
	s_andn2_b64 vcc, exec, s[0:1]
	v_mov_b32_e32 v0, 0
	s_cbranch_vccnz .LBB142_2124
; %bb.2123:
	s_and_b32 s1, s3, 7
	s_flbit_i32_b32 s4, s1
	s_min_u32 s4, s4, 32
	s_sub_i32 s5, s4, 28
	s_lshl_b32 s5, s3, s5
	s_lshl_b32 s0, s3, 24
	s_bfe_u32 s2, s3, 0x40003
	s_sub_i32 s4, 29, s4
	s_and_b32 s5, s5, 7
	s_cmp_eq_u32 s2, 0
	s_cselect_b32 s2, s4, s2
	s_cselect_b32 s1, s5, s1
	s_lshl_b32 s2, s2, 23
	s_and_b32 s0, s0, 0x80000000
	s_add_i32 s2, s2, 0x3b800000
	s_lshl_b32 s1, s1, 20
	s_or_b32 s0, s0, s2
	s_or_b32 s0, s0, s1
	v_cvt_i32_f32_e32 v0, s0
.LBB142_2124:
	global_store_dword v[4:5], v0, off
.LBB142_2125:
	s_mov_b64 s[0:1], 0
.LBB142_2126:
	s_andn2_b64 vcc, exec, s[0:1]
	s_cbranch_vccnz .LBB142_2129
; %bb.2127:
	s_and_b32 s2, s3, 0xff
	s_cmpk_lt_i32 s2, 0x80
	s_cbranch_scc1 .LBB142_2134
; %bb.2128:
	s_and_b32 s0, 0xffff, s2
	s_cmpk_lg_i32 s0, 0x80
	s_mov_b64 s[4:5], 0
	s_cselect_b64 s[0:1], -1, 0
	s_branch .LBB142_2135
.LBB142_2129:
	s_mov_b64 s[0:1], 0
.LBB142_2130:
	s_andn2_b64 vcc, exec, s[0:1]
	s_cbranch_vccnz .LBB142_2149
.LBB142_2131:
	s_sext_i32_i16 s0, s30
	s_cmp_gt_i32 s0, 0
	s_mov_b64 s[0:1], -1
	s_cbranch_scc0 .LBB142_2146
; %bb.2132:
	s_and_b32 s2, s3, 0xff
	s_cmpk_lt_i32 s2, 0x80
	s_cbranch_scc1 .LBB142_2140
; %bb.2133:
	s_and_b32 s0, 0xffff, s2
	s_cmpk_lg_i32 s0, 0x80
	s_mov_b64 s[4:5], 0
	s_cselect_b64 s[0:1], -1, 0
	s_branch .LBB142_2141
.LBB142_2134:
	s_mov_b64 s[4:5], -1
	s_mov_b64 s[0:1], 0
.LBB142_2135:
	s_andn2_b64 vcc, exec, s[4:5]
	s_cbranch_vccnz .LBB142_2137
; %bb.2136:
	s_and_b32 s0, 0xffff, s2
	s_cmp_lg_u32 s0, 0
	s_cselect_b64 s[0:1], -1, 0
.LBB142_2137:
	s_andn2_b64 vcc, exec, s[0:1]
	v_mov_b32_e32 v0, 0
	s_cbranch_vccnz .LBB142_2139
; %bb.2138:
	s_and_b32 s1, s3, 7
	s_flbit_i32_b32 s4, s1
	s_min_u32 s4, s4, 32
	s_sub_i32 s5, s4, 28
	s_lshl_b32 s5, s3, s5
	s_lshl_b32 s0, s3, 24
	s_bfe_u32 s2, s3, 0x40003
	s_sub_i32 s4, 29, s4
	s_and_b32 s5, s5, 7
	s_cmp_eq_u32 s2, 0
	s_cselect_b32 s2, s4, s2
	s_cselect_b32 s1, s5, s1
	s_lshl_b32 s2, s2, 23
	s_and_b32 s0, s0, 0x80000000
	s_add_i32 s2, s2, 0x3b800000
	s_lshl_b32 s1, s1, 20
	s_or_b32 s0, s0, s2
	s_or_b32 s0, s0, s1
	v_cvt_i32_f32_e32 v0, s0
.LBB142_2139:
	global_store_short v[4:5], v0, off
	s_cbranch_execnz .LBB142_2149
	s_branch .LBB142_2131
.LBB142_2140:
	s_mov_b64 s[4:5], -1
	s_mov_b64 s[0:1], 0
.LBB142_2141:
	s_andn2_b64 vcc, exec, s[4:5]
	s_cbranch_vccnz .LBB142_2143
; %bb.2142:
	s_and_b32 s0, 0xffff, s2
	s_cmp_lg_u32 s0, 0
	s_cselect_b64 s[0:1], -1, 0
.LBB142_2143:
	s_andn2_b64 vcc, exec, s[0:1]
	v_mov_b32_e32 v0, 0
	s_cbranch_vccnz .LBB142_2145
; %bb.2144:
	s_and_b32 s1, s3, 7
	s_flbit_i32_b32 s4, s1
	s_min_u32 s4, s4, 32
	s_sub_i32 s5, s4, 28
	s_lshl_b32 s5, s3, s5
	s_lshl_b32 s0, s3, 24
	s_bfe_u32 s2, s3, 0x40003
	s_sub_i32 s4, 29, s4
	s_and_b32 s5, s5, 7
	s_cmp_eq_u32 s2, 0
	s_cselect_b32 s2, s4, s2
	s_cselect_b32 s1, s5, s1
	s_lshl_b32 s2, s2, 23
	s_and_b32 s0, s0, 0x80000000
	s_add_i32 s2, s2, 0x3b800000
	s_lshl_b32 s1, s1, 20
	s_or_b32 s0, s0, s2
	s_or_b32 s0, s0, s1
	v_cvt_i32_f32_e32 v0, s0
.LBB142_2145:
	global_store_byte v[4:5], v0, off
	s_mov_b64 s[0:1], 0
.LBB142_2146:
	s_and_b64 vcc, exec, s[0:1]
	s_cbranch_vccz .LBB142_2149
; %bb.2147:
	s_and_b32 s2, s3, 0xff
	s_cmpk_lt_i32 s2, 0x80
	s_cbranch_scc1 .LBB142_2150
; %bb.2148:
	s_and_b32 s0, 0xffff, s2
	s_cmpk_lg_i32 s0, 0x80
	s_mov_b64 s[4:5], 0
	s_cselect_b64 s[0:1], -1, 0
	s_branch .LBB142_2151
.LBB142_2149:
	s_endpgm
.LBB142_2150:
	s_mov_b64 s[4:5], -1
	s_mov_b64 s[0:1], 0
.LBB142_2151:
	s_andn2_b64 vcc, exec, s[4:5]
	s_cbranch_vccnz .LBB142_2153
; %bb.2152:
	s_and_b32 s0, 0xffff, s2
	s_cmp_lg_u32 s0, 0
	s_cselect_b64 s[0:1], -1, 0
.LBB142_2153:
	s_andn2_b64 vcc, exec, s[0:1]
	v_mov_b32_e32 v0, 0
	s_cbranch_vccnz .LBB142_2155
; %bb.2154:
	s_and_b32 s1, s3, 7
	s_flbit_i32_b32 s4, s1
	s_min_u32 s4, s4, 32
	s_sub_i32 s5, s4, 28
	s_lshl_b32 s0, s3, 24
	s_bfe_u32 s2, s3, 0x40003
	s_lshl_b32 s3, s3, s5
	s_sub_i32 s4, 29, s4
	s_and_b32 s3, s3, 7
	s_cmp_eq_u32 s2, 0
	s_cselect_b32 s2, s4, s2
	s_cselect_b32 s1, s3, s1
	s_lshl_b32 s2, s2, 23
	s_and_b32 s0, s0, 0x80000000
	s_add_i32 s2, s2, 0x3b800000
	s_lshl_b32 s1, s1, 20
	s_or_b32 s0, s0, s2
	s_or_b32 s0, s0, s1
	v_trunc_f32_e32 v0, s0
	s_mov_b32 s0, 0x2f800000
	v_mul_f32_e64 v1, |v0|, s0
	v_floor_f32_e32 v1, v1
	s_mov_b32 s0, 0xcf800000
	v_fma_f32 v1, v1, s0, |v0|
	v_cvt_u32_f32_e32 v1, v1
	v_ashrrev_i32_e32 v0, 31, v0
	v_xor_b32_e32 v1, v1, v0
	v_sub_u32_e32 v0, v1, v0
.LBB142_2155:
	global_store_byte v[4:5], v0, off
	s_endpgm
.LBB142_2156:
	s_mov_b64 s[0:1], 0
.LBB142_2157:
	s_mov_b32 s14, 0x7f800001
	s_and_b64 vcc, exec, s[12:13]
	s_cbranch_vccz .LBB142_2159
; %bb.2158:
	s_and_b32 s0, 0xffff, s2
	s_cmp_lg_u32 s0, 0
	s_mov_b32 s14, 0
	s_cselect_b64 s[0:1], -1, 0
.LBB142_2159:
	s_andn2_b64 vcc, exec, s[0:1]
	s_cbranch_vccnz .LBB142_2161
; %bb.2160:
	s_and_b32 s1, s3, 7
	s_flbit_i32_b32 s12, s1
	s_min_u32 s12, s12, 32
	s_sub_i32 s13, s12, 28
	s_lshl_b32 s13, s3, s13
	s_lshl_b32 s0, s3, 24
	s_bfe_u32 s2, s3, 0x40003
	s_sub_i32 s12, 29, s12
	s_and_b32 s13, s13, 7
	s_cmp_eq_u32 s2, 0
	s_cselect_b32 s2, s12, s2
	s_cselect_b32 s1, s13, s1
	s_lshl_b32 s2, s2, 23
	s_and_b32 s0, s0, 0x80000000
	s_add_i32 s2, s2, 0x3b800000
	s_lshl_b32 s1, s1, 20
	s_or_b32 s0, s0, s2
	s_or_b32 s14, s0, s1
.LBB142_2161:
	s_bfe_u32 s0, s14, 0x10010
	s_add_i32 s0, s14, s0
	s_addk_i32 s0, 0x7fff
	s_lshr_b32 s2, s0, 16
	v_cmp_o_f32_e64 s[0:1], s14, s14
	s_and_b64 s[0:1], s[0:1], exec
	s_cselect_b32 s0, s2, 0x7fc0
	v_mov_b32_e32 v0, s0
	global_store_dword v[4:5], v0, off
	s_mov_b64 s[0:1], 0
.LBB142_2162:
	s_mov_b64 s[12:13], 0
.LBB142_2163:
	s_and_b64 vcc, exec, s[12:13]
	s_cbranch_vccz .LBB142_2175
; %bb.2164:
	s_cmp_eq_u32 s18, 44
	s_mov_b64 s[0:1], -1
	s_cbranch_scc0 .LBB142_2175
; %bb.2165:
	s_and_b32 s2, s3, 0xff
	s_cmpk_lt_i32 s2, 0x80
	s_cbranch_scc1 .LBB142_2169
; %bb.2166:
	s_and_b32 s0, 0xffff, s2
	s_cmpk_eq_i32 s0, 0x80
	s_mov_b64 s[0:1], -1
	s_cbranch_scc0 .LBB142_2168
; %bb.2167:
	s_mov_b64 s[0:1], 0
.LBB142_2168:
	s_mov_b64 s[12:13], 0
	s_branch .LBB142_2170
.LBB142_2169:
	s_mov_b64 s[12:13], -1
	s_mov_b64 s[0:1], 0
.LBB142_2170:
	s_mov_b32 s14, 0x7f800001
	s_and_b64 vcc, exec, s[12:13]
	s_cbranch_vccz .LBB142_2180
; %bb.2171:
	s_and_b32 s14, 0xffff, s2
	s_cmp_lg_u32 s14, 0
	s_cselect_b64 s[0:1], -1, 0
	s_andn2_b64 vcc, exec, s[0:1]
	s_cbranch_vccz .LBB142_2181
.LBB142_2172:
	s_lshr_b32 s0, s14, 23
	s_cmpk_eq_i32 s0, 0xff
	v_mov_b32_e32 v0, 0xff
	s_cbranch_scc1 .LBB142_2174
.LBB142_2173:
	s_bitcmp1_b32 s14, 22
	s_cselect_b64 s[12:13], -1, 0
	s_and_b32 s1, s14, 0x3fffff
	s_or_b32 s1, s0, s1
	s_cmp_lg_u32 s1, 0
	s_cselect_b64 s[14:15], -1, 0
	s_and_b64 s[12:13], s[12:13], s[14:15]
	v_cndmask_b32_e64 v0, 0, 1, s[12:13]
	v_add_u32_e32 v0, s0, v0
.LBB142_2174:
	global_store_byte v[4:5], v0, off
	s_mov_b64 s[0:1], 0
.LBB142_2175:
	s_mov_b64 s[12:13], 0
.LBB142_2176:
	s_and_b64 vcc, exec, s[12:13]
	s_cbranch_vccz .LBB142_2188
; %bb.2177:
	s_cmp_eq_u32 s18, 29
	s_mov_b64 s[0:1], -1
	s_cbranch_scc0 .LBB142_2188
; %bb.2178:
	s_and_b32 s2, s3, 0xff
	s_cmpk_lt_i32 s2, 0x80
	s_cbranch_scc1 .LBB142_2182
; %bb.2179:
	s_and_b32 s0, 0xffff, s2
	s_cmpk_lg_i32 s0, 0x80
	s_mov_b64 s[12:13], 0
	s_cselect_b64 s[0:1], -1, 0
	s_branch .LBB142_2183
.LBB142_2180:
	s_andn2_b64 vcc, exec, s[0:1]
	s_cbranch_vccnz .LBB142_2172
.LBB142_2181:
	s_and_b32 s0, s3, 7
	s_flbit_i32_b32 s2, s0
	s_min_u32 s2, s2, 32
	s_sub_i32 s12, s2, 28
	s_lshl_b32 s12, s3, s12
	s_bfe_u32 s1, s3, 0x40003
	s_sub_i32 s2, 29, s2
	s_and_b32 s12, s12, 7
	s_cmp_eq_u32 s1, 0
	s_cselect_b32 s1, s2, s1
	s_cselect_b32 s0, s12, s0
	s_lshl_b32 s0, s0, 20
	s_lshl_b32 s1, s1, 23
	s_or_b32 s0, s1, s0
	s_add_i32 s14, s0, 0x3b800000
	s_lshr_b32 s0, s14, 23
	s_cmpk_eq_i32 s0, 0xff
	v_mov_b32_e32 v0, 0xff
	s_cbranch_scc0 .LBB142_2173
	s_branch .LBB142_2174
.LBB142_2182:
	s_mov_b64 s[12:13], -1
	s_mov_b64 s[0:1], 0
.LBB142_2183:
	s_andn2_b64 vcc, exec, s[12:13]
	s_cbranch_vccnz .LBB142_2185
; %bb.2184:
	s_and_b32 s0, 0xffff, s2
	s_cmp_lg_u32 s0, 0
	s_cselect_b64 s[0:1], -1, 0
.LBB142_2185:
	v_mov_b32_e32 v0, 0
	s_andn2_b64 vcc, exec, s[0:1]
	v_mov_b32_e32 v1, 0
	s_cbranch_vccnz .LBB142_2187
; %bb.2186:
	s_and_b32 s1, s3, 7
	s_flbit_i32_b32 s12, s1
	s_min_u32 s12, s12, 32
	s_sub_i32 s13, s12, 28
	s_lshl_b32 s13, s3, s13
	s_lshl_b32 s0, s3, 24
	s_bfe_u32 s2, s3, 0x40003
	s_sub_i32 s12, 29, s12
	s_and_b32 s13, s13, 7
	s_cmp_eq_u32 s2, 0
	s_cselect_b32 s2, s12, s2
	s_cselect_b32 s1, s13, s1
	s_lshl_b32 s2, s2, 23
	s_and_b32 s0, s0, 0x80000000
	s_add_i32 s2, s2, 0x3b800000
	s_lshl_b32 s1, s1, 20
	s_or_b32 s0, s0, s2
	s_or_b32 s0, s0, s1
	v_trunc_f32_e32 v0, s0
	v_mul_f32_e32 v1, 0x2f800000, v0
	v_floor_f32_e32 v1, v1
	v_fmac_f32_e32 v0, 0xcf800000, v1
	v_cvt_u32_f32_e32 v0, v0
	v_cvt_u32_f32_e32 v1, v1
.LBB142_2187:
	global_store_dwordx2 v[4:5], v[0:1], off
	s_mov_b64 s[0:1], 0
.LBB142_2188:
	s_mov_b64 s[12:13], 0
.LBB142_2189:
	s_and_b64 vcc, exec, s[12:13]
	s_cbranch_vccz .LBB142_2212
; %bb.2190:
	s_cmp_lt_i32 s18, 27
	s_mov_b64 s[12:13], -1
	s_cbranch_scc1 .LBB142_2210
; %bb.2191:
	s_cmp_gt_i32 s18, 27
	s_cbranch_scc0 .LBB142_2200
; %bb.2192:
	s_and_b32 s2, s3, 0xff
	s_cmpk_lt_i32 s2, 0x80
	s_cbranch_scc1 .LBB142_2194
; %bb.2193:
	s_and_b32 s12, 0xffff, s2
	s_cmpk_lg_i32 s12, 0x80
	s_mov_b64 s[14:15], 0
	s_cselect_b64 s[12:13], -1, 0
	s_branch .LBB142_2195
.LBB142_2194:
	s_mov_b64 s[14:15], -1
	s_mov_b64 s[12:13], 0
.LBB142_2195:
	s_andn2_b64 vcc, exec, s[14:15]
	s_cbranch_vccnz .LBB142_2197
; %bb.2196:
	s_and_b32 s2, 0xffff, s2
	s_cmp_lg_u32 s2, 0
	s_cselect_b64 s[12:13], -1, 0
.LBB142_2197:
	s_andn2_b64 vcc, exec, s[12:13]
	v_mov_b32_e32 v0, 0
	s_cbranch_vccnz .LBB142_2199
; %bb.2198:
	s_and_b32 s12, s3, 7
	s_flbit_i32_b32 s14, s12
	s_min_u32 s14, s14, 32
	s_sub_i32 s15, s14, 28
	s_lshl_b32 s15, s3, s15
	s_lshl_b32 s2, s3, 24
	s_bfe_u32 s13, s3, 0x40003
	s_sub_i32 s14, 29, s14
	s_and_b32 s15, s15, 7
	s_cmp_eq_u32 s13, 0
	s_cselect_b32 s13, s14, s13
	s_cselect_b32 s12, s15, s12
	s_lshl_b32 s13, s13, 23
	s_and_b32 s2, s2, 0x80000000
	s_add_i32 s13, s13, 0x3b800000
	s_lshl_b32 s12, s12, 20
	s_or_b32 s2, s2, s13
	s_or_b32 s2, s2, s12
	v_cvt_u32_f32_e32 v0, s2
.LBB142_2199:
	global_store_dword v[4:5], v0, off
	s_mov_b64 s[12:13], 0
.LBB142_2200:
	s_and_b64 vcc, exec, s[12:13]
	s_cbranch_vccz .LBB142_2209
; %bb.2201:
	s_and_b32 s2, s3, 0xff
	s_cmpk_lt_i32 s2, 0x80
	s_cbranch_scc1 .LBB142_2203
; %bb.2202:
	s_and_b32 s12, 0xffff, s2
	s_cmpk_lg_i32 s12, 0x80
	s_mov_b64 s[14:15], 0
	s_cselect_b64 s[12:13], -1, 0
	s_branch .LBB142_2204
.LBB142_2203:
	s_mov_b64 s[14:15], -1
	s_mov_b64 s[12:13], 0
.LBB142_2204:
	s_andn2_b64 vcc, exec, s[14:15]
	s_cbranch_vccnz .LBB142_2206
; %bb.2205:
	s_and_b32 s2, 0xffff, s2
	s_cmp_lg_u32 s2, 0
	s_cselect_b64 s[12:13], -1, 0
.LBB142_2206:
	s_andn2_b64 vcc, exec, s[12:13]
	v_mov_b32_e32 v0, 0
	s_cbranch_vccnz .LBB142_2208
; %bb.2207:
	s_and_b32 s12, s3, 7
	s_flbit_i32_b32 s14, s12
	s_min_u32 s14, s14, 32
	s_sub_i32 s15, s14, 28
	s_lshl_b32 s15, s3, s15
	s_lshl_b32 s2, s3, 24
	s_bfe_u32 s13, s3, 0x40003
	s_sub_i32 s14, 29, s14
	s_and_b32 s15, s15, 7
	s_cmp_eq_u32 s13, 0
	s_cselect_b32 s13, s14, s13
	s_cselect_b32 s12, s15, s12
	s_lshl_b32 s13, s13, 23
	s_and_b32 s2, s2, 0x80000000
	s_add_i32 s13, s13, 0x3b800000
	s_lshl_b32 s12, s12, 20
	s_or_b32 s2, s2, s13
	s_or_b32 s2, s2, s12
	v_cvt_u32_f32_e32 v0, s2
.LBB142_2208:
	global_store_short v[4:5], v0, off
.LBB142_2209:
	s_mov_b64 s[12:13], 0
.LBB142_2210:
	s_andn2_b64 vcc, exec, s[12:13]
	s_cbranch_vccnz .LBB142_2212
; %bb.2211:
	v_mov_b32_e32 v0, s3
	global_store_byte v[4:5], v0, off
.LBB142_2212:
	s_mov_b64 s[12:13], 0
.LBB142_2213:
	s_and_b64 vcc, exec, s[12:13]
	s_cbranch_vccz .LBB142_2294
; %bb.2214:
	s_cmp_gt_i32 s18, 22
	s_mov_b64 s[8:9], -1
	s_cbranch_scc0 .LBB142_2279
; %bb.2215:
	s_cmp_lt_i32 s18, 24
	s_cbranch_scc1 .LBB142_2257
; %bb.2216:
	s_cmp_gt_i32 s18, 24
	s_cbranch_scc0 .LBB142_2235
; %bb.2217:
	s_and_b32 s14, s3, 0xff
	s_cmpk_lt_i32 s14, 0x80
	s_cbranch_scc1 .LBB142_2221
; %bb.2218:
	s_and_b32 s2, 0xffff, s14
	s_cmpk_eq_i32 s2, 0x80
	s_cbranch_scc0 .LBB142_2220
; %bb.2219:
	s_mov_b64 s[8:9], 0
.LBB142_2220:
	s_mov_b64 s[12:13], 0
	s_branch .LBB142_2222
.LBB142_2221:
	s_mov_b64 s[12:13], -1
	s_mov_b64 s[8:9], 0
.LBB142_2222:
	s_mov_b32 s2, 0x7f800001
	s_and_b64 vcc, exec, s[12:13]
	s_cbranch_vccz .LBB142_2225
; %bb.2223:
	s_and_b32 s8, 0xffff, s14
	s_cmp_lg_u32 s8, 0
	s_mov_b32 s2, 0
	s_cselect_b64 s[8:9], -1, 0
	s_andn2_b64 vcc, exec, s[8:9]
	s_cbranch_vccz .LBB142_2226
.LBB142_2224:
	s_and_b32 s8, s2, 0x7fffffff
	s_cmp_gt_u32 s8, 0x477fffff
	v_mov_b32_e32 v1, 0x80
	s_cbranch_scc0 .LBB142_2227
	s_branch .LBB142_2234
.LBB142_2225:
	s_andn2_b64 vcc, exec, s[8:9]
	s_cbranch_vccnz .LBB142_2224
.LBB142_2226:
	s_and_b32 s8, s3, 7
	s_flbit_i32_b32 s12, s8
	s_min_u32 s12, s12, 32
	s_sub_i32 s13, s12, 28
	s_lshl_b32 s13, s3, s13
	s_lshl_b32 s2, s3, 24
	s_bfe_u32 s9, s3, 0x40003
	s_sub_i32 s12, 29, s12
	s_and_b32 s13, s13, 7
	s_cmp_eq_u32 s9, 0
	s_cselect_b32 s9, s12, s9
	s_cselect_b32 s8, s13, s8
	s_lshl_b32 s9, s9, 23
	s_and_b32 s2, s2, 0x80000000
	s_add_i32 s9, s9, 0x3b800000
	s_lshl_b32 s8, s8, 20
	s_or_b32 s2, s2, s9
	s_or_b32 s2, s2, s8
	s_and_b32 s8, s2, 0x7fffffff
	s_cmp_gt_u32 s8, 0x477fffff
	v_mov_b32_e32 v1, 0x80
	s_cbranch_scc1 .LBB142_2234
.LBB142_2227:
	s_cmp_gt_u32 s8, 0x37ffffff
	s_cbranch_scc0 .LBB142_2229
; %bb.2228:
	s_bfe_u32 s8, s2, 0x10015
	s_add_i32 s8, s2, s8
	s_add_i32 s8, s8, 0x88fffff
	s_lshr_b32 s14, s8, 21
	s_mov_b64 s[12:13], 0
	s_mov_b64 s[8:9], -1
	s_branch .LBB142_2230
.LBB142_2229:
	s_mov_b64 s[12:13], -1
	s_mov_b64 s[8:9], 0
                                        ; implicit-def: $sgpr14
.LBB142_2230:
	s_andn2_b64 vcc, exec, s[12:13]
	v_mov_b32_e32 v0, s14
	s_cbranch_vccnz .LBB142_2232
; %bb.2231:
	v_mov_b32_e32 v0, 0x42800000
	v_add_f32_e64 v0, |s2|, v0
	v_and_b32_e32 v0, 0xff, v0
	v_cmp_ne_u32_e64 s[8:9], 0, v0
.LBB142_2232:
	s_andn2_b64 vcc, exec, s[8:9]
	v_mov_b32_e32 v1, 0
	s_cbranch_vccnz .LBB142_2234
; %bb.2233:
	s_lshr_b32 s2, s2, 24
	s_and_b32 s2, s2, 0x80
	v_or_b32_e32 v1, s2, v0
.LBB142_2234:
	global_store_byte v[4:5], v1, off
	s_mov_b64 s[8:9], 0
.LBB142_2235:
	s_and_b64 vcc, exec, s[8:9]
	s_cbranch_vccz .LBB142_2256
; %bb.2236:
	s_and_b32 s14, s3, 0xff
	s_cmpk_lt_i32 s14, 0x80
	s_cbranch_scc1 .LBB142_2240
; %bb.2237:
	s_and_b32 s2, 0xffff, s14
	s_cmpk_eq_i32 s2, 0x80
	s_mov_b64 s[8:9], -1
	s_cbranch_scc0 .LBB142_2239
; %bb.2238:
	s_mov_b64 s[8:9], 0
.LBB142_2239:
	s_mov_b64 s[12:13], 0
	s_branch .LBB142_2241
.LBB142_2240:
	s_mov_b64 s[12:13], -1
	s_mov_b64 s[8:9], 0
.LBB142_2241:
	s_mov_b32 s2, 0x7f800001
	s_and_b64 vcc, exec, s[12:13]
	s_cbranch_vccz .LBB142_2246
; %bb.2242:
	s_and_b32 s8, 0xffff, s14
	s_cmp_lg_u32 s8, 0
	s_mov_b32 s2, 0
	s_cselect_b64 s[8:9], -1, 0
	s_andn2_b64 vcc, exec, s[8:9]
	s_cbranch_vccz .LBB142_2247
.LBB142_2243:
	s_and_b32 s12, s2, 0x7fffffff
	s_cmp_lt_u32 s12, 0x43f00000
	s_cbranch_scc0 .LBB142_2248
.LBB142_2244:
	s_cmp_gt_u32 s12, 0x3c7fffff
	s_cbranch_scc0 .LBB142_2249
; %bb.2245:
	s_bfe_u32 s8, s2, 0x10014
	s_add_i32 s8, s2, s8
	s_add_i32 s8, s8, 0x407ffff
	s_lshr_b32 s9, s8, 20
	s_and_b32 s8, s8, 0xff00000
	s_cmp_lg_u32 s8, 0x7f00000
	s_cselect_b32 s13, s9, 0x7e
	s_mov_b64 s[8:9], 0
	s_branch .LBB142_2250
.LBB142_2246:
	s_andn2_b64 vcc, exec, s[8:9]
	s_cbranch_vccnz .LBB142_2243
.LBB142_2247:
	s_and_b32 s8, s3, 7
	s_flbit_i32_b32 s12, s8
	s_min_u32 s12, s12, 32
	s_sub_i32 s13, s12, 28
	s_lshl_b32 s13, s3, s13
	s_lshl_b32 s2, s3, 24
	s_bfe_u32 s9, s3, 0x40003
	s_sub_i32 s12, 29, s12
	s_and_b32 s13, s13, 7
	s_cmp_eq_u32 s9, 0
	s_cselect_b32 s9, s12, s9
	s_cselect_b32 s8, s13, s8
	s_lshl_b32 s9, s9, 23
	s_and_b32 s2, s2, 0x80000000
	s_add_i32 s9, s9, 0x3b800000
	s_lshl_b32 s8, s8, 20
	s_or_b32 s2, s2, s9
	s_or_b32 s2, s2, s8
	s_and_b32 s12, s2, 0x7fffffff
	s_cmp_lt_u32 s12, 0x43f00000
	s_cbranch_scc1 .LBB142_2244
.LBB142_2248:
	s_mov_b64 s[8:9], -1
                                        ; implicit-def: $vgpr0
	s_branch .LBB142_2253
.LBB142_2249:
	s_mov_b64 s[8:9], -1
                                        ; implicit-def: $sgpr13
.LBB142_2250:
	s_andn2_b64 vcc, exec, s[8:9]
	v_mov_b32_e32 v0, s13
	s_cbranch_vccnz .LBB142_2252
; %bb.2251:
	v_mov_b32_e32 v0, 0x46800000
	v_add_f32_e64 v0, |s2|, v0
.LBB142_2252:
	s_mov_b64 s[8:9], 0
.LBB142_2253:
	s_andn2_b64 vcc, exec, s[8:9]
	s_cbranch_vccnz .LBB142_2255
; %bb.2254:
	s_cmp_gt_u32 s12, 0x7f800000
	s_movk_i32 s8, 0x7f
	s_cselect_b32 s8, s8, 0x7e
	v_mov_b32_e32 v0, s8
.LBB142_2255:
	s_lshr_b32 s2, s2, 24
	s_and_b32 s2, s2, 0x80
	v_or_b32_e32 v0, s2, v0
	global_store_byte v[4:5], v0, off
.LBB142_2256:
	s_mov_b64 s[8:9], 0
.LBB142_2257:
	s_andn2_b64 vcc, exec, s[8:9]
	s_cbranch_vccnz .LBB142_2278
; %bb.2258:
	s_and_b32 s14, s3, 0xff
	s_cmpk_lt_i32 s14, 0x80
	s_cbranch_scc1 .LBB142_2262
; %bb.2259:
	s_and_b32 s2, 0xffff, s14
	s_cmpk_eq_i32 s2, 0x80
	s_mov_b64 s[8:9], -1
	s_cbranch_scc0 .LBB142_2261
; %bb.2260:
	s_mov_b64 s[8:9], 0
.LBB142_2261:
	s_mov_b64 s[12:13], 0
	s_branch .LBB142_2263
.LBB142_2262:
	s_mov_b64 s[12:13], -1
	s_mov_b64 s[8:9], 0
.LBB142_2263:
	s_mov_b32 s2, 0x7f800001
	s_and_b64 vcc, exec, s[12:13]
	s_cbranch_vccz .LBB142_2268
; %bb.2264:
	s_and_b32 s8, 0xffff, s14
	s_cmp_lg_u32 s8, 0
	s_mov_b32 s2, 0
	s_cselect_b64 s[8:9], -1, 0
	s_andn2_b64 vcc, exec, s[8:9]
	s_cbranch_vccz .LBB142_2269
.LBB142_2265:
	s_and_b32 s12, s2, 0x7fffffff
	s_cmp_lt_u32 s12, 0x47800000
	s_cbranch_scc0 .LBB142_2270
.LBB142_2266:
	s_cmp_gt_u32 s12, 0x387fffff
	s_cbranch_scc0 .LBB142_2271
; %bb.2267:
	s_bfe_u32 s8, s2, 0x10015
	s_add_i32 s8, s2, s8
	s_add_i32 s8, s8, 0x80fffff
	s_lshr_b32 s13, s8, 21
	s_mov_b64 s[8:9], 0
	s_branch .LBB142_2272
.LBB142_2268:
	s_andn2_b64 vcc, exec, s[8:9]
	s_cbranch_vccnz .LBB142_2265
.LBB142_2269:
	s_and_b32 s8, s3, 7
	s_flbit_i32_b32 s12, s8
	s_min_u32 s12, s12, 32
	s_sub_i32 s13, s12, 28
	s_lshl_b32 s13, s3, s13
	s_lshl_b32 s2, s3, 24
	s_bfe_u32 s9, s3, 0x40003
	s_sub_i32 s12, 29, s12
	s_and_b32 s13, s13, 7
	s_cmp_eq_u32 s9, 0
	s_cselect_b32 s9, s12, s9
	s_cselect_b32 s8, s13, s8
	s_lshl_b32 s9, s9, 23
	s_and_b32 s2, s2, 0x80000000
	s_add_i32 s9, s9, 0x3b800000
	s_lshl_b32 s8, s8, 20
	s_or_b32 s2, s2, s9
	s_or_b32 s2, s2, s8
	s_and_b32 s12, s2, 0x7fffffff
	s_cmp_lt_u32 s12, 0x47800000
	s_cbranch_scc1 .LBB142_2266
.LBB142_2270:
	s_mov_b64 s[8:9], -1
                                        ; implicit-def: $vgpr0
	s_branch .LBB142_2275
.LBB142_2271:
	s_mov_b64 s[8:9], -1
                                        ; implicit-def: $sgpr13
.LBB142_2272:
	s_andn2_b64 vcc, exec, s[8:9]
	v_mov_b32_e32 v0, s13
	s_cbranch_vccnz .LBB142_2274
; %bb.2273:
	v_mov_b32_e32 v0, 0x43000000
	v_add_f32_e64 v0, |s2|, v0
.LBB142_2274:
	s_mov_b64 s[8:9], 0
.LBB142_2275:
	s_andn2_b64 vcc, exec, s[8:9]
	s_cbranch_vccnz .LBB142_2277
; %bb.2276:
	s_cmp_gt_u32 s12, 0x7f800000
	s_movk_i32 s8, 0x7f
	s_cselect_b32 s8, s8, 0x7c
	v_mov_b32_e32 v0, s8
.LBB142_2277:
	s_lshr_b32 s2, s2, 24
	s_and_b32 s2, s2, 0x80
	v_or_b32_e32 v0, s2, v0
	global_store_byte v[4:5], v0, off
.LBB142_2278:
	s_mov_b64 s[8:9], 0
.LBB142_2279:
	s_andn2_b64 vcc, exec, s[8:9]
	s_mov_b64 s[8:9], 0
	s_cbranch_vccnz .LBB142_2294
; %bb.2280:
	s_cmp_gt_i32 s18, 14
	s_mov_b64 s[12:13], -1
	s_cbranch_scc0 .LBB142_2292
; %bb.2281:
	s_cmp_eq_u32 s18, 15
	s_mov_b64 s[0:1], -1
	s_cbranch_scc0 .LBB142_2291
; %bb.2282:
	s_and_b32 s2, s3, 0xff
	s_cmpk_lt_i32 s2, 0x80
	s_cbranch_scc1 .LBB142_2286
; %bb.2283:
	s_and_b32 s0, 0xffff, s2
	s_cmpk_eq_i32 s0, 0x80
	s_mov_b64 s[0:1], -1
	s_cbranch_scc1 .LBB142_2287
; %bb.2284:
	s_mov_b32 s12, 0x7f800001
	s_and_b64 vcc, exec, s[8:9]
	s_cbranch_vccz .LBB142_2288
.LBB142_2285:
	s_and_b32 s0, 0xffff, s2
	s_cmp_lg_u32 s0, 0
	s_mov_b32 s12, 0
	s_cselect_b64 s[0:1], -1, 0
	s_andn2_b64 vcc, exec, s[0:1]
	s_cbranch_vccz .LBB142_2289
	s_branch .LBB142_2290
.LBB142_2286:
	s_mov_b64 s[8:9], -1
.LBB142_2287:
	s_mov_b64 s[0:1], 0
	s_mov_b32 s12, 0x7f800001
	s_and_b64 vcc, exec, s[8:9]
	s_cbranch_vccnz .LBB142_2285
.LBB142_2288:
	s_andn2_b64 vcc, exec, s[0:1]
	s_cbranch_vccnz .LBB142_2290
.LBB142_2289:
	s_and_b32 s1, s3, 7
	s_flbit_i32_b32 s8, s1
	s_min_u32 s8, s8, 32
	s_sub_i32 s9, s8, 28
	s_lshl_b32 s9, s3, s9
	s_lshl_b32 s0, s3, 24
	s_bfe_u32 s2, s3, 0x40003
	s_sub_i32 s8, 29, s8
	s_and_b32 s9, s9, 7
	s_cmp_eq_u32 s2, 0
	s_cselect_b32 s2, s8, s2
	s_cselect_b32 s1, s9, s1
	s_lshl_b32 s2, s2, 23
	s_and_b32 s0, s0, 0x80000000
	s_add_i32 s2, s2, 0x3b800000
	s_lshl_b32 s1, s1, 20
	s_or_b32 s0, s0, s2
	s_or_b32 s12, s0, s1
.LBB142_2290:
	s_bfe_u32 s0, s12, 0x10010
	s_add_i32 s0, s12, s0
	s_addk_i32 s0, 0x7fff
	s_lshr_b32 s2, s0, 16
	v_cmp_o_f32_e64 s[0:1], s12, s12
	s_and_b64 s[0:1], s[0:1], exec
	s_cselect_b32 s0, s2, 0x7fc0
	v_mov_b32_e32 v0, s0
	global_store_short v[4:5], v0, off
	s_mov_b64 s[0:1], 0
.LBB142_2291:
	s_mov_b64 s[12:13], 0
.LBB142_2292:
	s_mov_b64 s[8:9], 0
	s_and_b64 vcc, exec, s[12:13]
	s_cbranch_vccz .LBB142_2294
; %bb.2293:
	s_cmp_lg_u32 s18, 11
	s_mov_b64 s[8:9], -1
	s_cselect_b64 s[0:1], -1, 0
.LBB142_2294:
	s_and_b64 vcc, exec, s[0:1]
	s_cbranch_vccnz .LBB142_2296
.LBB142_2295:
	s_mov_b64 s[0:1], 0
	s_branch .LBB142_2021
.LBB142_2296:
	s_mov_b64 s[8:9], 0
	s_or_b64 s[10:11], s[10:11], exec
	s_trap 2
	s_branch .LBB142_2295
	.section	.rodata,"a",@progbits
	.p2align	6, 0x0
	.amdhsa_kernel _ZN2at6native32elementwise_kernel_manual_unrollILi128ELi4EZNS0_15gpu_kernel_implINS0_11FillFunctorIN3c1015Float8_e4m3fnuzEEEEEvRNS_18TensorIteratorBaseERKT_EUlibE_EEviT1_
		.amdhsa_group_segment_fixed_size 0
		.amdhsa_private_segment_fixed_size 0
		.amdhsa_kernarg_size 24
		.amdhsa_user_sgpr_count 6
		.amdhsa_user_sgpr_private_segment_buffer 1
		.amdhsa_user_sgpr_dispatch_ptr 0
		.amdhsa_user_sgpr_queue_ptr 0
		.amdhsa_user_sgpr_kernarg_segment_ptr 1
		.amdhsa_user_sgpr_dispatch_id 0
		.amdhsa_user_sgpr_flat_scratch_init 0
		.amdhsa_user_sgpr_private_segment_size 0
		.amdhsa_uses_dynamic_stack 0
		.amdhsa_system_sgpr_private_segment_wavefront_offset 0
		.amdhsa_system_sgpr_workgroup_id_x 1
		.amdhsa_system_sgpr_workgroup_id_y 0
		.amdhsa_system_sgpr_workgroup_id_z 0
		.amdhsa_system_sgpr_workgroup_info 0
		.amdhsa_system_vgpr_workitem_id 0
		.amdhsa_next_free_vgpr 17
		.amdhsa_next_free_sgpr 37
		.amdhsa_reserve_vcc 1
		.amdhsa_reserve_flat_scratch 0
		.amdhsa_float_round_mode_32 0
		.amdhsa_float_round_mode_16_64 0
		.amdhsa_float_denorm_mode_32 3
		.amdhsa_float_denorm_mode_16_64 3
		.amdhsa_dx10_clamp 1
		.amdhsa_ieee_mode 1
		.amdhsa_fp16_overflow 0
		.amdhsa_exception_fp_ieee_invalid_op 0
		.amdhsa_exception_fp_denorm_src 0
		.amdhsa_exception_fp_ieee_div_zero 0
		.amdhsa_exception_fp_ieee_overflow 0
		.amdhsa_exception_fp_ieee_underflow 0
		.amdhsa_exception_fp_ieee_inexact 0
		.amdhsa_exception_int_div_zero 0
	.end_amdhsa_kernel
	.section	.text._ZN2at6native32elementwise_kernel_manual_unrollILi128ELi4EZNS0_15gpu_kernel_implINS0_11FillFunctorIN3c1015Float8_e4m3fnuzEEEEEvRNS_18TensorIteratorBaseERKT_EUlibE_EEviT1_,"axG",@progbits,_ZN2at6native32elementwise_kernel_manual_unrollILi128ELi4EZNS0_15gpu_kernel_implINS0_11FillFunctorIN3c1015Float8_e4m3fnuzEEEEEvRNS_18TensorIteratorBaseERKT_EUlibE_EEviT1_,comdat
.Lfunc_end142:
	.size	_ZN2at6native32elementwise_kernel_manual_unrollILi128ELi4EZNS0_15gpu_kernel_implINS0_11FillFunctorIN3c1015Float8_e4m3fnuzEEEEEvRNS_18TensorIteratorBaseERKT_EUlibE_EEviT1_, .Lfunc_end142-_ZN2at6native32elementwise_kernel_manual_unrollILi128ELi4EZNS0_15gpu_kernel_implINS0_11FillFunctorIN3c1015Float8_e4m3fnuzEEEEEvRNS_18TensorIteratorBaseERKT_EUlibE_EEviT1_
                                        ; -- End function
	.set _ZN2at6native32elementwise_kernel_manual_unrollILi128ELi4EZNS0_15gpu_kernel_implINS0_11FillFunctorIN3c1015Float8_e4m3fnuzEEEEEvRNS_18TensorIteratorBaseERKT_EUlibE_EEviT1_.num_vgpr, 17
	.set _ZN2at6native32elementwise_kernel_manual_unrollILi128ELi4EZNS0_15gpu_kernel_implINS0_11FillFunctorIN3c1015Float8_e4m3fnuzEEEEEvRNS_18TensorIteratorBaseERKT_EUlibE_EEviT1_.num_agpr, 0
	.set _ZN2at6native32elementwise_kernel_manual_unrollILi128ELi4EZNS0_15gpu_kernel_implINS0_11FillFunctorIN3c1015Float8_e4m3fnuzEEEEEvRNS_18TensorIteratorBaseERKT_EUlibE_EEviT1_.numbered_sgpr, 37
	.set _ZN2at6native32elementwise_kernel_manual_unrollILi128ELi4EZNS0_15gpu_kernel_implINS0_11FillFunctorIN3c1015Float8_e4m3fnuzEEEEEvRNS_18TensorIteratorBaseERKT_EUlibE_EEviT1_.num_named_barrier, 0
	.set _ZN2at6native32elementwise_kernel_manual_unrollILi128ELi4EZNS0_15gpu_kernel_implINS0_11FillFunctorIN3c1015Float8_e4m3fnuzEEEEEvRNS_18TensorIteratorBaseERKT_EUlibE_EEviT1_.private_seg_size, 0
	.set _ZN2at6native32elementwise_kernel_manual_unrollILi128ELi4EZNS0_15gpu_kernel_implINS0_11FillFunctorIN3c1015Float8_e4m3fnuzEEEEEvRNS_18TensorIteratorBaseERKT_EUlibE_EEviT1_.uses_vcc, 1
	.set _ZN2at6native32elementwise_kernel_manual_unrollILi128ELi4EZNS0_15gpu_kernel_implINS0_11FillFunctorIN3c1015Float8_e4m3fnuzEEEEEvRNS_18TensorIteratorBaseERKT_EUlibE_EEviT1_.uses_flat_scratch, 0
	.set _ZN2at6native32elementwise_kernel_manual_unrollILi128ELi4EZNS0_15gpu_kernel_implINS0_11FillFunctorIN3c1015Float8_e4m3fnuzEEEEEvRNS_18TensorIteratorBaseERKT_EUlibE_EEviT1_.has_dyn_sized_stack, 0
	.set _ZN2at6native32elementwise_kernel_manual_unrollILi128ELi4EZNS0_15gpu_kernel_implINS0_11FillFunctorIN3c1015Float8_e4m3fnuzEEEEEvRNS_18TensorIteratorBaseERKT_EUlibE_EEviT1_.has_recursion, 0
	.set _ZN2at6native32elementwise_kernel_manual_unrollILi128ELi4EZNS0_15gpu_kernel_implINS0_11FillFunctorIN3c1015Float8_e4m3fnuzEEEEEvRNS_18TensorIteratorBaseERKT_EUlibE_EEviT1_.has_indirect_call, 0
	.section	.AMDGPU.csdata,"",@progbits
; Kernel info:
; codeLenInByte = 36540
; TotalNumSgprs: 41
; NumVgprs: 17
; ScratchSize: 0
; MemoryBound: 0
; FloatMode: 240
; IeeeMode: 1
; LDSByteSize: 0 bytes/workgroup (compile time only)
; SGPRBlocks: 5
; VGPRBlocks: 4
; NumSGPRsForWavesPerEU: 41
; NumVGPRsForWavesPerEU: 17
; Occupancy: 10
; WaveLimiterHint : 0
; COMPUTE_PGM_RSRC2:SCRATCH_EN: 0
; COMPUTE_PGM_RSRC2:USER_SGPR: 6
; COMPUTE_PGM_RSRC2:TRAP_HANDLER: 0
; COMPUTE_PGM_RSRC2:TGID_X_EN: 1
; COMPUTE_PGM_RSRC2:TGID_Y_EN: 0
; COMPUTE_PGM_RSRC2:TGID_Z_EN: 0
; COMPUTE_PGM_RSRC2:TIDIG_COMP_CNT: 0
	.section	.text._ZN2at6native32elementwise_kernel_manual_unrollILi128ELi4EZNS0_15gpu_kernel_implINS0_11FillFunctorIN3c1015Float8_e4m3fnuzEEEEEvRNS_18TensorIteratorBaseERKT_EUlibE0_EEviT1_,"axG",@progbits,_ZN2at6native32elementwise_kernel_manual_unrollILi128ELi4EZNS0_15gpu_kernel_implINS0_11FillFunctorIN3c1015Float8_e4m3fnuzEEEEEvRNS_18TensorIteratorBaseERKT_EUlibE0_EEviT1_,comdat
	.protected	_ZN2at6native32elementwise_kernel_manual_unrollILi128ELi4EZNS0_15gpu_kernel_implINS0_11FillFunctorIN3c1015Float8_e4m3fnuzEEEEEvRNS_18TensorIteratorBaseERKT_EUlibE0_EEviT1_ ; -- Begin function _ZN2at6native32elementwise_kernel_manual_unrollILi128ELi4EZNS0_15gpu_kernel_implINS0_11FillFunctorIN3c1015Float8_e4m3fnuzEEEEEvRNS_18TensorIteratorBaseERKT_EUlibE0_EEviT1_
	.globl	_ZN2at6native32elementwise_kernel_manual_unrollILi128ELi4EZNS0_15gpu_kernel_implINS0_11FillFunctorIN3c1015Float8_e4m3fnuzEEEEEvRNS_18TensorIteratorBaseERKT_EUlibE0_EEviT1_
	.p2align	8
	.type	_ZN2at6native32elementwise_kernel_manual_unrollILi128ELi4EZNS0_15gpu_kernel_implINS0_11FillFunctorIN3c1015Float8_e4m3fnuzEEEEEvRNS_18TensorIteratorBaseERKT_EUlibE0_EEviT1_,@function
_ZN2at6native32elementwise_kernel_manual_unrollILi128ELi4EZNS0_15gpu_kernel_implINS0_11FillFunctorIN3c1015Float8_e4m3fnuzEEEEEvRNS_18TensorIteratorBaseERKT_EUlibE0_EEviT1_: ; @_ZN2at6native32elementwise_kernel_manual_unrollILi128ELi4EZNS0_15gpu_kernel_implINS0_11FillFunctorIN3c1015Float8_e4m3fnuzEEEEEvRNS_18TensorIteratorBaseERKT_EUlibE0_EEviT1_
; %bb.0:
	s_load_dword s64, s[4:5], 0x0
	s_load_dword s33, s[4:5], 0x8
	s_add_u32 s24, s4, 8
	s_addc_u32 s25, s5, 0
	v_lshl_or_b32 v15, s6, 9, v0
	v_or_b32_e32 v2, 0x180, v15
	s_waitcnt lgkmcnt(0)
	s_add_i32 s58, s33, -1
	s_cmp_gt_u32 s58, 1
	v_cmp_le_i32_e32 vcc, s64, v2
	s_cselect_b64 s[30:31], -1, 0
	s_mov_b64 s[28:29], 0
	s_mov_b64 s[6:7], 0
	s_and_saveexec_b64 s[0:1], vcc
	s_xor_b64 s[26:27], exec, s[0:1]
	s_cbranch_execz .LBB143_1218
; %bb.1:
	s_cmp_lg_u32 s33, 0
	s_cselect_b64 s[42:43], -1, 0
	s_add_u32 s40, s24, 0xc4
	s_load_dwordx2 s[34:35], s[24:25], 0xc4
	s_load_dwordx2 s[6:7], s[24:25], 0x108
	s_load_dword s62, s[24:25], 0x110
	s_load_dwordx4 s[0:3], s[24:25], 0x4
	s_load_dwordx2 s[36:37], s[24:25], 0x14
	s_addc_u32 s41, s25, 0
	s_min_u32 s65, s58, 15
	s_cmp_gt_u32 s33, 1
	s_cselect_b64 s[38:39], -1, 0
	s_waitcnt lgkmcnt(0)
	s_and_b32 s9, s62, 7
	s_flbit_i32_b32 s11, s9
	s_min_u32 s11, s11, 32
	s_and_b32 s8, s62, 0xffff
	s_sub_i32 s12, s11, 28
	s_lshl_b32 s8, s8, s12
	s_and_b32 s59, s62, 0xff
	s_bfe_u32 s60, s62, 0x80008
	s_bfe_u32 s10, s62, 0x40003
	s_sub_i32 s11, 29, s11
	s_and_b32 s8, s8, 7
	s_cmp_eq_u32 s10, 0
	s_cselect_b32 s10, s11, s10
	s_cselect_b32 s8, s8, s9
	s_lshl_b32 s9, s62, 24
	s_lshl_b32 s10, s10, 23
	s_and_b32 s9, s9, 0x80000000
	s_add_i32 s10, s10, 0x3b800000
	s_lshl_b32 s8, s8, 20
	s_or_b32 s9, s9, s10
	s_or_b32 s61, s9, s8
	v_trunc_f32_e32 v0, s61
	v_mul_f32_e32 v1, 0x2f800000, v0
	s_mov_b32 s11, 0x2f800000
	v_floor_f32_e32 v1, v1
	v_mov_b32_e32 v2, v0
	v_fmac_f32_e32 v2, 0xcf800000, v1
	v_cvt_u32_f32_e32 v9, v1
	v_mul_f32_e64 v1, |v0|, s11
	s_mov_b32 s12, 0xcf800000
	v_floor_f32_e32 v1, v1
	v_cvt_u32_f32_e32 v8, v2
	v_fma_f32 v2, v1, s12, |v0|
	v_cvt_u32_f32_e32 v2, v2
	v_cvt_u32_f32_e32 v1, v1
	v_ashrrev_i32_e32 v0, 31, v0
	v_cvt_u32_f32_e32 v16, s61
	s_or_b32 s63, s8, s10
	v_cvt_f64_f32_e32 v[6:7], s61
	v_cvt_f16_f32_e32 v13, s61
	v_xor_b32_e32 v2, v2, v0
	v_cvt_i32_f32_e32 v12, s61
	s_cmp_lg_u32 s59, 0
	v_xor_b32_e32 v1, v1, v0
	v_sub_co_u32_e32 v4, vcc, v2, v0
	s_cselect_b64 s[8:9], -1, 0
	v_subb_co_u32_e32 v5, vcc, v1, v0, vcc
	v_cndmask_b32_e64 v14, 0, 1, s[8:9]
	v_cmp_gt_i32_e32 vcc, s64, v15
	s_mov_b64 s[10:11], -1
	s_mov_b64 s[50:51], 0
	s_mov_b64 s[44:45], 0
	s_and_saveexec_b64 s[46:47], vcc
	s_cbranch_execz .LBB143_303
; %bb.2:
	s_andn2_b64 vcc, exec, s[30:31]
	s_cbranch_vccnz .LBB143_7
; %bb.3:
	s_andn2_b64 vcc, exec, s[42:43]
	s_cbranch_vccnz .LBB143_8
; %bb.4:
	s_add_i32 s53, s65, 1
	s_cmp_eq_u32 s58, 2
	s_cbranch_scc1 .LBB143_9
; %bb.5:
	s_and_b32 s52, s53, 28
	s_mov_b32 s54, 0
	v_mov_b32_e32 v0, 0
	s_mov_b64 s[44:45], s[24:25]
	s_mov_b64 s[48:49], s[40:41]
	v_mov_b32_e32 v1, v15
.LBB143_6:                              ; =>This Inner Loop Header: Depth=1
	s_load_dwordx8 s[8:15], s[44:45], 0x4
	s_load_dwordx4 s[16:19], s[44:45], 0x24
	s_load_dwordx4 s[20:23], s[48:49], 0x0
	s_add_u32 s44, s44, 48
	s_addc_u32 s45, s45, 0
	s_waitcnt lgkmcnt(0)
	v_mul_hi_u32 v2, s9, v1
	s_add_i32 s54, s54, 4
	s_add_u32 s48, s48, 16
	s_addc_u32 s49, s49, 0
	v_add_u32_e32 v2, v1, v2
	v_lshrrev_b32_e32 v2, s10, v2
	v_mul_lo_u32 v3, v2, s8
	v_mul_hi_u32 v10, s12, v2
	s_cmp_lg_u32 s52, s54
	v_sub_u32_e32 v1, v1, v3
	v_add_u32_e32 v3, v2, v10
	v_lshrrev_b32_e32 v3, s13, v3
	v_mul_lo_u32 v10, v1, s20
	v_mul_hi_u32 v1, s15, v3
	v_mul_lo_u32 v17, v3, s11
	v_add_u32_e32 v1, v3, v1
	v_lshrrev_b32_e32 v11, s16, v1
	v_mul_hi_u32 v1, s18, v11
	v_sub_u32_e32 v2, v2, v17
	v_mul_lo_u32 v17, v11, s14
	v_mul_lo_u32 v2, v2, s21
	v_add_u32_e32 v1, v11, v1
	v_lshrrev_b32_e32 v1, s19, v1
	v_mul_lo_u32 v18, v1, s17
	v_sub_u32_e32 v3, v3, v17
	v_mul_lo_u32 v3, v3, s22
	v_add3_u32 v0, v10, v0, v2
	v_sub_u32_e32 v11, v11, v18
	v_mul_lo_u32 v11, v11, s23
	v_add3_u32 v0, v3, v0, v11
	s_cbranch_scc1 .LBB143_6
	s_branch .LBB143_10
.LBB143_7:
                                        ; implicit-def: $vgpr0
	s_branch .LBB143_14
.LBB143_8:
	v_mov_b32_e32 v0, 0
	s_branch .LBB143_13
.LBB143_9:
	v_mov_b32_e32 v0, 0
	s_mov_b32 s52, 0
	v_mov_b32_e32 v1, v15
.LBB143_10:
	s_and_b32 s12, s53, 3
	s_cmp_eq_u32 s12, 0
	s_cbranch_scc1 .LBB143_13
; %bb.11:
	s_lshl_b32 s8, s52, 2
	s_add_u32 s8, s24, s8
	s_addc_u32 s9, s25, 0
	s_add_u32 s8, s8, 0xc4
	s_addc_u32 s9, s9, 0
	s_mul_i32 s10, s52, 12
	s_add_u32 s10, s24, s10
	s_addc_u32 s11, s25, 0
.LBB143_12:                             ; =>This Inner Loop Header: Depth=1
	s_load_dwordx2 s[14:15], s[10:11], 0x4
	s_load_dword s13, s[10:11], 0xc
	s_add_u32 s10, s10, 12
	s_addc_u32 s11, s11, 0
	s_waitcnt lgkmcnt(0)
	v_mul_hi_u32 v2, s15, v1
	s_load_dword s15, s[8:9], 0x0
	s_add_u32 s8, s8, 4
	s_addc_u32 s9, s9, 0
	v_add_u32_e32 v2, v1, v2
	v_lshrrev_b32_e32 v2, s13, v2
	v_mul_lo_u32 v3, v2, s14
	s_add_i32 s12, s12, -1
	s_cmp_lg_u32 s12, 0
	v_sub_u32_e32 v1, v1, v3
	s_waitcnt lgkmcnt(0)
	v_mad_u64_u32 v[0:1], s[14:15], v1, s15, v[0:1]
	v_mov_b32_e32 v1, v2
	s_cbranch_scc1 .LBB143_12
.LBB143_13:
	s_cbranch_execnz .LBB143_16
.LBB143_14:
	v_mul_hi_u32 v0, s1, v15
	s_andn2_b64 vcc, exec, s[38:39]
	v_add_u32_e32 v0, v15, v0
	v_lshrrev_b32_e32 v1, s2, v0
	v_mul_lo_u32 v0, v1, s0
	v_sub_u32_e32 v0, v15, v0
	v_mul_lo_u32 v0, v0, s34
	s_cbranch_vccnz .LBB143_16
; %bb.15:
	v_mul_hi_u32 v2, s36, v1
	v_add_u32_e32 v2, v1, v2
	v_lshrrev_b32_e32 v2, s37, v2
	v_mul_lo_u32 v2, v2, s3
	v_sub_u32_e32 v1, v1, v2
	v_mad_u64_u32 v[0:1], s[8:9], v1, s35, v[0:1]
.LBB143_16:
	v_mov_b32_e32 v1, s7
	s_and_b32 s14, 0xffff, s60
	v_add_co_u32_e32 v10, vcc, s6, v0
	s_cmp_lt_i32 s14, 11
	v_addc_co_u32_e32 v11, vcc, 0, v1, vcc
	s_cbranch_scc1 .LBB143_25
; %bb.17:
	s_cmp_gt_i32 s14, 25
	s_cbranch_scc0 .LBB143_28
; %bb.18:
	s_cmp_gt_i32 s14, 28
	s_cbranch_scc0 .LBB143_29
	;; [unrolled: 3-line block ×4, first 2 shown]
; %bb.21:
	s_mov_b64 s[12:13], 0
	s_mov_b64 s[8:9], -1
	s_cmp_eq_u32 s14, 46
	s_mov_b64 s[10:11], 0
	s_cbranch_scc0 .LBB143_38
; %bb.22:
	s_cmpk_lt_i32 s59, 0x80
	s_cbranch_scc1 .LBB143_34
; %bb.23:
	s_and_b32 s8, 0xffff, s59
	s_cmpk_eq_i32 s8, 0x80
	s_mov_b64 s[8:9], -1
	s_cbranch_scc0 .LBB143_32
; %bb.24:
	s_mov_b64 s[8:9], 0
	s_mov_b32 s15, 0x7f800001
	s_and_b64 vcc, exec, s[10:11]
	s_cbranch_vccz .LBB143_35
	s_branch .LBB143_33
.LBB143_25:
	s_mov_b64 s[8:9], 0
	s_mov_b64 s[10:11], 0
	s_cbranch_execnz .LBB143_172
.LBB143_26:
	s_andn2_b64 vcc, exec, s[10:11]
	s_cbranch_vccnz .LBB143_301
.LBB143_27:
	v_add_u32_e32 v15, 0x80, v15
	s_mov_b64 s[10:11], -1
	s_branch .LBB143_302
.LBB143_28:
	s_mov_b64 s[8:9], 0
	s_mov_b64 s[10:11], 0
	s_cbranch_execnz .LBB143_89
	s_branch .LBB143_171
.LBB143_29:
	s_mov_b64 s[12:13], -1
	s_mov_b64 s[8:9], 0
	s_mov_b64 s[10:11], 0
	s_branch .LBB143_64
.LBB143_30:
	s_mov_b64 s[12:13], -1
	s_mov_b64 s[8:9], 0
	s_mov_b64 s[10:11], 0
	s_branch .LBB143_51
.LBB143_31:
	s_mov_b64 s[12:13], -1
	s_mov_b64 s[8:9], 0
	s_mov_b64 s[10:11], 0
	s_branch .LBB143_38
.LBB143_32:
	s_mov_b32 s15, 0x7f800001
	s_and_b64 vcc, exec, s[10:11]
	s_cbranch_vccz .LBB143_35
.LBB143_33:
	s_and_b32 s8, 0xffff, s59
	s_cmp_lg_u32 s8, 0
	s_mov_b32 s15, 0
	s_cselect_b64 s[8:9], -1, 0
	s_andn2_b64 vcc, exec, s[8:9]
	s_cbranch_vccz .LBB143_36
	s_branch .LBB143_37
.LBB143_34:
	s_mov_b64 s[8:9], 0
	s_mov_b32 s15, 0x7f800001
	s_cbranch_execnz .LBB143_33
.LBB143_35:
	s_andn2_b64 vcc, exec, s[8:9]
	s_cbranch_vccnz .LBB143_37
.LBB143_36:
	s_mov_b32 s15, s61
.LBB143_37:
	s_bfe_u32 s8, s15, 0x10010
	s_add_i32 s8, s15, s8
	s_addk_i32 s8, 0x7fff
	s_lshr_b32 s10, s8, 16
	v_cmp_o_f32_e64 s[8:9], s15, s15
	s_and_b64 s[8:9], s[8:9], exec
	s_cselect_b32 s8, s10, 0x7fc0
	v_mov_b32_e32 v0, s8
	global_store_dword v[10:11], v0, off
	s_mov_b64 s[10:11], -1
	s_mov_b64 s[8:9], 0
.LBB143_38:
	s_and_b64 vcc, exec, s[12:13]
	s_cbranch_vccz .LBB143_50
; %bb.39:
	s_cmp_eq_u32 s14, 44
	s_mov_b64 s[8:9], -1
	s_cbranch_scc0 .LBB143_50
; %bb.40:
	s_cmpk_lt_i32 s59, 0x80
	s_cbranch_scc1 .LBB143_44
; %bb.41:
	s_and_b32 s8, 0xffff, s59
	s_cmpk_eq_i32 s8, 0x80
	s_mov_b64 s[8:9], -1
	s_cbranch_scc0 .LBB143_43
; %bb.42:
	s_mov_b64 s[8:9], 0
.LBB143_43:
	s_mov_b64 s[10:11], 0
	s_branch .LBB143_45
.LBB143_44:
	s_mov_b64 s[10:11], -1
	s_mov_b64 s[8:9], 0
.LBB143_45:
	s_mov_b32 s12, 0x7f800001
	s_and_b64 vcc, exec, s[10:11]
	s_cbranch_vccz .LBB143_55
; %bb.46:
	s_and_b32 s12, 0xffff, s59
	s_cmp_lg_u32 s12, 0
	s_cselect_b64 s[8:9], -1, 0
	s_andn2_b64 vcc, exec, s[8:9]
	s_cbranch_vccz .LBB143_56
.LBB143_47:
	s_lshr_b32 s8, s12, 23
	s_cmpk_eq_i32 s8, 0xff
	v_mov_b32_e32 v0, 0xff
	s_cbranch_scc1 .LBB143_49
.LBB143_48:
	s_bitcmp1_b32 s12, 22
	s_cselect_b64 s[10:11], -1, 0
	s_and_b32 s9, s12, 0x3fffff
	s_or_b32 s9, s8, s9
	s_cmp_lg_u32 s9, 0
	s_cselect_b64 s[12:13], -1, 0
	s_and_b64 s[10:11], s[10:11], s[12:13]
	v_cndmask_b32_e64 v0, 0, 1, s[10:11]
	v_add_u32_e32 v0, s8, v0
.LBB143_49:
	s_mov_b64 s[10:11], -1
	s_mov_b64 s[8:9], 0
	global_store_byte v[10:11], v0, off
.LBB143_50:
	s_mov_b64 s[12:13], 0
.LBB143_51:
	s_and_b64 vcc, exec, s[12:13]
	s_cbranch_vccz .LBB143_63
; %bb.52:
	s_cmp_eq_u32 s14, 29
	s_mov_b64 s[8:9], -1
	s_cbranch_scc0 .LBB143_63
; %bb.53:
	s_cmpk_lt_i32 s59, 0x80
	s_cbranch_scc1 .LBB143_57
; %bb.54:
	s_and_b32 s8, 0xffff, s59
	s_cmpk_lg_i32 s8, 0x80
	s_mov_b64 s[10:11], 0
	s_cselect_b64 s[8:9], -1, 0
	s_branch .LBB143_58
.LBB143_55:
	s_andn2_b64 vcc, exec, s[8:9]
	s_cbranch_vccnz .LBB143_47
.LBB143_56:
	s_mov_b32 s12, s63
	s_lshr_b32 s8, s12, 23
	s_cmpk_eq_i32 s8, 0xff
	v_mov_b32_e32 v0, 0xff
	s_cbranch_scc0 .LBB143_48
	s_branch .LBB143_49
.LBB143_57:
	s_mov_b64 s[10:11], -1
	s_mov_b64 s[8:9], 0
.LBB143_58:
	s_andn2_b64 vcc, exec, s[10:11]
	s_cbranch_vccnz .LBB143_60
; %bb.59:
	s_and_b32 s8, 0xffff, s59
	s_cmp_lg_u32 s8, 0
	s_cselect_b64 s[8:9], -1, 0
.LBB143_60:
	v_mov_b32_e32 v0, 0
	s_andn2_b64 vcc, exec, s[8:9]
	v_mov_b32_e32 v1, 0
	s_cbranch_vccnz .LBB143_62
; %bb.61:
	v_mov_b32_e32 v0, v8
	v_mov_b32_e32 v1, v9
.LBB143_62:
	global_store_dwordx2 v[10:11], v[0:1], off
	s_mov_b64 s[10:11], -1
	s_mov_b64 s[8:9], 0
.LBB143_63:
	s_mov_b64 s[12:13], 0
.LBB143_64:
	s_and_b64 vcc, exec, s[12:13]
	s_cbranch_vccz .LBB143_88
; %bb.65:
	s_cmp_lt_i32 s14, 27
	s_mov_b64 s[10:11], -1
	s_cbranch_scc1 .LBB143_85
; %bb.66:
	s_cmp_gt_i32 s14, 27
	s_cbranch_scc0 .LBB143_75
; %bb.67:
	s_cmpk_lt_i32 s59, 0x80
	s_cbranch_scc1 .LBB143_69
; %bb.68:
	s_and_b32 s10, 0xffff, s59
	s_cmpk_lg_i32 s10, 0x80
	s_mov_b64 s[12:13], 0
	s_cselect_b64 s[10:11], -1, 0
	s_branch .LBB143_70
.LBB143_69:
	s_mov_b64 s[12:13], -1
	s_mov_b64 s[10:11], 0
.LBB143_70:
	s_andn2_b64 vcc, exec, s[12:13]
	s_cbranch_vccnz .LBB143_72
; %bb.71:
	s_and_b32 s10, 0xffff, s59
	s_cmp_lg_u32 s10, 0
	s_cselect_b64 s[10:11], -1, 0
.LBB143_72:
	s_andn2_b64 vcc, exec, s[10:11]
	v_mov_b32_e32 v0, 0
	s_cbranch_vccnz .LBB143_74
; %bb.73:
	v_mov_b32_e32 v0, v16
.LBB143_74:
	global_store_dword v[10:11], v0, off
	s_mov_b64 s[10:11], 0
.LBB143_75:
	s_and_b64 vcc, exec, s[10:11]
	s_cbranch_vccz .LBB143_84
; %bb.76:
	s_cmpk_lt_i32 s59, 0x80
	s_cbranch_scc1 .LBB143_78
; %bb.77:
	s_and_b32 s10, 0xffff, s59
	s_cmpk_lg_i32 s10, 0x80
	s_mov_b64 s[12:13], 0
	s_cselect_b64 s[10:11], -1, 0
	s_branch .LBB143_79
.LBB143_78:
	s_mov_b64 s[12:13], -1
	s_mov_b64 s[10:11], 0
.LBB143_79:
	s_andn2_b64 vcc, exec, s[12:13]
	s_cbranch_vccnz .LBB143_81
; %bb.80:
	s_and_b32 s10, 0xffff, s59
	s_cmp_lg_u32 s10, 0
	s_cselect_b64 s[10:11], -1, 0
.LBB143_81:
	s_andn2_b64 vcc, exec, s[10:11]
	v_mov_b32_e32 v0, 0
	s_cbranch_vccnz .LBB143_83
; %bb.82:
	v_mov_b32_e32 v0, v16
.LBB143_83:
	global_store_short v[10:11], v0, off
.LBB143_84:
	s_mov_b64 s[10:11], 0
.LBB143_85:
	s_andn2_b64 vcc, exec, s[10:11]
	s_cbranch_vccnz .LBB143_87
; %bb.86:
	v_mov_b32_e32 v0, s62
	global_store_byte v[10:11], v0, off
.LBB143_87:
	s_mov_b64 s[10:11], -1
.LBB143_88:
	s_branch .LBB143_171
.LBB143_89:
	s_cmp_gt_i32 s14, 22
	s_mov_b64 s[12:13], -1
	s_cbranch_scc0 .LBB143_154
; %bb.90:
	s_cmp_lt_i32 s14, 24
	s_mov_b64 s[10:11], -1
	s_cbranch_scc1 .LBB143_132
; %bb.91:
	s_cmp_gt_i32 s14, 24
	s_cbranch_scc0 .LBB143_110
; %bb.92:
	s_cmpk_lt_i32 s59, 0x80
	s_cbranch_scc1 .LBB143_96
; %bb.93:
	s_and_b32 s10, 0xffff, s59
	s_cmpk_eq_i32 s10, 0x80
	s_mov_b64 s[10:11], -1
	s_cbranch_scc0 .LBB143_95
; %bb.94:
	s_mov_b64 s[10:11], 0
.LBB143_95:
	s_mov_b64 s[12:13], 0
	s_branch .LBB143_97
.LBB143_96:
	s_mov_b64 s[10:11], 0
.LBB143_97:
	s_mov_b32 s15, 0x7f800001
	s_and_b64 vcc, exec, s[12:13]
	s_cbranch_vccz .LBB143_100
; %bb.98:
	s_and_b32 s10, 0xffff, s59
	s_cmp_lg_u32 s10, 0
	s_mov_b32 s15, 0
	s_cselect_b64 s[10:11], -1, 0
	s_andn2_b64 vcc, exec, s[10:11]
	s_cbranch_vccz .LBB143_101
.LBB143_99:
	s_and_b32 s10, s15, 0x7fffffff
	s_cmp_gt_u32 s10, 0x477fffff
	v_mov_b32_e32 v1, 0x80
	s_cbranch_scc0 .LBB143_102
	s_branch .LBB143_109
.LBB143_100:
	s_andn2_b64 vcc, exec, s[10:11]
	s_cbranch_vccnz .LBB143_99
.LBB143_101:
	s_mov_b32 s15, s61
	s_and_b32 s10, s15, 0x7fffffff
	s_cmp_gt_u32 s10, 0x477fffff
	v_mov_b32_e32 v1, 0x80
	s_cbranch_scc1 .LBB143_109
.LBB143_102:
	s_cmp_gt_u32 s10, 0x37ffffff
	s_cbranch_scc0 .LBB143_104
; %bb.103:
	s_bfe_u32 s10, s15, 0x10015
	s_add_i32 s10, s15, s10
	s_add_i32 s10, s10, 0x88fffff
	s_lshr_b32 s16, s10, 21
	s_mov_b64 s[12:13], 0
	s_mov_b64 s[10:11], -1
	s_branch .LBB143_105
.LBB143_104:
	s_mov_b64 s[12:13], -1
	s_mov_b64 s[10:11], 0
                                        ; implicit-def: $sgpr16
.LBB143_105:
	s_andn2_b64 vcc, exec, s[12:13]
	v_mov_b32_e32 v0, s16
	s_cbranch_vccnz .LBB143_107
; %bb.106:
	v_mov_b32_e32 v0, 0x42800000
	v_add_f32_e64 v0, |s15|, v0
	v_and_b32_e32 v0, 0xff, v0
	v_cmp_ne_u32_e64 s[10:11], 0, v0
.LBB143_107:
	s_andn2_b64 vcc, exec, s[10:11]
	v_mov_b32_e32 v1, 0
	s_cbranch_vccnz .LBB143_109
; %bb.108:
	s_lshr_b32 s10, s15, 24
	s_and_b32 s10, s10, 0x80
	v_or_b32_e32 v1, s10, v0
.LBB143_109:
	global_store_byte v[10:11], v1, off
	s_mov_b64 s[10:11], 0
.LBB143_110:
	s_and_b64 vcc, exec, s[10:11]
	s_cbranch_vccz .LBB143_131
; %bb.111:
	s_cmpk_lt_i32 s59, 0x80
	s_cbranch_scc1 .LBB143_115
; %bb.112:
	s_and_b32 s10, 0xffff, s59
	s_cmpk_eq_i32 s10, 0x80
	s_mov_b64 s[10:11], -1
	s_cbranch_scc0 .LBB143_114
; %bb.113:
	s_mov_b64 s[10:11], 0
.LBB143_114:
	s_mov_b64 s[12:13], 0
	s_branch .LBB143_116
.LBB143_115:
	s_mov_b64 s[12:13], -1
	s_mov_b64 s[10:11], 0
.LBB143_116:
	s_mov_b32 s15, 0x7f800001
	s_and_b64 vcc, exec, s[12:13]
	s_cbranch_vccz .LBB143_121
; %bb.117:
	s_and_b32 s10, 0xffff, s59
	s_cmp_lg_u32 s10, 0
	s_mov_b32 s15, 0
	s_cselect_b64 s[10:11], -1, 0
	s_andn2_b64 vcc, exec, s[10:11]
	s_cbranch_vccz .LBB143_122
.LBB143_118:
	s_and_b32 s12, s15, 0x7fffffff
	s_cmp_lt_u32 s12, 0x43f00000
	s_cbranch_scc0 .LBB143_123
.LBB143_119:
	s_cmp_gt_u32 s12, 0x3c7fffff
	s_cbranch_scc0 .LBB143_124
; %bb.120:
	s_bfe_u32 s10, s15, 0x10014
	s_add_i32 s10, s15, s10
	s_add_i32 s10, s10, 0x407ffff
	s_lshr_b32 s11, s10, 20
	s_and_b32 s10, s10, 0xff00000
	s_cmp_lg_u32 s10, 0x7f00000
	s_cselect_b32 s13, s11, 0x7e
	s_mov_b64 s[10:11], 0
	s_branch .LBB143_125
.LBB143_121:
	s_andn2_b64 vcc, exec, s[10:11]
	s_cbranch_vccnz .LBB143_118
.LBB143_122:
	s_mov_b32 s15, s61
	s_and_b32 s12, s15, 0x7fffffff
	s_cmp_lt_u32 s12, 0x43f00000
	s_cbranch_scc1 .LBB143_119
.LBB143_123:
	s_mov_b64 s[10:11], -1
                                        ; implicit-def: $vgpr0
	s_branch .LBB143_128
.LBB143_124:
	s_mov_b64 s[10:11], -1
                                        ; implicit-def: $sgpr13
.LBB143_125:
	s_andn2_b64 vcc, exec, s[10:11]
	v_mov_b32_e32 v0, s13
	s_cbranch_vccnz .LBB143_127
; %bb.126:
	v_mov_b32_e32 v0, 0x46800000
	v_add_f32_e64 v0, |s15|, v0
.LBB143_127:
	s_mov_b64 s[10:11], 0
.LBB143_128:
	s_andn2_b64 vcc, exec, s[10:11]
	s_cbranch_vccnz .LBB143_130
; %bb.129:
	s_cmp_gt_u32 s12, 0x7f800000
	s_movk_i32 s10, 0x7f
	s_cselect_b32 s10, s10, 0x7e
	v_mov_b32_e32 v0, s10
.LBB143_130:
	s_lshr_b32 s10, s15, 24
	s_and_b32 s10, s10, 0x80
	v_or_b32_e32 v0, s10, v0
	global_store_byte v[10:11], v0, off
.LBB143_131:
	s_mov_b64 s[10:11], 0
.LBB143_132:
	s_andn2_b64 vcc, exec, s[10:11]
	s_cbranch_vccnz .LBB143_153
; %bb.133:
	s_cmpk_lt_i32 s59, 0x80
	s_cbranch_scc1 .LBB143_137
; %bb.134:
	s_and_b32 s10, 0xffff, s59
	s_cmpk_eq_i32 s10, 0x80
	s_mov_b64 s[10:11], -1
	s_cbranch_scc0 .LBB143_136
; %bb.135:
	s_mov_b64 s[10:11], 0
.LBB143_136:
	s_mov_b64 s[12:13], 0
	s_branch .LBB143_138
.LBB143_137:
	s_mov_b64 s[12:13], -1
	s_mov_b64 s[10:11], 0
.LBB143_138:
	s_mov_b32 s15, 0x7f800001
	s_and_b64 vcc, exec, s[12:13]
	s_cbranch_vccz .LBB143_143
; %bb.139:
	s_and_b32 s10, 0xffff, s59
	s_cmp_lg_u32 s10, 0
	s_mov_b32 s15, 0
	s_cselect_b64 s[10:11], -1, 0
	s_andn2_b64 vcc, exec, s[10:11]
	s_cbranch_vccz .LBB143_144
.LBB143_140:
	s_and_b32 s12, s15, 0x7fffffff
	s_cmp_lt_u32 s12, 0x47800000
	s_cbranch_scc0 .LBB143_145
.LBB143_141:
	s_cmp_gt_u32 s12, 0x387fffff
	s_cbranch_scc0 .LBB143_146
; %bb.142:
	s_bfe_u32 s10, s15, 0x10015
	s_add_i32 s10, s15, s10
	s_add_i32 s10, s10, 0x80fffff
	s_lshr_b32 s13, s10, 21
	s_mov_b64 s[10:11], 0
	s_branch .LBB143_147
.LBB143_143:
	s_andn2_b64 vcc, exec, s[10:11]
	s_cbranch_vccnz .LBB143_140
.LBB143_144:
	s_mov_b32 s15, s61
	s_and_b32 s12, s15, 0x7fffffff
	s_cmp_lt_u32 s12, 0x47800000
	s_cbranch_scc1 .LBB143_141
.LBB143_145:
	s_mov_b64 s[10:11], -1
                                        ; implicit-def: $vgpr0
	s_branch .LBB143_150
.LBB143_146:
	s_mov_b64 s[10:11], -1
                                        ; implicit-def: $sgpr13
.LBB143_147:
	s_andn2_b64 vcc, exec, s[10:11]
	v_mov_b32_e32 v0, s13
	s_cbranch_vccnz .LBB143_149
; %bb.148:
	v_mov_b32_e32 v0, 0x43000000
	v_add_f32_e64 v0, |s15|, v0
.LBB143_149:
	s_mov_b64 s[10:11], 0
.LBB143_150:
	s_andn2_b64 vcc, exec, s[10:11]
	s_cbranch_vccnz .LBB143_152
; %bb.151:
	s_cmp_gt_u32 s12, 0x7f800000
	s_movk_i32 s10, 0x7f
	s_cselect_b32 s10, s10, 0x7c
	v_mov_b32_e32 v0, s10
.LBB143_152:
	s_lshr_b32 s10, s15, 24
	s_and_b32 s10, s10, 0x80
	v_or_b32_e32 v0, s10, v0
	global_store_byte v[10:11], v0, off
.LBB143_153:
	s_mov_b64 s[12:13], 0
	s_mov_b64 s[10:11], -1
.LBB143_154:
	s_andn2_b64 vcc, exec, s[12:13]
	s_cbranch_vccnz .LBB143_171
; %bb.155:
	s_cmp_gt_i32 s14, 14
	s_mov_b64 s[12:13], -1
	s_cbranch_scc0 .LBB143_168
; %bb.156:
	s_cmp_eq_u32 s14, 15
	s_mov_b64 s[8:9], -1
	s_cbranch_scc0 .LBB143_167
; %bb.157:
	s_cmpk_lt_i32 s59, 0x80
	s_cbranch_scc1 .LBB143_161
; %bb.158:
	s_and_b32 s8, 0xffff, s59
	s_cmpk_eq_i32 s8, 0x80
	s_mov_b64 s[8:9], -1
	s_cbranch_scc0 .LBB143_160
; %bb.159:
	s_mov_b64 s[8:9], 0
.LBB143_160:
	s_mov_b64 s[10:11], 0
	s_branch .LBB143_162
.LBB143_161:
	s_mov_b64 s[10:11], -1
	s_mov_b64 s[8:9], 0
.LBB143_162:
	s_mov_b32 s12, 0x7f800001
	s_and_b64 vcc, exec, s[10:11]
	s_cbranch_vccz .LBB143_164
; %bb.163:
	s_and_b32 s8, 0xffff, s59
	s_cmp_lg_u32 s8, 0
	s_mov_b32 s12, 0
	s_cselect_b64 s[8:9], -1, 0
.LBB143_164:
	s_andn2_b64 vcc, exec, s[8:9]
	s_cbranch_vccnz .LBB143_166
; %bb.165:
	s_mov_b32 s12, s61
.LBB143_166:
	s_bfe_u32 s8, s12, 0x10010
	s_add_i32 s8, s12, s8
	s_addk_i32 s8, 0x7fff
	s_lshr_b32 s10, s8, 16
	v_cmp_o_f32_e64 s[8:9], s12, s12
	s_and_b64 s[8:9], s[8:9], exec
	s_cselect_b32 s8, s10, 0x7fc0
	v_mov_b32_e32 v0, s8
	global_store_short v[10:11], v0, off
	s_mov_b64 s[10:11], -1
	s_mov_b64 s[8:9], 0
.LBB143_167:
	s_mov_b64 s[12:13], 0
.LBB143_168:
	s_and_b64 vcc, exec, s[12:13]
	s_cbranch_vccz .LBB143_171
; %bb.169:
	s_cmp_eq_u32 s14, 11
	s_mov_b64 s[8:9], -1
	s_cbranch_scc0 .LBB143_171
; %bb.170:
	s_mov_b64 s[10:11], -1
	s_mov_b64 s[8:9], 0
	global_store_byte v[10:11], v14, off
.LBB143_171:
	s_branch .LBB143_26
.LBB143_172:
	s_cmp_lt_i32 s14, 5
	s_mov_b64 s[10:11], -1
	s_cbranch_scc1 .LBB143_249
; %bb.173:
	s_cmp_lt_i32 s14, 8
	s_cbranch_scc1 .LBB143_211
; %bb.174:
	s_cmp_lt_i32 s14, 9
	s_cbranch_scc1 .LBB143_199
; %bb.175:
	s_cmp_gt_i32 s14, 9
	s_cbranch_scc0 .LBB143_187
; %bb.176:
	s_cmpk_lt_i32 s59, 0x80
	s_cbranch_scc1 .LBB143_180
; %bb.177:
	s_and_b32 s10, 0xffff, s59
	s_cmpk_eq_i32 s10, 0x80
	s_mov_b64 s[10:11], -1
	s_cbranch_scc0 .LBB143_179
; %bb.178:
	s_mov_b64 s[10:11], 0
.LBB143_179:
	s_mov_b64 s[12:13], 0
	s_branch .LBB143_181
.LBB143_180:
	s_mov_b64 s[12:13], -1
	s_mov_b64 s[10:11], 0
.LBB143_181:
	s_and_b64 vcc, exec, s[12:13]
	s_cbranch_vccz .LBB143_183
; %bb.182:
	s_and_b32 s10, 0xffff, s59
	s_cmp_lg_u32 s10, 0
	s_mov_b64 s[12:13], 0
	s_cselect_b64 s[10:11], -1, 0
	s_branch .LBB143_184
.LBB143_183:
	s_mov_b32 s13, 0x7ff80000
	s_brev_b32 s12, 4
.LBB143_184:
	v_mov_b32_e32 v0, s12
	s_andn2_b64 vcc, exec, s[10:11]
	v_mov_b32_e32 v1, s13
	s_cbranch_vccnz .LBB143_186
; %bb.185:
	v_mov_b32_e32 v0, v6
	v_mov_b32_e32 v1, v7
.LBB143_186:
	v_mov_b32_e32 v2, 0
	v_mov_b32_e32 v3, v2
	global_store_dwordx4 v[10:11], v[0:3], off
	s_mov_b64 s[10:11], 0
.LBB143_187:
	s_and_b64 vcc, exec, s[10:11]
	s_cbranch_vccz .LBB143_198
; %bb.188:
	s_cmpk_lt_i32 s59, 0x80
	s_cbranch_scc1 .LBB143_192
; %bb.189:
	s_and_b32 s10, 0xffff, s59
	s_cmpk_eq_i32 s10, 0x80
	s_mov_b64 s[10:11], -1
	s_cbranch_scc0 .LBB143_191
; %bb.190:
	s_mov_b64 s[10:11], 0
.LBB143_191:
	s_mov_b64 s[12:13], 0
	s_branch .LBB143_193
.LBB143_192:
	s_mov_b64 s[12:13], -1
	s_mov_b64 s[10:11], 0
.LBB143_193:
	s_mov_b32 s15, 0x7f800001
	s_and_b64 vcc, exec, s[12:13]
	s_cbranch_vccz .LBB143_195
; %bb.194:
	s_and_b32 s15, 0xffff, s59
	s_cmp_lg_u32 s15, 0
	s_cselect_b64 s[10:11], -1, 0
.LBB143_195:
	s_andn2_b64 vcc, exec, s[10:11]
	s_cbranch_vccnz .LBB143_197
; %bb.196:
	s_mov_b32 s15, s61
.LBB143_197:
	v_mov_b32_e32 v0, s15
	v_mov_b32_e32 v1, 0
	global_store_dwordx2 v[10:11], v[0:1], off
.LBB143_198:
	s_mov_b64 s[10:11], 0
.LBB143_199:
	s_andn2_b64 vcc, exec, s[10:11]
	s_cbranch_vccnz .LBB143_210
; %bb.200:
	s_cmpk_lt_i32 s59, 0x80
	s_cbranch_scc1 .LBB143_204
; %bb.201:
	s_and_b32 s10, 0xffff, s59
	s_cmpk_eq_i32 s10, 0x80
	s_mov_b64 s[10:11], -1
	s_cbranch_scc0 .LBB143_203
; %bb.202:
	s_mov_b64 s[10:11], 0
.LBB143_203:
	s_mov_b64 s[12:13], 0
	s_branch .LBB143_205
.LBB143_204:
	s_mov_b64 s[12:13], -1
	s_mov_b64 s[10:11], 0
.LBB143_205:
	s_movk_i32 s15, 0x7e00
	s_and_b64 vcc, exec, s[12:13]
	s_cbranch_vccz .LBB143_207
; %bb.206:
	s_and_b32 s15, 0xffff, s59
	s_cmp_lg_u32 s15, 0
	s_cselect_b64 s[10:11], -1, 0
.LBB143_207:
	s_andn2_b64 vcc, exec, s[10:11]
	v_mov_b32_e32 v0, s15
	s_cbranch_vccnz .LBB143_209
; %bb.208:
	v_mov_b32_e32 v0, v13
.LBB143_209:
	global_store_dword v[10:11], v0, off
.LBB143_210:
	s_mov_b64 s[10:11], 0
.LBB143_211:
	s_andn2_b64 vcc, exec, s[10:11]
	s_cbranch_vccnz .LBB143_248
; %bb.212:
	s_cmp_lt_i32 s14, 6
	s_mov_b64 s[10:11], -1
	s_cbranch_scc1 .LBB143_237
; %bb.213:
	s_cmp_gt_i32 s14, 6
	s_cbranch_scc0 .LBB143_225
; %bb.214:
	s_cmpk_lt_i32 s59, 0x80
	s_cbranch_scc1 .LBB143_218
; %bb.215:
	s_and_b32 s10, 0xffff, s59
	s_cmpk_eq_i32 s10, 0x80
	s_mov_b64 s[10:11], -1
	s_cbranch_scc0 .LBB143_217
; %bb.216:
	s_mov_b64 s[10:11], 0
.LBB143_217:
	s_mov_b64 s[12:13], 0
	s_branch .LBB143_219
.LBB143_218:
	s_mov_b64 s[12:13], -1
	s_mov_b64 s[10:11], 0
.LBB143_219:
	s_and_b64 vcc, exec, s[12:13]
	s_cbranch_vccz .LBB143_221
; %bb.220:
	s_and_b32 s10, 0xffff, s59
	s_cmp_lg_u32 s10, 0
	s_mov_b64 s[12:13], 0
	s_cselect_b64 s[10:11], -1, 0
	s_branch .LBB143_222
.LBB143_221:
	s_mov_b32 s13, 0x7ff80000
	s_brev_b32 s12, 4
.LBB143_222:
	v_mov_b32_e32 v0, s12
	s_andn2_b64 vcc, exec, s[10:11]
	v_mov_b32_e32 v1, s13
	s_cbranch_vccnz .LBB143_224
; %bb.223:
	v_mov_b32_e32 v0, v6
	v_mov_b32_e32 v1, v7
.LBB143_224:
	global_store_dwordx2 v[10:11], v[0:1], off
	s_mov_b64 s[10:11], 0
.LBB143_225:
	s_and_b64 vcc, exec, s[10:11]
	s_cbranch_vccz .LBB143_236
; %bb.226:
	s_cmpk_lt_i32 s59, 0x80
	s_cbranch_scc1 .LBB143_230
; %bb.227:
	s_and_b32 s10, 0xffff, s59
	s_cmpk_eq_i32 s10, 0x80
	s_mov_b64 s[10:11], -1
	s_cbranch_scc0 .LBB143_229
; %bb.228:
	s_mov_b64 s[10:11], 0
.LBB143_229:
	s_mov_b64 s[12:13], 0
	s_branch .LBB143_231
.LBB143_230:
	s_mov_b64 s[12:13], -1
	s_mov_b64 s[10:11], 0
.LBB143_231:
	s_mov_b32 s15, 0x7f800001
	s_and_b64 vcc, exec, s[12:13]
	s_cbranch_vccz .LBB143_233
; %bb.232:
	s_and_b32 s10, 0xffff, s59
	s_cmp_lg_u32 s10, 0
	s_mov_b32 s15, 0
	s_cselect_b64 s[10:11], -1, 0
.LBB143_233:
	s_andn2_b64 vcc, exec, s[10:11]
	s_cbranch_vccnz .LBB143_235
; %bb.234:
	s_mov_b32 s15, s61
.LBB143_235:
	v_mov_b32_e32 v0, s15
	global_store_dword v[10:11], v0, off
.LBB143_236:
	s_mov_b64 s[10:11], 0
.LBB143_237:
	s_andn2_b64 vcc, exec, s[10:11]
	s_cbranch_vccnz .LBB143_248
; %bb.238:
	s_cmpk_lt_i32 s59, 0x80
	s_cbranch_scc1 .LBB143_242
; %bb.239:
	s_and_b32 s10, 0xffff, s59
	s_cmpk_eq_i32 s10, 0x80
	s_mov_b64 s[10:11], -1
	s_cbranch_scc0 .LBB143_241
; %bb.240:
	s_mov_b64 s[10:11], 0
.LBB143_241:
	s_mov_b64 s[12:13], 0
	s_branch .LBB143_243
.LBB143_242:
	s_mov_b64 s[12:13], -1
	s_mov_b64 s[10:11], 0
.LBB143_243:
	s_movk_i32 s15, 0x7e00
	s_and_b64 vcc, exec, s[12:13]
	s_cbranch_vccz .LBB143_245
; %bb.244:
	s_and_b32 s10, 0xffff, s59
	s_cmp_lg_u32 s10, 0
	s_cselect_b64 s[10:11], -1, 0
	s_mov_b32 s15, s59
.LBB143_245:
	s_andn2_b64 vcc, exec, s[10:11]
	v_mov_b32_e32 v0, s15
	s_cbranch_vccnz .LBB143_247
; %bb.246:
	v_mov_b32_e32 v0, v13
.LBB143_247:
	global_store_short v[10:11], v0, off
.LBB143_248:
	s_mov_b64 s[10:11], 0
.LBB143_249:
	s_andn2_b64 vcc, exec, s[10:11]
	s_cbranch_vccnz .LBB143_300
; %bb.250:
	s_cmp_lt_i32 s14, 2
	s_mov_b64 s[10:11], -1
	s_cbranch_scc1 .LBB143_281
; %bb.251:
	s_cmp_lt_i32 s14, 3
	s_cbranch_scc1 .LBB143_271
; %bb.252:
	s_cmp_gt_i32 s14, 3
	s_cbranch_scc0 .LBB143_261
; %bb.253:
	s_cmpk_lt_i32 s59, 0x80
	s_cbranch_scc1 .LBB143_255
; %bb.254:
	s_and_b32 s10, 0xffff, s59
	s_cmpk_lg_i32 s10, 0x80
	s_mov_b64 s[12:13], 0
	s_cselect_b64 s[10:11], -1, 0
	s_branch .LBB143_256
.LBB143_255:
	s_mov_b64 s[12:13], -1
	s_mov_b64 s[10:11], 0
.LBB143_256:
	s_andn2_b64 vcc, exec, s[12:13]
	s_cbranch_vccnz .LBB143_258
; %bb.257:
	s_and_b32 s10, 0xffff, s59
	s_cmp_lg_u32 s10, 0
	s_cselect_b64 s[10:11], -1, 0
.LBB143_258:
	v_mov_b32_e32 v0, 0
	s_andn2_b64 vcc, exec, s[10:11]
	v_mov_b32_e32 v1, 0
	s_cbranch_vccnz .LBB143_260
; %bb.259:
	v_mov_b32_e32 v0, v4
	v_mov_b32_e32 v1, v5
.LBB143_260:
	global_store_dwordx2 v[10:11], v[0:1], off
	s_mov_b64 s[10:11], 0
.LBB143_261:
	s_and_b64 vcc, exec, s[10:11]
	s_cbranch_vccz .LBB143_270
; %bb.262:
	s_cmpk_lt_i32 s59, 0x80
	s_cbranch_scc1 .LBB143_264
; %bb.263:
	s_and_b32 s10, 0xffff, s59
	s_cmpk_lg_i32 s10, 0x80
	s_mov_b64 s[12:13], 0
	s_cselect_b64 s[10:11], -1, 0
	s_branch .LBB143_265
.LBB143_264:
	s_mov_b64 s[12:13], -1
	s_mov_b64 s[10:11], 0
.LBB143_265:
	s_andn2_b64 vcc, exec, s[12:13]
	s_cbranch_vccnz .LBB143_267
; %bb.266:
	s_and_b32 s10, 0xffff, s59
	s_cmp_lg_u32 s10, 0
	s_cselect_b64 s[10:11], -1, 0
.LBB143_267:
	s_andn2_b64 vcc, exec, s[10:11]
	v_mov_b32_e32 v0, 0
	s_cbranch_vccnz .LBB143_269
; %bb.268:
	v_mov_b32_e32 v0, v12
.LBB143_269:
	global_store_dword v[10:11], v0, off
.LBB143_270:
	s_mov_b64 s[10:11], 0
.LBB143_271:
	s_andn2_b64 vcc, exec, s[10:11]
	s_cbranch_vccnz .LBB143_280
; %bb.272:
	s_cmpk_lt_i32 s59, 0x80
	s_cbranch_scc1 .LBB143_274
; %bb.273:
	s_and_b32 s10, 0xffff, s59
	s_cmpk_lg_i32 s10, 0x80
	s_mov_b64 s[12:13], 0
	s_cselect_b64 s[10:11], -1, 0
	s_branch .LBB143_275
.LBB143_274:
	s_mov_b64 s[12:13], -1
	s_mov_b64 s[10:11], 0
.LBB143_275:
	s_andn2_b64 vcc, exec, s[12:13]
	s_cbranch_vccnz .LBB143_277
; %bb.276:
	s_and_b32 s10, 0xffff, s59
	s_cmp_lg_u32 s10, 0
	s_cselect_b64 s[10:11], -1, 0
.LBB143_277:
	s_andn2_b64 vcc, exec, s[10:11]
	v_mov_b32_e32 v0, 0
	s_cbranch_vccnz .LBB143_279
; %bb.278:
	v_mov_b32_e32 v0, v12
.LBB143_279:
	global_store_short v[10:11], v0, off
.LBB143_280:
	s_mov_b64 s[10:11], 0
.LBB143_281:
	s_andn2_b64 vcc, exec, s[10:11]
	s_cbranch_vccnz .LBB143_300
; %bb.282:
	s_cmp_gt_i32 s14, 0
	s_mov_b64 s[10:11], -1
	s_cbranch_scc0 .LBB143_291
; %bb.283:
	s_cmpk_lt_i32 s59, 0x80
	s_cbranch_scc1 .LBB143_285
; %bb.284:
	s_and_b32 s10, 0xffff, s59
	s_cmpk_lg_i32 s10, 0x80
	s_mov_b64 s[12:13], 0
	s_cselect_b64 s[10:11], -1, 0
	s_branch .LBB143_286
.LBB143_285:
	s_mov_b64 s[12:13], -1
	s_mov_b64 s[10:11], 0
.LBB143_286:
	s_andn2_b64 vcc, exec, s[12:13]
	s_cbranch_vccnz .LBB143_288
; %bb.287:
	s_and_b32 s10, 0xffff, s59
	s_cmp_lg_u32 s10, 0
	s_cselect_b64 s[10:11], -1, 0
.LBB143_288:
	s_andn2_b64 vcc, exec, s[10:11]
	v_mov_b32_e32 v0, 0
	s_cbranch_vccnz .LBB143_290
; %bb.289:
	v_mov_b32_e32 v0, v12
.LBB143_290:
	global_store_byte v[10:11], v0, off
	s_mov_b64 s[10:11], 0
.LBB143_291:
	s_and_b64 vcc, exec, s[10:11]
	s_cbranch_vccz .LBB143_300
; %bb.292:
	s_cmpk_lt_i32 s59, 0x80
	s_cbranch_scc1 .LBB143_294
; %bb.293:
	s_and_b32 s10, 0xffff, s59
	s_cmpk_lg_i32 s10, 0x80
	s_mov_b64 s[12:13], 0
	s_cselect_b64 s[10:11], -1, 0
	s_branch .LBB143_295
.LBB143_294:
	s_mov_b64 s[12:13], -1
	s_mov_b64 s[10:11], 0
.LBB143_295:
	s_andn2_b64 vcc, exec, s[12:13]
	s_cbranch_vccnz .LBB143_297
; %bb.296:
	s_and_b32 s10, 0xffff, s59
	s_cmp_lg_u32 s10, 0
	s_cselect_b64 s[10:11], -1, 0
.LBB143_297:
	s_andn2_b64 vcc, exec, s[10:11]
	v_mov_b32_e32 v0, 0
	s_cbranch_vccnz .LBB143_299
; %bb.298:
	v_mov_b32_e32 v0, v4
.LBB143_299:
	global_store_byte v[10:11], v0, off
.LBB143_300:
	s_branch .LBB143_27
.LBB143_301:
	s_mov_b64 s[10:11], 0
                                        ; implicit-def: $vgpr15
.LBB143_302:
	s_and_b64 s[44:45], s[8:9], exec
	s_orn2_b64 s[10:11], s[10:11], exec
.LBB143_303:
	s_or_b64 exec, exec, s[46:47]
	s_mov_b64 s[8:9], 0
                                        ; implicit-def: $vgpr10_vgpr11
	s_and_saveexec_b64 s[46:47], s[10:11]
	s_cbranch_execz .LBB143_310
; %bb.304:
	v_cmp_gt_i32_e32 vcc, s64, v15
	s_mov_b64 s[8:9], -1
	s_mov_b64 s[48:49], s[44:45]
	s_and_saveexec_b64 s[50:51], vcc
	s_cbranch_execz .LBB143_610
; %bb.305:
	s_andn2_b64 vcc, exec, s[30:31]
	s_cbranch_vccnz .LBB143_313
; %bb.306:
	s_andn2_b64 vcc, exec, s[42:43]
	s_cbranch_vccnz .LBB143_314
; %bb.307:
	s_add_i32 s55, s65, 1
	s_cmp_eq_u32 s58, 2
	s_cbranch_scc1 .LBB143_315
; %bb.308:
	s_and_b32 s54, s55, 28
	s_mov_b32 s56, 0
	v_mov_b32_e32 v0, 0
	s_mov_b64 s[48:49], s[24:25]
	s_mov_b64 s[52:53], s[40:41]
	v_mov_b32_e32 v1, v15
.LBB143_309:                            ; =>This Inner Loop Header: Depth=1
	s_load_dwordx8 s[8:15], s[48:49], 0x4
	s_load_dwordx4 s[16:19], s[48:49], 0x24
	s_load_dwordx4 s[20:23], s[52:53], 0x0
	s_add_u32 s48, s48, 48
	s_addc_u32 s49, s49, 0
	s_waitcnt lgkmcnt(0)
	v_mul_hi_u32 v2, s9, v1
	s_add_i32 s56, s56, 4
	s_add_u32 s52, s52, 16
	s_addc_u32 s53, s53, 0
	v_add_u32_e32 v2, v1, v2
	v_lshrrev_b32_e32 v2, s10, v2
	v_mul_lo_u32 v3, v2, s8
	v_mul_hi_u32 v10, s12, v2
	s_cmp_eq_u32 s54, s56
	v_sub_u32_e32 v1, v1, v3
	v_add_u32_e32 v3, v2, v10
	v_lshrrev_b32_e32 v3, s13, v3
	v_mul_lo_u32 v10, v1, s20
	v_mul_hi_u32 v1, s15, v3
	v_mul_lo_u32 v17, v3, s11
	v_add_u32_e32 v1, v3, v1
	v_lshrrev_b32_e32 v11, s16, v1
	v_mul_hi_u32 v1, s18, v11
	v_sub_u32_e32 v2, v2, v17
	v_mul_lo_u32 v17, v11, s14
	v_mul_lo_u32 v2, v2, s21
	v_add_u32_e32 v1, v11, v1
	v_lshrrev_b32_e32 v1, s19, v1
	v_mul_lo_u32 v18, v1, s17
	v_sub_u32_e32 v3, v3, v17
	v_mul_lo_u32 v3, v3, s22
	v_add3_u32 v0, v10, v0, v2
	v_sub_u32_e32 v11, v11, v18
	v_mul_lo_u32 v11, v11, s23
	v_add3_u32 v0, v3, v0, v11
	s_cbranch_scc0 .LBB143_309
	s_branch .LBB143_316
.LBB143_310:
	s_or_b64 exec, exec, s[46:47]
	s_mov_b64 s[0:1], 0
	s_and_saveexec_b64 s[2:3], s[44:45]
	s_cbranch_execnz .LBB143_1087
.LBB143_311:
	s_or_b64 exec, exec, s[2:3]
	s_and_saveexec_b64 s[2:3], s[50:51]
	s_xor_b64 s[2:3], exec, s[2:3]
	s_cbranch_execz .LBB143_1088
.LBB143_312:
	global_store_byte v[10:11], v14, off
	s_or_b64 exec, exec, s[2:3]
	s_and_saveexec_b64 s[2:3], s[8:9]
	s_xor_b64 s[2:3], exec, s[2:3]
	s_cbranch_execz .LBB143_1217
	s_branch .LBB143_1089
.LBB143_313:
                                        ; implicit-def: $vgpr0
	s_andn2_b64 vcc, exec, s[8:9]
	s_cbranch_vccz .LBB143_320
	s_branch .LBB143_322
.LBB143_314:
	v_mov_b32_e32 v0, 0
	s_branch .LBB143_319
.LBB143_315:
	v_mov_b32_e32 v0, 0
	s_mov_b32 s54, 0
	v_mov_b32_e32 v1, v15
.LBB143_316:
	s_and_b32 s12, s55, 3
	s_cmp_eq_u32 s12, 0
	s_cbranch_scc1 .LBB143_319
; %bb.317:
	s_lshl_b32 s8, s54, 2
	s_add_u32 s8, s24, s8
	s_addc_u32 s9, s25, 0
	s_add_u32 s8, s8, 0xc4
	s_addc_u32 s9, s9, 0
	s_mul_i32 s10, s54, 12
	s_add_u32 s10, s24, s10
	s_addc_u32 s11, s25, 0
.LBB143_318:                            ; =>This Inner Loop Header: Depth=1
	s_load_dwordx2 s[14:15], s[10:11], 0x4
	s_load_dword s13, s[10:11], 0xc
	s_add_u32 s10, s10, 12
	s_addc_u32 s11, s11, 0
	s_waitcnt lgkmcnt(0)
	v_mul_hi_u32 v2, s15, v1
	s_load_dword s15, s[8:9], 0x0
	s_add_u32 s8, s8, 4
	s_addc_u32 s9, s9, 0
	v_add_u32_e32 v2, v1, v2
	v_lshrrev_b32_e32 v2, s13, v2
	v_mul_lo_u32 v3, v2, s14
	s_add_i32 s12, s12, -1
	s_cmp_lg_u32 s12, 0
	v_sub_u32_e32 v1, v1, v3
	s_waitcnt lgkmcnt(0)
	v_mad_u64_u32 v[0:1], s[14:15], v1, s15, v[0:1]
	v_mov_b32_e32 v1, v2
	s_cbranch_scc1 .LBB143_318
.LBB143_319:
	s_cbranch_execnz .LBB143_322
.LBB143_320:
	v_mul_hi_u32 v0, s1, v15
	s_andn2_b64 vcc, exec, s[38:39]
	v_add_u32_e32 v0, v15, v0
	v_lshrrev_b32_e32 v1, s2, v0
	v_mul_lo_u32 v0, v1, s0
	v_sub_u32_e32 v0, v15, v0
	v_mul_lo_u32 v0, v0, s34
	s_cbranch_vccnz .LBB143_322
; %bb.321:
	v_mul_hi_u32 v2, s36, v1
	v_add_u32_e32 v2, v1, v2
	v_lshrrev_b32_e32 v2, s37, v2
	v_mul_lo_u32 v2, v2, s3
	v_sub_u32_e32 v1, v1, v2
	v_mad_u64_u32 v[0:1], s[8:9], v1, s35, v[0:1]
.LBB143_322:
	v_mov_b32_e32 v1, s7
	s_and_b32 s14, 0xffff, s60
	v_add_co_u32_e32 v10, vcc, s6, v0
	s_cmp_lt_i32 s14, 11
	v_addc_co_u32_e32 v11, vcc, 0, v1, vcc
	s_cbranch_scc1 .LBB143_331
; %bb.323:
	s_cmp_gt_i32 s14, 25
	s_cbranch_scc0 .LBB143_334
; %bb.324:
	s_cmp_gt_i32 s14, 28
	s_cbranch_scc0 .LBB143_335
	;; [unrolled: 3-line block ×4, first 2 shown]
; %bb.327:
	s_mov_b64 s[12:13], 0
	s_mov_b64 s[8:9], -1
	s_cmp_eq_u32 s14, 46
	s_mov_b64 s[10:11], 0
	s_cbranch_scc0 .LBB143_344
; %bb.328:
	s_cmpk_lt_i32 s59, 0x80
	s_cbranch_scc1 .LBB143_340
; %bb.329:
	s_and_b32 s8, 0xffff, s59
	s_cmpk_eq_i32 s8, 0x80
	s_mov_b64 s[8:9], -1
	s_cbranch_scc0 .LBB143_338
; %bb.330:
	s_mov_b64 s[8:9], 0
	s_mov_b32 s15, 0x7f800001
	s_and_b64 vcc, exec, s[10:11]
	s_cbranch_vccz .LBB143_341
	s_branch .LBB143_339
.LBB143_331:
	s_mov_b64 s[10:11], 0
	s_mov_b64 s[8:9], s[44:45]
	s_cbranch_execnz .LBB143_479
.LBB143_332:
	s_andn2_b64 vcc, exec, s[10:11]
	s_cbranch_vccnz .LBB143_608
.LBB143_333:
	v_add_u32_e32 v15, 0x80, v15
	s_mov_b64 s[10:11], -1
	s_branch .LBB143_609
.LBB143_334:
	s_mov_b64 s[12:13], -1
	s_mov_b64 s[10:11], 0
	s_mov_b64 s[8:9], s[44:45]
	s_branch .LBB143_395
.LBB143_335:
	s_mov_b64 s[12:13], -1
	s_mov_b64 s[10:11], 0
	s_mov_b64 s[8:9], s[44:45]
	s_branch .LBB143_370
.LBB143_336:
	s_mov_b64 s[12:13], -1
	s_mov_b64 s[10:11], 0
	s_mov_b64 s[8:9], s[44:45]
	s_branch .LBB143_357
.LBB143_337:
	s_mov_b64 s[12:13], -1
	s_mov_b64 s[10:11], 0
	s_mov_b64 s[8:9], s[44:45]
	s_branch .LBB143_344
.LBB143_338:
	s_mov_b32 s15, 0x7f800001
	s_and_b64 vcc, exec, s[10:11]
	s_cbranch_vccz .LBB143_341
.LBB143_339:
	s_and_b32 s8, 0xffff, s59
	s_cmp_lg_u32 s8, 0
	s_mov_b32 s15, 0
	s_cselect_b64 s[8:9], -1, 0
	s_andn2_b64 vcc, exec, s[8:9]
	s_cbranch_vccz .LBB143_342
	s_branch .LBB143_343
.LBB143_340:
	s_mov_b64 s[8:9], 0
	s_mov_b32 s15, 0x7f800001
	s_cbranch_execnz .LBB143_339
.LBB143_341:
	s_andn2_b64 vcc, exec, s[8:9]
	s_cbranch_vccnz .LBB143_343
.LBB143_342:
	s_mov_b32 s15, s61
.LBB143_343:
	s_bfe_u32 s8, s15, 0x10010
	s_add_i32 s8, s15, s8
	s_addk_i32 s8, 0x7fff
	s_lshr_b32 s10, s8, 16
	v_cmp_o_f32_e64 s[8:9], s15, s15
	s_and_b64 s[8:9], s[8:9], exec
	s_cselect_b32 s8, s10, 0x7fc0
	v_mov_b32_e32 v0, s8
	global_store_dword v[10:11], v0, off
	s_mov_b64 s[10:11], -1
	s_mov_b64 s[8:9], 0
.LBB143_344:
	s_and_b64 vcc, exec, s[12:13]
	s_cbranch_vccz .LBB143_356
; %bb.345:
	s_cmp_eq_u32 s14, 44
	s_mov_b64 s[8:9], -1
	s_cbranch_scc0 .LBB143_356
; %bb.346:
	s_cmpk_lt_i32 s59, 0x80
	s_cbranch_scc1 .LBB143_350
; %bb.347:
	s_and_b32 s8, 0xffff, s59
	s_cmpk_eq_i32 s8, 0x80
	s_mov_b64 s[8:9], -1
	s_cbranch_scc0 .LBB143_349
; %bb.348:
	s_mov_b64 s[8:9], 0
.LBB143_349:
	s_mov_b64 s[10:11], 0
	s_branch .LBB143_351
.LBB143_350:
	s_mov_b64 s[10:11], -1
	s_mov_b64 s[8:9], 0
.LBB143_351:
	s_mov_b32 s12, 0x7f800001
	s_and_b64 vcc, exec, s[10:11]
	s_cbranch_vccz .LBB143_361
; %bb.352:
	s_and_b32 s12, 0xffff, s59
	s_cmp_lg_u32 s12, 0
	s_cselect_b64 s[8:9], -1, 0
	s_andn2_b64 vcc, exec, s[8:9]
	s_cbranch_vccz .LBB143_362
.LBB143_353:
	s_lshr_b32 s8, s12, 23
	s_cmpk_eq_i32 s8, 0xff
	v_mov_b32_e32 v0, 0xff
	s_cbranch_scc1 .LBB143_355
.LBB143_354:
	s_bitcmp1_b32 s12, 22
	s_cselect_b64 s[10:11], -1, 0
	s_and_b32 s9, s12, 0x3fffff
	s_or_b32 s9, s8, s9
	s_cmp_lg_u32 s9, 0
	s_cselect_b64 s[12:13], -1, 0
	s_and_b64 s[10:11], s[10:11], s[12:13]
	v_cndmask_b32_e64 v0, 0, 1, s[10:11]
	v_add_u32_e32 v0, s8, v0
.LBB143_355:
	s_mov_b64 s[10:11], -1
	s_mov_b64 s[8:9], 0
	global_store_byte v[10:11], v0, off
.LBB143_356:
	s_mov_b64 s[12:13], 0
.LBB143_357:
	s_and_b64 vcc, exec, s[12:13]
	s_cbranch_vccz .LBB143_369
; %bb.358:
	s_cmp_eq_u32 s14, 29
	s_mov_b64 s[8:9], -1
	s_cbranch_scc0 .LBB143_369
; %bb.359:
	s_cmpk_lt_i32 s59, 0x80
	s_cbranch_scc1 .LBB143_363
; %bb.360:
	s_and_b32 s8, 0xffff, s59
	s_cmpk_lg_i32 s8, 0x80
	s_mov_b64 s[10:11], 0
	s_cselect_b64 s[8:9], -1, 0
	s_branch .LBB143_364
.LBB143_361:
	s_andn2_b64 vcc, exec, s[8:9]
	s_cbranch_vccnz .LBB143_353
.LBB143_362:
	s_mov_b32 s12, s63
	s_lshr_b32 s8, s12, 23
	s_cmpk_eq_i32 s8, 0xff
	v_mov_b32_e32 v0, 0xff
	s_cbranch_scc0 .LBB143_354
	s_branch .LBB143_355
.LBB143_363:
	s_mov_b64 s[10:11], -1
	s_mov_b64 s[8:9], 0
.LBB143_364:
	s_andn2_b64 vcc, exec, s[10:11]
	s_cbranch_vccnz .LBB143_366
; %bb.365:
	s_and_b32 s8, 0xffff, s59
	s_cmp_lg_u32 s8, 0
	s_cselect_b64 s[8:9], -1, 0
.LBB143_366:
	v_mov_b32_e32 v0, 0
	s_andn2_b64 vcc, exec, s[8:9]
	v_mov_b32_e32 v1, 0
	s_cbranch_vccnz .LBB143_368
; %bb.367:
	v_mov_b32_e32 v0, v8
	v_mov_b32_e32 v1, v9
.LBB143_368:
	global_store_dwordx2 v[10:11], v[0:1], off
	s_mov_b64 s[10:11], -1
	s_mov_b64 s[8:9], 0
.LBB143_369:
	s_mov_b64 s[12:13], 0
.LBB143_370:
	s_and_b64 vcc, exec, s[12:13]
	s_cbranch_vccz .LBB143_394
; %bb.371:
	s_cmp_lt_i32 s14, 27
	s_mov_b64 s[10:11], -1
	s_cbranch_scc1 .LBB143_391
; %bb.372:
	s_cmp_gt_i32 s14, 27
	s_cbranch_scc0 .LBB143_381
; %bb.373:
	s_cmpk_lt_i32 s59, 0x80
	s_cbranch_scc1 .LBB143_375
; %bb.374:
	s_and_b32 s10, 0xffff, s59
	s_cmpk_lg_i32 s10, 0x80
	s_mov_b64 s[12:13], 0
	s_cselect_b64 s[10:11], -1, 0
	s_branch .LBB143_376
.LBB143_375:
	s_mov_b64 s[12:13], -1
	s_mov_b64 s[10:11], 0
.LBB143_376:
	s_andn2_b64 vcc, exec, s[12:13]
	s_cbranch_vccnz .LBB143_378
; %bb.377:
	s_and_b32 s10, 0xffff, s59
	s_cmp_lg_u32 s10, 0
	s_cselect_b64 s[10:11], -1, 0
.LBB143_378:
	s_andn2_b64 vcc, exec, s[10:11]
	v_mov_b32_e32 v0, 0
	s_cbranch_vccnz .LBB143_380
; %bb.379:
	v_mov_b32_e32 v0, v16
.LBB143_380:
	global_store_dword v[10:11], v0, off
	s_mov_b64 s[10:11], 0
.LBB143_381:
	s_and_b64 vcc, exec, s[10:11]
	s_cbranch_vccz .LBB143_390
; %bb.382:
	s_cmpk_lt_i32 s59, 0x80
	s_cbranch_scc1 .LBB143_384
; %bb.383:
	s_and_b32 s10, 0xffff, s59
	s_cmpk_lg_i32 s10, 0x80
	s_mov_b64 s[12:13], 0
	s_cselect_b64 s[10:11], -1, 0
	s_branch .LBB143_385
.LBB143_384:
	s_mov_b64 s[12:13], -1
	s_mov_b64 s[10:11], 0
.LBB143_385:
	s_andn2_b64 vcc, exec, s[12:13]
	s_cbranch_vccnz .LBB143_387
; %bb.386:
	s_and_b32 s10, 0xffff, s59
	s_cmp_lg_u32 s10, 0
	s_cselect_b64 s[10:11], -1, 0
.LBB143_387:
	s_andn2_b64 vcc, exec, s[10:11]
	v_mov_b32_e32 v0, 0
	s_cbranch_vccnz .LBB143_389
; %bb.388:
	v_mov_b32_e32 v0, v16
.LBB143_389:
	global_store_short v[10:11], v0, off
.LBB143_390:
	s_mov_b64 s[10:11], 0
.LBB143_391:
	s_andn2_b64 vcc, exec, s[10:11]
	s_cbranch_vccnz .LBB143_393
; %bb.392:
	v_mov_b32_e32 v0, s62
	global_store_byte v[10:11], v0, off
.LBB143_393:
	s_mov_b64 s[10:11], -1
.LBB143_394:
	s_mov_b64 s[12:13], 0
.LBB143_395:
	s_and_b64 vcc, exec, s[12:13]
	s_cbranch_vccz .LBB143_478
; %bb.396:
	s_cmp_gt_i32 s14, 22
	s_mov_b64 s[12:13], -1
	s_cbranch_scc0 .LBB143_461
; %bb.397:
	s_cmp_lt_i32 s14, 24
	s_mov_b64 s[10:11], -1
	s_cbranch_scc1 .LBB143_439
; %bb.398:
	s_cmp_gt_i32 s14, 24
	s_cbranch_scc0 .LBB143_417
; %bb.399:
	s_cmpk_lt_i32 s59, 0x80
	s_cbranch_scc1 .LBB143_403
; %bb.400:
	s_and_b32 s10, 0xffff, s59
	s_cmpk_eq_i32 s10, 0x80
	s_mov_b64 s[10:11], -1
	s_cbranch_scc0 .LBB143_402
; %bb.401:
	s_mov_b64 s[10:11], 0
.LBB143_402:
	s_mov_b64 s[12:13], 0
	s_branch .LBB143_404
.LBB143_403:
	s_mov_b64 s[10:11], 0
.LBB143_404:
	s_mov_b32 s15, 0x7f800001
	s_and_b64 vcc, exec, s[12:13]
	s_cbranch_vccz .LBB143_407
; %bb.405:
	s_and_b32 s10, 0xffff, s59
	s_cmp_lg_u32 s10, 0
	s_mov_b32 s15, 0
	s_cselect_b64 s[10:11], -1, 0
	s_andn2_b64 vcc, exec, s[10:11]
	s_cbranch_vccz .LBB143_408
.LBB143_406:
	s_and_b32 s10, s15, 0x7fffffff
	s_cmp_gt_u32 s10, 0x477fffff
	v_mov_b32_e32 v1, 0x80
	s_cbranch_scc0 .LBB143_409
	s_branch .LBB143_416
.LBB143_407:
	s_andn2_b64 vcc, exec, s[10:11]
	s_cbranch_vccnz .LBB143_406
.LBB143_408:
	s_mov_b32 s15, s61
	s_and_b32 s10, s15, 0x7fffffff
	s_cmp_gt_u32 s10, 0x477fffff
	v_mov_b32_e32 v1, 0x80
	s_cbranch_scc1 .LBB143_416
.LBB143_409:
	s_cmp_lt_u32 s10, 0x38000000
	s_cbranch_scc1 .LBB143_411
; %bb.410:
	s_bfe_u32 s10, s15, 0x10015
	s_add_i32 s10, s15, s10
	s_add_i32 s10, s10, 0x88fffff
	s_lshr_b32 s16, s10, 21
	s_mov_b64 s[12:13], 0
	s_mov_b64 s[10:11], -1
	s_branch .LBB143_412
.LBB143_411:
	s_mov_b64 s[12:13], -1
	s_mov_b64 s[10:11], 0
                                        ; implicit-def: $sgpr16
.LBB143_412:
	s_andn2_b64 vcc, exec, s[12:13]
	v_mov_b32_e32 v0, s16
	s_cbranch_vccnz .LBB143_414
; %bb.413:
	v_mov_b32_e32 v0, 0x42800000
	v_add_f32_e64 v0, |s15|, v0
	v_and_b32_e32 v0, 0xff, v0
	v_cmp_ne_u32_e64 s[10:11], 0, v0
.LBB143_414:
	s_andn2_b64 vcc, exec, s[10:11]
	v_mov_b32_e32 v1, 0
	s_cbranch_vccnz .LBB143_416
; %bb.415:
	s_lshr_b32 s10, s15, 24
	s_and_b32 s10, s10, 0x80
	v_or_b32_e32 v1, s10, v0
.LBB143_416:
	global_store_byte v[10:11], v1, off
	s_mov_b64 s[10:11], 0
.LBB143_417:
	s_and_b64 vcc, exec, s[10:11]
	s_cbranch_vccz .LBB143_438
; %bb.418:
	s_cmpk_lt_i32 s59, 0x80
	s_cbranch_scc1 .LBB143_422
; %bb.419:
	s_and_b32 s10, 0xffff, s59
	s_cmpk_eq_i32 s10, 0x80
	s_mov_b64 s[10:11], -1
	s_cbranch_scc0 .LBB143_421
; %bb.420:
	s_mov_b64 s[10:11], 0
.LBB143_421:
	s_mov_b64 s[12:13], 0
	s_branch .LBB143_423
.LBB143_422:
	s_mov_b64 s[12:13], -1
	s_mov_b64 s[10:11], 0
.LBB143_423:
	s_mov_b32 s15, 0x7f800001
	s_and_b64 vcc, exec, s[12:13]
	s_cbranch_vccz .LBB143_428
; %bb.424:
	s_and_b32 s10, 0xffff, s59
	s_cmp_lg_u32 s10, 0
	s_mov_b32 s15, 0
	s_cselect_b64 s[10:11], -1, 0
	s_andn2_b64 vcc, exec, s[10:11]
	s_cbranch_vccz .LBB143_429
.LBB143_425:
	s_and_b32 s12, s15, 0x7fffffff
	s_cmp_gt_u32 s12, 0x43efffff
	s_cbranch_scc1 .LBB143_430
.LBB143_426:
	s_cmp_lt_u32 s12, 0x3c800000
	s_cbranch_scc1 .LBB143_431
; %bb.427:
	s_bfe_u32 s10, s15, 0x10014
	s_add_i32 s10, s15, s10
	s_add_i32 s10, s10, 0x407ffff
	s_lshr_b32 s11, s10, 20
	s_and_b32 s10, s10, 0xff00000
	s_cmp_lg_u32 s10, 0x7f00000
	s_cselect_b32 s13, s11, 0x7e
	s_mov_b64 s[10:11], 0
	s_branch .LBB143_432
.LBB143_428:
	s_andn2_b64 vcc, exec, s[10:11]
	s_cbranch_vccnz .LBB143_425
.LBB143_429:
	s_mov_b32 s15, s61
	s_and_b32 s12, s15, 0x7fffffff
	s_cmp_gt_u32 s12, 0x43efffff
	s_cbranch_scc0 .LBB143_426
.LBB143_430:
	s_mov_b64 s[10:11], -1
                                        ; implicit-def: $vgpr0
	s_branch .LBB143_435
.LBB143_431:
	s_mov_b64 s[10:11], -1
                                        ; implicit-def: $sgpr13
.LBB143_432:
	s_andn2_b64 vcc, exec, s[10:11]
	v_mov_b32_e32 v0, s13
	s_cbranch_vccnz .LBB143_434
; %bb.433:
	v_mov_b32_e32 v0, 0x46800000
	v_add_f32_e64 v0, |s15|, v0
.LBB143_434:
	s_mov_b64 s[10:11], 0
.LBB143_435:
	s_andn2_b64 vcc, exec, s[10:11]
	s_cbranch_vccnz .LBB143_437
; %bb.436:
	s_cmp_gt_u32 s12, 0x7f800000
	s_movk_i32 s10, 0x7f
	s_cselect_b32 s10, s10, 0x7e
	v_mov_b32_e32 v0, s10
.LBB143_437:
	s_lshr_b32 s10, s15, 24
	s_and_b32 s10, s10, 0x80
	v_or_b32_e32 v0, s10, v0
	global_store_byte v[10:11], v0, off
.LBB143_438:
	s_mov_b64 s[10:11], 0
.LBB143_439:
	s_andn2_b64 vcc, exec, s[10:11]
	s_cbranch_vccnz .LBB143_460
; %bb.440:
	s_cmpk_lt_i32 s59, 0x80
	s_cbranch_scc1 .LBB143_444
; %bb.441:
	s_and_b32 s10, 0xffff, s59
	s_cmpk_eq_i32 s10, 0x80
	s_mov_b64 s[10:11], -1
	s_cbranch_scc0 .LBB143_443
; %bb.442:
	s_mov_b64 s[10:11], 0
.LBB143_443:
	s_mov_b64 s[12:13], 0
	s_branch .LBB143_445
.LBB143_444:
	s_mov_b64 s[12:13], -1
	s_mov_b64 s[10:11], 0
.LBB143_445:
	s_mov_b32 s15, 0x7f800001
	s_and_b64 vcc, exec, s[12:13]
	s_cbranch_vccz .LBB143_450
; %bb.446:
	s_and_b32 s10, 0xffff, s59
	s_cmp_lg_u32 s10, 0
	s_mov_b32 s15, 0
	s_cselect_b64 s[10:11], -1, 0
	s_andn2_b64 vcc, exec, s[10:11]
	s_cbranch_vccz .LBB143_451
.LBB143_447:
	s_and_b32 s12, s15, 0x7fffffff
	s_cmp_gt_u32 s12, 0x477fffff
	s_cbranch_scc1 .LBB143_452
.LBB143_448:
	s_cmp_lt_u32 s12, 0x38800000
	s_cbranch_scc1 .LBB143_453
; %bb.449:
	s_bfe_u32 s10, s15, 0x10015
	s_add_i32 s10, s15, s10
	s_add_i32 s10, s10, 0x80fffff
	s_lshr_b32 s13, s10, 21
	s_mov_b64 s[10:11], 0
	s_branch .LBB143_454
.LBB143_450:
	s_andn2_b64 vcc, exec, s[10:11]
	s_cbranch_vccnz .LBB143_447
.LBB143_451:
	s_mov_b32 s15, s61
	s_and_b32 s12, s15, 0x7fffffff
	s_cmp_gt_u32 s12, 0x477fffff
	s_cbranch_scc0 .LBB143_448
.LBB143_452:
	s_mov_b64 s[10:11], -1
                                        ; implicit-def: $vgpr0
	s_branch .LBB143_457
.LBB143_453:
	s_mov_b64 s[10:11], -1
                                        ; implicit-def: $sgpr13
.LBB143_454:
	s_andn2_b64 vcc, exec, s[10:11]
	v_mov_b32_e32 v0, s13
	s_cbranch_vccnz .LBB143_456
; %bb.455:
	v_mov_b32_e32 v0, 0x43000000
	v_add_f32_e64 v0, |s15|, v0
.LBB143_456:
	s_mov_b64 s[10:11], 0
.LBB143_457:
	s_andn2_b64 vcc, exec, s[10:11]
	s_cbranch_vccnz .LBB143_459
; %bb.458:
	s_cmp_gt_u32 s12, 0x7f800000
	s_movk_i32 s10, 0x7f
	s_cselect_b32 s10, s10, 0x7c
	v_mov_b32_e32 v0, s10
.LBB143_459:
	s_lshr_b32 s10, s15, 24
	s_and_b32 s10, s10, 0x80
	v_or_b32_e32 v0, s10, v0
	global_store_byte v[10:11], v0, off
.LBB143_460:
	s_mov_b64 s[12:13], 0
	s_mov_b64 s[10:11], -1
.LBB143_461:
	s_andn2_b64 vcc, exec, s[12:13]
	s_cbranch_vccnz .LBB143_478
; %bb.462:
	s_cmp_gt_i32 s14, 14
	s_mov_b64 s[12:13], -1
	s_cbranch_scc0 .LBB143_475
; %bb.463:
	s_cmp_eq_u32 s14, 15
	s_mov_b64 s[8:9], -1
	s_cbranch_scc0 .LBB143_474
; %bb.464:
	s_cmpk_lt_i32 s59, 0x80
	s_cbranch_scc1 .LBB143_468
; %bb.465:
	s_and_b32 s8, 0xffff, s59
	s_cmpk_eq_i32 s8, 0x80
	s_mov_b64 s[8:9], -1
	s_cbranch_scc0 .LBB143_467
; %bb.466:
	s_mov_b64 s[8:9], 0
.LBB143_467:
	s_mov_b64 s[10:11], 0
	s_branch .LBB143_469
.LBB143_468:
	s_mov_b64 s[10:11], -1
	s_mov_b64 s[8:9], 0
.LBB143_469:
	s_mov_b32 s12, 0x7f800001
	s_and_b64 vcc, exec, s[10:11]
	s_cbranch_vccz .LBB143_471
; %bb.470:
	s_and_b32 s8, 0xffff, s59
	s_cmp_lg_u32 s8, 0
	s_mov_b32 s12, 0
	s_cselect_b64 s[8:9], -1, 0
.LBB143_471:
	s_andn2_b64 vcc, exec, s[8:9]
	s_cbranch_vccnz .LBB143_473
; %bb.472:
	s_mov_b32 s12, s61
.LBB143_473:
	s_bfe_u32 s8, s12, 0x10010
	s_add_i32 s8, s12, s8
	s_addk_i32 s8, 0x7fff
	s_lshr_b32 s10, s8, 16
	v_cmp_o_f32_e64 s[8:9], s12, s12
	s_and_b64 s[8:9], s[8:9], exec
	s_cselect_b32 s8, s10, 0x7fc0
	v_mov_b32_e32 v0, s8
	global_store_short v[10:11], v0, off
	s_mov_b64 s[10:11], -1
	s_mov_b64 s[8:9], 0
.LBB143_474:
	s_mov_b64 s[12:13], 0
.LBB143_475:
	s_and_b64 vcc, exec, s[12:13]
	s_cbranch_vccz .LBB143_478
; %bb.476:
	s_cmp_eq_u32 s14, 11
	s_mov_b64 s[8:9], -1
	s_cbranch_scc0 .LBB143_478
; %bb.477:
	global_store_byte v[10:11], v14, off
	s_mov_b64 s[10:11], -1
	s_mov_b64 s[8:9], 0
.LBB143_478:
	s_branch .LBB143_332
.LBB143_479:
	s_cmp_lt_i32 s14, 5
	s_mov_b64 s[10:11], -1
	s_cbranch_scc1 .LBB143_556
; %bb.480:
	s_cmp_lt_i32 s14, 8
	s_cbranch_scc1 .LBB143_518
; %bb.481:
	s_cmp_lt_i32 s14, 9
	s_cbranch_scc1 .LBB143_506
; %bb.482:
	s_cmp_gt_i32 s14, 9
	s_cbranch_scc0 .LBB143_494
; %bb.483:
	s_cmpk_lt_i32 s59, 0x80
	s_cbranch_scc1 .LBB143_487
; %bb.484:
	s_and_b32 s10, 0xffff, s59
	s_cmpk_eq_i32 s10, 0x80
	s_mov_b64 s[10:11], -1
	s_cbranch_scc0 .LBB143_486
; %bb.485:
	s_mov_b64 s[10:11], 0
.LBB143_486:
	s_mov_b64 s[12:13], 0
	s_branch .LBB143_488
.LBB143_487:
	s_mov_b64 s[12:13], -1
	s_mov_b64 s[10:11], 0
.LBB143_488:
	s_and_b64 vcc, exec, s[12:13]
	s_cbranch_vccz .LBB143_490
; %bb.489:
	s_and_b32 s10, 0xffff, s59
	s_cmp_lg_u32 s10, 0
	s_mov_b64 s[12:13], 0
	s_cselect_b64 s[10:11], -1, 0
	s_branch .LBB143_491
.LBB143_490:
	s_mov_b32 s13, 0x7ff80000
	s_brev_b32 s12, 4
.LBB143_491:
	v_mov_b32_e32 v0, s12
	s_andn2_b64 vcc, exec, s[10:11]
	v_mov_b32_e32 v1, s13
	s_cbranch_vccnz .LBB143_493
; %bb.492:
	v_mov_b32_e32 v0, v6
	v_mov_b32_e32 v1, v7
.LBB143_493:
	v_mov_b32_e32 v2, 0
	v_mov_b32_e32 v3, v2
	global_store_dwordx4 v[10:11], v[0:3], off
	s_mov_b64 s[10:11], 0
.LBB143_494:
	s_and_b64 vcc, exec, s[10:11]
	s_cbranch_vccz .LBB143_505
; %bb.495:
	s_cmpk_lt_i32 s59, 0x80
	s_cbranch_scc1 .LBB143_499
; %bb.496:
	s_and_b32 s10, 0xffff, s59
	s_cmpk_eq_i32 s10, 0x80
	s_mov_b64 s[10:11], -1
	s_cbranch_scc0 .LBB143_498
; %bb.497:
	s_mov_b64 s[10:11], 0
.LBB143_498:
	s_mov_b64 s[12:13], 0
	s_branch .LBB143_500
.LBB143_499:
	s_mov_b64 s[12:13], -1
	s_mov_b64 s[10:11], 0
.LBB143_500:
	s_mov_b32 s15, 0x7f800001
	s_and_b64 vcc, exec, s[12:13]
	s_cbranch_vccz .LBB143_502
; %bb.501:
	s_and_b32 s15, 0xffff, s59
	s_cmp_lg_u32 s15, 0
	s_cselect_b64 s[10:11], -1, 0
.LBB143_502:
	s_andn2_b64 vcc, exec, s[10:11]
	s_cbranch_vccnz .LBB143_504
; %bb.503:
	s_mov_b32 s15, s61
.LBB143_504:
	v_mov_b32_e32 v0, s15
	v_mov_b32_e32 v1, 0
	global_store_dwordx2 v[10:11], v[0:1], off
.LBB143_505:
	s_mov_b64 s[10:11], 0
.LBB143_506:
	s_andn2_b64 vcc, exec, s[10:11]
	s_cbranch_vccnz .LBB143_517
; %bb.507:
	s_cmpk_lt_i32 s59, 0x80
	s_cbranch_scc1 .LBB143_511
; %bb.508:
	s_and_b32 s10, 0xffff, s59
	s_cmpk_eq_i32 s10, 0x80
	s_mov_b64 s[10:11], -1
	s_cbranch_scc0 .LBB143_510
; %bb.509:
	s_mov_b64 s[10:11], 0
.LBB143_510:
	s_mov_b64 s[12:13], 0
	s_branch .LBB143_512
.LBB143_511:
	s_mov_b64 s[12:13], -1
	s_mov_b64 s[10:11], 0
.LBB143_512:
	s_movk_i32 s15, 0x7e00
	s_and_b64 vcc, exec, s[12:13]
	s_cbranch_vccz .LBB143_514
; %bb.513:
	s_and_b32 s15, 0xffff, s59
	s_cmp_lg_u32 s15, 0
	s_cselect_b64 s[10:11], -1, 0
.LBB143_514:
	s_andn2_b64 vcc, exec, s[10:11]
	v_mov_b32_e32 v0, s15
	s_cbranch_vccnz .LBB143_516
; %bb.515:
	v_mov_b32_e32 v0, v13
.LBB143_516:
	global_store_dword v[10:11], v0, off
.LBB143_517:
	s_mov_b64 s[10:11], 0
.LBB143_518:
	s_andn2_b64 vcc, exec, s[10:11]
	s_cbranch_vccnz .LBB143_555
; %bb.519:
	s_cmp_lt_i32 s14, 6
	s_mov_b64 s[10:11], -1
	s_cbranch_scc1 .LBB143_544
; %bb.520:
	s_cmp_gt_i32 s14, 6
	s_cbranch_scc0 .LBB143_532
; %bb.521:
	s_cmpk_lt_i32 s59, 0x80
	s_cbranch_scc1 .LBB143_525
; %bb.522:
	s_and_b32 s10, 0xffff, s59
	s_cmpk_eq_i32 s10, 0x80
	s_mov_b64 s[10:11], -1
	s_cbranch_scc0 .LBB143_524
; %bb.523:
	s_mov_b64 s[10:11], 0
.LBB143_524:
	s_mov_b64 s[12:13], 0
	s_branch .LBB143_526
.LBB143_525:
	s_mov_b64 s[12:13], -1
	s_mov_b64 s[10:11], 0
.LBB143_526:
	s_and_b64 vcc, exec, s[12:13]
	s_cbranch_vccz .LBB143_528
; %bb.527:
	s_and_b32 s10, 0xffff, s59
	s_cmp_lg_u32 s10, 0
	s_mov_b64 s[12:13], 0
	s_cselect_b64 s[10:11], -1, 0
	s_branch .LBB143_529
.LBB143_528:
	s_mov_b32 s13, 0x7ff80000
	s_brev_b32 s12, 4
.LBB143_529:
	v_mov_b32_e32 v0, s12
	s_andn2_b64 vcc, exec, s[10:11]
	v_mov_b32_e32 v1, s13
	s_cbranch_vccnz .LBB143_531
; %bb.530:
	v_mov_b32_e32 v0, v6
	v_mov_b32_e32 v1, v7
.LBB143_531:
	global_store_dwordx2 v[10:11], v[0:1], off
	s_mov_b64 s[10:11], 0
.LBB143_532:
	s_and_b64 vcc, exec, s[10:11]
	s_cbranch_vccz .LBB143_543
; %bb.533:
	s_cmpk_lt_i32 s59, 0x80
	s_cbranch_scc1 .LBB143_537
; %bb.534:
	s_and_b32 s10, 0xffff, s59
	s_cmpk_eq_i32 s10, 0x80
	s_mov_b64 s[10:11], -1
	s_cbranch_scc0 .LBB143_536
; %bb.535:
	s_mov_b64 s[10:11], 0
.LBB143_536:
	s_mov_b64 s[12:13], 0
	s_branch .LBB143_538
.LBB143_537:
	s_mov_b64 s[12:13], -1
	s_mov_b64 s[10:11], 0
.LBB143_538:
	s_mov_b32 s15, 0x7f800001
	s_and_b64 vcc, exec, s[12:13]
	s_cbranch_vccz .LBB143_540
; %bb.539:
	s_and_b32 s10, 0xffff, s59
	s_cmp_lg_u32 s10, 0
	s_mov_b32 s15, 0
	s_cselect_b64 s[10:11], -1, 0
.LBB143_540:
	s_andn2_b64 vcc, exec, s[10:11]
	s_cbranch_vccnz .LBB143_542
; %bb.541:
	s_mov_b32 s15, s61
.LBB143_542:
	v_mov_b32_e32 v0, s15
	global_store_dword v[10:11], v0, off
.LBB143_543:
	s_mov_b64 s[10:11], 0
.LBB143_544:
	s_andn2_b64 vcc, exec, s[10:11]
	s_cbranch_vccnz .LBB143_555
; %bb.545:
	s_cmpk_lt_i32 s59, 0x80
	s_cbranch_scc1 .LBB143_549
; %bb.546:
	s_and_b32 s10, 0xffff, s59
	s_cmpk_eq_i32 s10, 0x80
	s_mov_b64 s[10:11], -1
	s_cbranch_scc0 .LBB143_548
; %bb.547:
	s_mov_b64 s[10:11], 0
.LBB143_548:
	s_mov_b64 s[12:13], 0
	s_branch .LBB143_550
.LBB143_549:
	s_mov_b64 s[12:13], -1
	s_mov_b64 s[10:11], 0
.LBB143_550:
	s_movk_i32 s15, 0x7e00
	s_and_b64 vcc, exec, s[12:13]
	s_cbranch_vccz .LBB143_552
; %bb.551:
	s_and_b32 s10, 0xffff, s59
	s_cmp_lg_u32 s10, 0
	s_cselect_b64 s[10:11], -1, 0
	s_mov_b32 s15, s59
.LBB143_552:
	s_andn2_b64 vcc, exec, s[10:11]
	v_mov_b32_e32 v0, s15
	s_cbranch_vccnz .LBB143_554
; %bb.553:
	v_mov_b32_e32 v0, v13
.LBB143_554:
	global_store_short v[10:11], v0, off
.LBB143_555:
	s_mov_b64 s[10:11], 0
.LBB143_556:
	s_andn2_b64 vcc, exec, s[10:11]
	s_cbranch_vccnz .LBB143_607
; %bb.557:
	s_cmp_lt_i32 s14, 2
	s_mov_b64 s[10:11], -1
	s_cbranch_scc1 .LBB143_588
; %bb.558:
	s_cmp_lt_i32 s14, 3
	s_cbranch_scc1 .LBB143_578
; %bb.559:
	s_cmp_gt_i32 s14, 3
	s_cbranch_scc0 .LBB143_568
; %bb.560:
	s_cmpk_lt_i32 s59, 0x80
	s_cbranch_scc1 .LBB143_562
; %bb.561:
	s_and_b32 s10, 0xffff, s59
	s_cmpk_lg_i32 s10, 0x80
	s_mov_b64 s[12:13], 0
	s_cselect_b64 s[10:11], -1, 0
	s_branch .LBB143_563
.LBB143_562:
	s_mov_b64 s[12:13], -1
	s_mov_b64 s[10:11], 0
.LBB143_563:
	s_andn2_b64 vcc, exec, s[12:13]
	s_cbranch_vccnz .LBB143_565
; %bb.564:
	s_and_b32 s10, 0xffff, s59
	s_cmp_lg_u32 s10, 0
	s_cselect_b64 s[10:11], -1, 0
.LBB143_565:
	v_mov_b32_e32 v0, 0
	s_andn2_b64 vcc, exec, s[10:11]
	v_mov_b32_e32 v1, 0
	s_cbranch_vccnz .LBB143_567
; %bb.566:
	v_mov_b32_e32 v0, v4
	v_mov_b32_e32 v1, v5
.LBB143_567:
	global_store_dwordx2 v[10:11], v[0:1], off
	s_mov_b64 s[10:11], 0
.LBB143_568:
	s_and_b64 vcc, exec, s[10:11]
	s_cbranch_vccz .LBB143_577
; %bb.569:
	s_cmpk_lt_i32 s59, 0x80
	s_cbranch_scc1 .LBB143_571
; %bb.570:
	s_and_b32 s10, 0xffff, s59
	s_cmpk_lg_i32 s10, 0x80
	s_mov_b64 s[12:13], 0
	s_cselect_b64 s[10:11], -1, 0
	s_branch .LBB143_572
.LBB143_571:
	s_mov_b64 s[12:13], -1
	s_mov_b64 s[10:11], 0
.LBB143_572:
	s_andn2_b64 vcc, exec, s[12:13]
	s_cbranch_vccnz .LBB143_574
; %bb.573:
	s_and_b32 s10, 0xffff, s59
	s_cmp_lg_u32 s10, 0
	s_cselect_b64 s[10:11], -1, 0
.LBB143_574:
	s_andn2_b64 vcc, exec, s[10:11]
	v_mov_b32_e32 v0, 0
	s_cbranch_vccnz .LBB143_576
; %bb.575:
	v_mov_b32_e32 v0, v12
.LBB143_576:
	global_store_dword v[10:11], v0, off
.LBB143_577:
	s_mov_b64 s[10:11], 0
.LBB143_578:
	s_andn2_b64 vcc, exec, s[10:11]
	s_cbranch_vccnz .LBB143_587
; %bb.579:
	s_cmpk_lt_i32 s59, 0x80
	s_cbranch_scc1 .LBB143_581
; %bb.580:
	s_and_b32 s10, 0xffff, s59
	s_cmpk_lg_i32 s10, 0x80
	s_mov_b64 s[12:13], 0
	s_cselect_b64 s[10:11], -1, 0
	s_branch .LBB143_582
.LBB143_581:
	s_mov_b64 s[12:13], -1
	s_mov_b64 s[10:11], 0
.LBB143_582:
	s_andn2_b64 vcc, exec, s[12:13]
	s_cbranch_vccnz .LBB143_584
; %bb.583:
	s_and_b32 s10, 0xffff, s59
	s_cmp_lg_u32 s10, 0
	s_cselect_b64 s[10:11], -1, 0
.LBB143_584:
	s_andn2_b64 vcc, exec, s[10:11]
	v_mov_b32_e32 v0, 0
	s_cbranch_vccnz .LBB143_586
; %bb.585:
	v_mov_b32_e32 v0, v12
.LBB143_586:
	global_store_short v[10:11], v0, off
.LBB143_587:
	s_mov_b64 s[10:11], 0
.LBB143_588:
	s_andn2_b64 vcc, exec, s[10:11]
	s_cbranch_vccnz .LBB143_607
; %bb.589:
	s_cmp_gt_i32 s14, 0
	s_mov_b64 s[10:11], -1
	s_cbranch_scc0 .LBB143_598
; %bb.590:
	s_cmpk_lt_i32 s59, 0x80
	s_cbranch_scc1 .LBB143_592
; %bb.591:
	s_and_b32 s10, 0xffff, s59
	s_cmpk_lg_i32 s10, 0x80
	s_mov_b64 s[12:13], 0
	s_cselect_b64 s[10:11], -1, 0
	s_branch .LBB143_593
.LBB143_592:
	s_mov_b64 s[12:13], -1
	s_mov_b64 s[10:11], 0
.LBB143_593:
	s_andn2_b64 vcc, exec, s[12:13]
	s_cbranch_vccnz .LBB143_595
; %bb.594:
	s_and_b32 s10, 0xffff, s59
	s_cmp_lg_u32 s10, 0
	s_cselect_b64 s[10:11], -1, 0
.LBB143_595:
	s_andn2_b64 vcc, exec, s[10:11]
	v_mov_b32_e32 v0, 0
	s_cbranch_vccnz .LBB143_597
; %bb.596:
	v_mov_b32_e32 v0, v12
.LBB143_597:
	global_store_byte v[10:11], v0, off
	s_mov_b64 s[10:11], 0
.LBB143_598:
	s_and_b64 vcc, exec, s[10:11]
	s_cbranch_vccz .LBB143_607
; %bb.599:
	s_cmpk_lt_i32 s59, 0x80
	s_cbranch_scc1 .LBB143_601
; %bb.600:
	s_and_b32 s10, 0xffff, s59
	s_cmpk_lg_i32 s10, 0x80
	s_mov_b64 s[12:13], 0
	s_cselect_b64 s[10:11], -1, 0
	s_branch .LBB143_602
.LBB143_601:
	s_mov_b64 s[12:13], -1
	s_mov_b64 s[10:11], 0
.LBB143_602:
	s_andn2_b64 vcc, exec, s[12:13]
	s_cbranch_vccnz .LBB143_604
; %bb.603:
	s_and_b32 s10, 0xffff, s59
	s_cmp_lg_u32 s10, 0
	s_cselect_b64 s[10:11], -1, 0
.LBB143_604:
	s_andn2_b64 vcc, exec, s[10:11]
	v_mov_b32_e32 v0, 0
	s_cbranch_vccnz .LBB143_606
; %bb.605:
	v_mov_b32_e32 v0, v4
.LBB143_606:
	global_store_byte v[10:11], v0, off
.LBB143_607:
	s_branch .LBB143_333
.LBB143_608:
	s_mov_b64 s[10:11], 0
                                        ; implicit-def: $vgpr15
.LBB143_609:
	s_andn2_b64 s[12:13], s[44:45], exec
	s_and_b64 s[8:9], s[8:9], exec
	s_or_b64 s[48:49], s[12:13], s[8:9]
	s_orn2_b64 s[8:9], s[10:11], exec
.LBB143_610:
	s_or_b64 exec, exec, s[50:51]
	s_mov_b64 s[10:11], 0
	s_mov_b64 s[12:13], 0
                                        ; implicit-def: $vgpr10_vgpr11
	s_and_saveexec_b64 s[50:51], s[8:9]
	s_cbranch_execz .LBB143_1086
; %bb.611:
	v_cmp_gt_i32_e32 vcc, s64, v15
	s_mov_b64 s[10:11], -1
	s_mov_b64 s[54:55], s[48:49]
	s_and_saveexec_b64 s[52:53], vcc
	s_cbranch_execz .LBB143_916
; %bb.612:
	s_andn2_b64 vcc, exec, s[30:31]
	s_cbranch_vccnz .LBB143_617
; %bb.613:
	s_andn2_b64 vcc, exec, s[42:43]
	s_cbranch_vccnz .LBB143_618
; %bb.614:
	s_add_i32 s67, s65, 1
	s_cmp_eq_u32 s58, 2
	s_cbranch_scc1 .LBB143_619
; %bb.615:
	s_and_b32 s66, s67, 28
	s_mov_b32 s68, 0
	v_mov_b32_e32 v0, 0
	s_mov_b64 s[54:55], s[24:25]
	s_mov_b64 s[56:57], s[40:41]
	v_mov_b32_e32 v1, v15
.LBB143_616:                            ; =>This Inner Loop Header: Depth=1
	s_load_dwordx8 s[8:15], s[54:55], 0x4
	s_load_dwordx4 s[16:19], s[54:55], 0x24
	s_load_dwordx4 s[20:23], s[56:57], 0x0
	s_add_u32 s54, s54, 48
	s_addc_u32 s55, s55, 0
	s_waitcnt lgkmcnt(0)
	v_mul_hi_u32 v2, s9, v1
	s_add_i32 s68, s68, 4
	s_add_u32 s56, s56, 16
	s_addc_u32 s57, s57, 0
	v_add_u32_e32 v2, v1, v2
	v_lshrrev_b32_e32 v2, s10, v2
	v_mul_lo_u32 v3, v2, s8
	v_mul_hi_u32 v10, s12, v2
	s_cmp_eq_u32 s66, s68
	v_sub_u32_e32 v1, v1, v3
	v_add_u32_e32 v3, v2, v10
	v_lshrrev_b32_e32 v3, s13, v3
	v_mul_lo_u32 v10, v1, s20
	v_mul_hi_u32 v1, s15, v3
	v_mul_lo_u32 v17, v3, s11
	v_add_u32_e32 v1, v3, v1
	v_lshrrev_b32_e32 v11, s16, v1
	v_mul_hi_u32 v1, s18, v11
	v_sub_u32_e32 v2, v2, v17
	v_mul_lo_u32 v17, v11, s14
	v_mul_lo_u32 v2, v2, s21
	v_add_u32_e32 v1, v11, v1
	v_lshrrev_b32_e32 v1, s19, v1
	v_mul_lo_u32 v18, v1, s17
	v_sub_u32_e32 v3, v3, v17
	v_mul_lo_u32 v3, v3, s22
	v_add3_u32 v0, v10, v0, v2
	v_sub_u32_e32 v11, v11, v18
	v_mul_lo_u32 v11, v11, s23
	v_add3_u32 v0, v3, v0, v11
	s_cbranch_scc0 .LBB143_616
	s_branch .LBB143_620
.LBB143_617:
	s_mov_b64 s[8:9], -1
                                        ; implicit-def: $vgpr0
	s_branch .LBB143_624
.LBB143_618:
	v_mov_b32_e32 v0, 0
	s_branch .LBB143_623
.LBB143_619:
	v_mov_b32_e32 v0, 0
	s_mov_b32 s66, 0
	v_mov_b32_e32 v1, v15
.LBB143_620:
	s_and_b32 s12, s67, 3
	s_cmp_eq_u32 s12, 0
	s_cbranch_scc1 .LBB143_623
; %bb.621:
	s_lshl_b32 s8, s66, 2
	s_add_u32 s8, s24, s8
	s_addc_u32 s9, s25, 0
	s_add_u32 s8, s8, 0xc4
	s_addc_u32 s9, s9, 0
	s_mul_i32 s10, s66, 12
	s_add_u32 s10, s24, s10
	s_addc_u32 s11, s25, 0
.LBB143_622:                            ; =>This Inner Loop Header: Depth=1
	s_load_dwordx2 s[14:15], s[10:11], 0x4
	s_load_dword s13, s[10:11], 0xc
	s_add_u32 s10, s10, 12
	s_addc_u32 s11, s11, 0
	s_waitcnt lgkmcnt(0)
	v_mul_hi_u32 v2, s15, v1
	s_load_dword s15, s[8:9], 0x0
	s_add_u32 s8, s8, 4
	s_addc_u32 s9, s9, 0
	v_add_u32_e32 v2, v1, v2
	v_lshrrev_b32_e32 v2, s13, v2
	v_mul_lo_u32 v3, v2, s14
	s_add_i32 s12, s12, -1
	s_cmp_lg_u32 s12, 0
	v_sub_u32_e32 v1, v1, v3
	s_waitcnt lgkmcnt(0)
	v_mad_u64_u32 v[0:1], s[14:15], v1, s15, v[0:1]
	v_mov_b32_e32 v1, v2
	s_cbranch_scc1 .LBB143_622
.LBB143_623:
	s_mov_b64 s[8:9], 0
.LBB143_624:
	s_andn2_b64 vcc, exec, s[8:9]
	s_cbranch_vccnz .LBB143_627
; %bb.625:
	v_mul_hi_u32 v0, s1, v15
	s_andn2_b64 vcc, exec, s[38:39]
	v_add_u32_e32 v0, v15, v0
	v_lshrrev_b32_e32 v1, s2, v0
	v_mul_lo_u32 v0, v1, s0
	v_sub_u32_e32 v0, v15, v0
	v_mul_lo_u32 v0, v0, s34
	s_cbranch_vccnz .LBB143_627
; %bb.626:
	v_mul_hi_u32 v2, s36, v1
	v_add_u32_e32 v2, v1, v2
	v_lshrrev_b32_e32 v2, s37, v2
	v_mul_lo_u32 v2, v2, s3
	v_sub_u32_e32 v1, v1, v2
	v_mad_u64_u32 v[0:1], s[8:9], v1, s35, v[0:1]
.LBB143_627:
	v_mov_b32_e32 v1, s7
	s_and_b32 s14, 0xffff, s60
	v_add_co_u32_e32 v10, vcc, s6, v0
	s_cmp_lt_i32 s14, 11
	v_addc_co_u32_e32 v11, vcc, 0, v1, vcc
	s_cbranch_scc1 .LBB143_636
; %bb.628:
	s_cmp_gt_i32 s14, 25
	s_cbranch_scc0 .LBB143_637
; %bb.629:
	s_cmp_gt_i32 s14, 28
	s_cbranch_scc0 .LBB143_638
	;; [unrolled: 3-line block ×4, first 2 shown]
; %bb.632:
	s_mov_b64 s[12:13], 0
	s_mov_b64 s[8:9], -1
	s_cmp_eq_u32 s14, 46
	s_mov_b64 s[10:11], 0
	s_cbranch_scc0 .LBB143_647
; %bb.633:
	s_cmpk_lt_i32 s59, 0x80
	s_cbranch_scc1 .LBB143_643
; %bb.634:
	s_and_b32 s8, 0xffff, s59
	s_cmpk_eq_i32 s8, 0x80
	s_mov_b64 s[8:9], -1
	s_cbranch_scc0 .LBB143_641
; %bb.635:
	s_mov_b64 s[8:9], 0
	s_mov_b32 s15, 0x7f800001
	s_and_b64 vcc, exec, s[10:11]
	s_cbranch_vccz .LBB143_644
	s_branch .LBB143_642
.LBB143_636:
	s_mov_b64 s[12:13], -1
	s_mov_b64 s[10:11], 0
	s_mov_b64 s[8:9], s[48:49]
	s_branch .LBB143_782
.LBB143_637:
	s_mov_b64 s[12:13], -1
	s_mov_b64 s[10:11], 0
	s_mov_b64 s[8:9], s[48:49]
	s_branch .LBB143_698
.LBB143_638:
	s_mov_b64 s[12:13], -1
	s_mov_b64 s[10:11], 0
	s_mov_b64 s[8:9], s[48:49]
	s_branch .LBB143_673
.LBB143_639:
	s_mov_b64 s[12:13], -1
	s_mov_b64 s[10:11], 0
	s_mov_b64 s[8:9], s[48:49]
	s_branch .LBB143_660
.LBB143_640:
	s_mov_b64 s[12:13], -1
	s_mov_b64 s[10:11], 0
	s_mov_b64 s[8:9], s[48:49]
	s_branch .LBB143_647
.LBB143_641:
	s_mov_b32 s15, 0x7f800001
	s_and_b64 vcc, exec, s[10:11]
	s_cbranch_vccz .LBB143_644
.LBB143_642:
	s_and_b32 s8, 0xffff, s59
	s_cmp_lg_u32 s8, 0
	s_mov_b32 s15, 0
	s_cselect_b64 s[8:9], -1, 0
	s_andn2_b64 vcc, exec, s[8:9]
	s_cbranch_vccz .LBB143_645
	s_branch .LBB143_646
.LBB143_643:
	s_mov_b64 s[8:9], 0
	s_mov_b32 s15, 0x7f800001
	s_cbranch_execnz .LBB143_642
.LBB143_644:
	s_andn2_b64 vcc, exec, s[8:9]
	s_cbranch_vccnz .LBB143_646
.LBB143_645:
	s_mov_b32 s15, s61
.LBB143_646:
	s_bfe_u32 s8, s15, 0x10010
	s_add_i32 s8, s15, s8
	s_addk_i32 s8, 0x7fff
	s_lshr_b32 s10, s8, 16
	v_cmp_o_f32_e64 s[8:9], s15, s15
	s_and_b64 s[8:9], s[8:9], exec
	s_cselect_b32 s8, s10, 0x7fc0
	v_mov_b32_e32 v0, s8
	global_store_dword v[10:11], v0, off
	s_mov_b64 s[10:11], -1
	s_mov_b64 s[8:9], 0
.LBB143_647:
	s_and_b64 vcc, exec, s[12:13]
	s_cbranch_vccz .LBB143_659
; %bb.648:
	s_cmp_eq_u32 s14, 44
	s_mov_b64 s[8:9], -1
	s_cbranch_scc0 .LBB143_659
; %bb.649:
	s_cmpk_lt_i32 s59, 0x80
	s_cbranch_scc1 .LBB143_653
; %bb.650:
	s_and_b32 s8, 0xffff, s59
	s_cmpk_eq_i32 s8, 0x80
	s_mov_b64 s[8:9], -1
	s_cbranch_scc0 .LBB143_652
; %bb.651:
	s_mov_b64 s[8:9], 0
.LBB143_652:
	s_mov_b64 s[10:11], 0
	s_branch .LBB143_654
.LBB143_653:
	s_mov_b64 s[10:11], -1
	s_mov_b64 s[8:9], 0
.LBB143_654:
	s_mov_b32 s12, 0x7f800001
	s_and_b64 vcc, exec, s[10:11]
	s_cbranch_vccz .LBB143_664
; %bb.655:
	s_and_b32 s12, 0xffff, s59
	s_cmp_lg_u32 s12, 0
	s_cselect_b64 s[8:9], -1, 0
	s_andn2_b64 vcc, exec, s[8:9]
	s_cbranch_vccz .LBB143_665
.LBB143_656:
	s_lshr_b32 s8, s12, 23
	s_cmpk_eq_i32 s8, 0xff
	v_mov_b32_e32 v0, 0xff
	s_cbranch_scc1 .LBB143_658
.LBB143_657:
	s_bitcmp1_b32 s12, 22
	s_cselect_b64 s[10:11], -1, 0
	s_and_b32 s9, s12, 0x3fffff
	s_or_b32 s9, s8, s9
	s_cmp_lg_u32 s9, 0
	s_cselect_b64 s[12:13], -1, 0
	s_and_b64 s[10:11], s[10:11], s[12:13]
	v_cndmask_b32_e64 v0, 0, 1, s[10:11]
	v_add_u32_e32 v0, s8, v0
.LBB143_658:
	s_mov_b64 s[10:11], -1
	s_mov_b64 s[8:9], 0
	global_store_byte v[10:11], v0, off
.LBB143_659:
	s_mov_b64 s[12:13], 0
.LBB143_660:
	s_and_b64 vcc, exec, s[12:13]
	s_cbranch_vccz .LBB143_672
; %bb.661:
	s_cmp_eq_u32 s14, 29
	s_mov_b64 s[8:9], -1
	s_cbranch_scc0 .LBB143_672
; %bb.662:
	s_cmpk_lt_i32 s59, 0x80
	s_cbranch_scc1 .LBB143_666
; %bb.663:
	s_and_b32 s8, 0xffff, s59
	s_cmpk_lg_i32 s8, 0x80
	s_mov_b64 s[10:11], 0
	s_cselect_b64 s[8:9], -1, 0
	s_branch .LBB143_667
.LBB143_664:
	s_andn2_b64 vcc, exec, s[8:9]
	s_cbranch_vccnz .LBB143_656
.LBB143_665:
	s_mov_b32 s12, s63
	s_lshr_b32 s8, s12, 23
	s_cmpk_eq_i32 s8, 0xff
	v_mov_b32_e32 v0, 0xff
	s_cbranch_scc0 .LBB143_657
	s_branch .LBB143_658
.LBB143_666:
	s_mov_b64 s[10:11], -1
	s_mov_b64 s[8:9], 0
.LBB143_667:
	s_andn2_b64 vcc, exec, s[10:11]
	s_cbranch_vccnz .LBB143_669
; %bb.668:
	s_and_b32 s8, 0xffff, s59
	s_cmp_lg_u32 s8, 0
	s_cselect_b64 s[8:9], -1, 0
.LBB143_669:
	v_mov_b32_e32 v0, 0
	s_andn2_b64 vcc, exec, s[8:9]
	v_mov_b32_e32 v1, 0
	s_cbranch_vccnz .LBB143_671
; %bb.670:
	v_mov_b32_e32 v0, v8
	v_mov_b32_e32 v1, v9
.LBB143_671:
	global_store_dwordx2 v[10:11], v[0:1], off
	s_mov_b64 s[10:11], -1
	s_mov_b64 s[8:9], 0
.LBB143_672:
	s_mov_b64 s[12:13], 0
.LBB143_673:
	s_and_b64 vcc, exec, s[12:13]
	s_cbranch_vccz .LBB143_697
; %bb.674:
	s_cmp_lt_i32 s14, 27
	s_mov_b64 s[10:11], -1
	s_cbranch_scc1 .LBB143_694
; %bb.675:
	s_cmp_gt_i32 s14, 27
	s_cbranch_scc0 .LBB143_684
; %bb.676:
	s_cmpk_lt_i32 s59, 0x80
	s_cbranch_scc1 .LBB143_678
; %bb.677:
	s_and_b32 s10, 0xffff, s59
	s_cmpk_lg_i32 s10, 0x80
	s_mov_b64 s[12:13], 0
	s_cselect_b64 s[10:11], -1, 0
	s_branch .LBB143_679
.LBB143_678:
	s_mov_b64 s[12:13], -1
	s_mov_b64 s[10:11], 0
.LBB143_679:
	s_andn2_b64 vcc, exec, s[12:13]
	s_cbranch_vccnz .LBB143_681
; %bb.680:
	s_and_b32 s10, 0xffff, s59
	s_cmp_lg_u32 s10, 0
	s_cselect_b64 s[10:11], -1, 0
.LBB143_681:
	s_andn2_b64 vcc, exec, s[10:11]
	v_mov_b32_e32 v0, 0
	s_cbranch_vccnz .LBB143_683
; %bb.682:
	v_mov_b32_e32 v0, v16
.LBB143_683:
	global_store_dword v[10:11], v0, off
	s_mov_b64 s[10:11], 0
.LBB143_684:
	s_and_b64 vcc, exec, s[10:11]
	s_cbranch_vccz .LBB143_693
; %bb.685:
	s_cmpk_lt_i32 s59, 0x80
	s_cbranch_scc1 .LBB143_687
; %bb.686:
	s_and_b32 s10, 0xffff, s59
	s_cmpk_lg_i32 s10, 0x80
	s_mov_b64 s[12:13], 0
	s_cselect_b64 s[10:11], -1, 0
	s_branch .LBB143_688
.LBB143_687:
	s_mov_b64 s[12:13], -1
	s_mov_b64 s[10:11], 0
.LBB143_688:
	s_andn2_b64 vcc, exec, s[12:13]
	s_cbranch_vccnz .LBB143_690
; %bb.689:
	s_and_b32 s10, 0xffff, s59
	s_cmp_lg_u32 s10, 0
	s_cselect_b64 s[10:11], -1, 0
.LBB143_690:
	s_andn2_b64 vcc, exec, s[10:11]
	v_mov_b32_e32 v0, 0
	s_cbranch_vccnz .LBB143_692
; %bb.691:
	v_mov_b32_e32 v0, v16
.LBB143_692:
	global_store_short v[10:11], v0, off
.LBB143_693:
	s_mov_b64 s[10:11], 0
.LBB143_694:
	s_andn2_b64 vcc, exec, s[10:11]
	s_cbranch_vccnz .LBB143_696
; %bb.695:
	v_mov_b32_e32 v0, s62
	global_store_byte v[10:11], v0, off
.LBB143_696:
	s_mov_b64 s[10:11], -1
.LBB143_697:
	s_mov_b64 s[12:13], 0
.LBB143_698:
	s_and_b64 vcc, exec, s[12:13]
	s_cbranch_vccz .LBB143_781
; %bb.699:
	s_cmp_gt_i32 s14, 22
	s_mov_b64 s[12:13], -1
	s_cbranch_scc0 .LBB143_764
; %bb.700:
	s_cmp_lt_i32 s14, 24
	s_mov_b64 s[10:11], -1
	s_cbranch_scc1 .LBB143_742
; %bb.701:
	s_cmp_gt_i32 s14, 24
	s_cbranch_scc0 .LBB143_720
; %bb.702:
	s_cmpk_lt_i32 s59, 0x80
	s_cbranch_scc1 .LBB143_706
; %bb.703:
	s_and_b32 s10, 0xffff, s59
	s_cmpk_eq_i32 s10, 0x80
	s_mov_b64 s[10:11], -1
	s_cbranch_scc0 .LBB143_705
; %bb.704:
	s_mov_b64 s[10:11], 0
.LBB143_705:
	s_mov_b64 s[12:13], 0
	s_branch .LBB143_707
.LBB143_706:
	s_mov_b64 s[10:11], 0
.LBB143_707:
	s_mov_b32 s15, 0x7f800001
	s_and_b64 vcc, exec, s[12:13]
	s_cbranch_vccz .LBB143_710
; %bb.708:
	s_and_b32 s10, 0xffff, s59
	s_cmp_lg_u32 s10, 0
	s_mov_b32 s15, 0
	s_cselect_b64 s[10:11], -1, 0
	s_andn2_b64 vcc, exec, s[10:11]
	s_cbranch_vccz .LBB143_711
.LBB143_709:
	s_and_b32 s10, s15, 0x7fffffff
	s_cmp_gt_u32 s10, 0x477fffff
	v_mov_b32_e32 v1, 0x80
	s_cbranch_scc0 .LBB143_712
	s_branch .LBB143_719
.LBB143_710:
	s_andn2_b64 vcc, exec, s[10:11]
	s_cbranch_vccnz .LBB143_709
.LBB143_711:
	s_mov_b32 s15, s61
	s_and_b32 s10, s15, 0x7fffffff
	s_cmp_gt_u32 s10, 0x477fffff
	v_mov_b32_e32 v1, 0x80
	s_cbranch_scc1 .LBB143_719
.LBB143_712:
	s_cmp_lt_u32 s10, 0x38000000
	s_cbranch_scc1 .LBB143_714
; %bb.713:
	s_bfe_u32 s10, s15, 0x10015
	s_add_i32 s10, s15, s10
	s_add_i32 s10, s10, 0x88fffff
	s_lshr_b32 s16, s10, 21
	s_mov_b64 s[12:13], 0
	s_mov_b64 s[10:11], -1
	s_branch .LBB143_715
.LBB143_714:
	s_mov_b64 s[12:13], -1
	s_mov_b64 s[10:11], 0
                                        ; implicit-def: $sgpr16
.LBB143_715:
	s_andn2_b64 vcc, exec, s[12:13]
	v_mov_b32_e32 v0, s16
	s_cbranch_vccnz .LBB143_717
; %bb.716:
	v_mov_b32_e32 v0, 0x42800000
	v_add_f32_e64 v0, |s15|, v0
	v_and_b32_e32 v0, 0xff, v0
	v_cmp_ne_u32_e64 s[10:11], 0, v0
.LBB143_717:
	s_andn2_b64 vcc, exec, s[10:11]
	v_mov_b32_e32 v1, 0
	s_cbranch_vccnz .LBB143_719
; %bb.718:
	s_lshr_b32 s10, s15, 24
	s_and_b32 s10, s10, 0x80
	v_or_b32_e32 v1, s10, v0
.LBB143_719:
	global_store_byte v[10:11], v1, off
	s_mov_b64 s[10:11], 0
.LBB143_720:
	s_and_b64 vcc, exec, s[10:11]
	s_cbranch_vccz .LBB143_741
; %bb.721:
	s_cmpk_lt_i32 s59, 0x80
	s_cbranch_scc1 .LBB143_725
; %bb.722:
	s_and_b32 s10, 0xffff, s59
	s_cmpk_eq_i32 s10, 0x80
	s_mov_b64 s[10:11], -1
	s_cbranch_scc0 .LBB143_724
; %bb.723:
	s_mov_b64 s[10:11], 0
.LBB143_724:
	s_mov_b64 s[12:13], 0
	s_branch .LBB143_726
.LBB143_725:
	s_mov_b64 s[12:13], -1
	s_mov_b64 s[10:11], 0
.LBB143_726:
	s_mov_b32 s15, 0x7f800001
	s_and_b64 vcc, exec, s[12:13]
	s_cbranch_vccz .LBB143_731
; %bb.727:
	s_and_b32 s10, 0xffff, s59
	s_cmp_lg_u32 s10, 0
	s_mov_b32 s15, 0
	s_cselect_b64 s[10:11], -1, 0
	s_andn2_b64 vcc, exec, s[10:11]
	s_cbranch_vccz .LBB143_732
.LBB143_728:
	s_and_b32 s12, s15, 0x7fffffff
	s_cmp_gt_u32 s12, 0x43efffff
	s_cbranch_scc1 .LBB143_733
.LBB143_729:
	s_cmp_lt_u32 s12, 0x3c800000
	s_cbranch_scc1 .LBB143_734
; %bb.730:
	s_bfe_u32 s10, s15, 0x10014
	s_add_i32 s10, s15, s10
	s_add_i32 s10, s10, 0x407ffff
	s_lshr_b32 s11, s10, 20
	s_and_b32 s10, s10, 0xff00000
	s_cmp_lg_u32 s10, 0x7f00000
	s_cselect_b32 s13, s11, 0x7e
	s_mov_b64 s[10:11], 0
	s_branch .LBB143_735
.LBB143_731:
	s_andn2_b64 vcc, exec, s[10:11]
	s_cbranch_vccnz .LBB143_728
.LBB143_732:
	s_mov_b32 s15, s61
	s_and_b32 s12, s15, 0x7fffffff
	s_cmp_gt_u32 s12, 0x43efffff
	s_cbranch_scc0 .LBB143_729
.LBB143_733:
	s_mov_b64 s[10:11], -1
                                        ; implicit-def: $vgpr0
	s_branch .LBB143_738
.LBB143_734:
	s_mov_b64 s[10:11], -1
                                        ; implicit-def: $sgpr13
.LBB143_735:
	s_andn2_b64 vcc, exec, s[10:11]
	v_mov_b32_e32 v0, s13
	s_cbranch_vccnz .LBB143_737
; %bb.736:
	v_mov_b32_e32 v0, 0x46800000
	v_add_f32_e64 v0, |s15|, v0
.LBB143_737:
	s_mov_b64 s[10:11], 0
.LBB143_738:
	s_andn2_b64 vcc, exec, s[10:11]
	s_cbranch_vccnz .LBB143_740
; %bb.739:
	s_cmp_gt_u32 s12, 0x7f800000
	s_movk_i32 s10, 0x7f
	s_cselect_b32 s10, s10, 0x7e
	v_mov_b32_e32 v0, s10
.LBB143_740:
	s_lshr_b32 s10, s15, 24
	s_and_b32 s10, s10, 0x80
	v_or_b32_e32 v0, s10, v0
	global_store_byte v[10:11], v0, off
.LBB143_741:
	s_mov_b64 s[10:11], 0
.LBB143_742:
	s_andn2_b64 vcc, exec, s[10:11]
	s_cbranch_vccnz .LBB143_763
; %bb.743:
	s_cmpk_lt_i32 s59, 0x80
	s_cbranch_scc1 .LBB143_747
; %bb.744:
	s_and_b32 s10, 0xffff, s59
	s_cmpk_eq_i32 s10, 0x80
	s_mov_b64 s[10:11], -1
	s_cbranch_scc0 .LBB143_746
; %bb.745:
	s_mov_b64 s[10:11], 0
.LBB143_746:
	s_mov_b64 s[12:13], 0
	s_branch .LBB143_748
.LBB143_747:
	s_mov_b64 s[12:13], -1
	s_mov_b64 s[10:11], 0
.LBB143_748:
	s_mov_b32 s15, 0x7f800001
	s_and_b64 vcc, exec, s[12:13]
	s_cbranch_vccz .LBB143_753
; %bb.749:
	s_and_b32 s10, 0xffff, s59
	s_cmp_lg_u32 s10, 0
	s_mov_b32 s15, 0
	s_cselect_b64 s[10:11], -1, 0
	s_andn2_b64 vcc, exec, s[10:11]
	s_cbranch_vccz .LBB143_754
.LBB143_750:
	s_and_b32 s12, s15, 0x7fffffff
	s_cmp_gt_u32 s12, 0x477fffff
	s_cbranch_scc1 .LBB143_755
.LBB143_751:
	s_cmp_lt_u32 s12, 0x38800000
	s_cbranch_scc1 .LBB143_756
; %bb.752:
	s_bfe_u32 s10, s15, 0x10015
	s_add_i32 s10, s15, s10
	s_add_i32 s10, s10, 0x80fffff
	s_lshr_b32 s13, s10, 21
	s_mov_b64 s[10:11], 0
	s_branch .LBB143_757
.LBB143_753:
	s_andn2_b64 vcc, exec, s[10:11]
	s_cbranch_vccnz .LBB143_750
.LBB143_754:
	s_mov_b32 s15, s61
	s_and_b32 s12, s15, 0x7fffffff
	s_cmp_gt_u32 s12, 0x477fffff
	s_cbranch_scc0 .LBB143_751
.LBB143_755:
	s_mov_b64 s[10:11], -1
                                        ; implicit-def: $vgpr0
	s_branch .LBB143_760
.LBB143_756:
	s_mov_b64 s[10:11], -1
                                        ; implicit-def: $sgpr13
.LBB143_757:
	s_andn2_b64 vcc, exec, s[10:11]
	v_mov_b32_e32 v0, s13
	s_cbranch_vccnz .LBB143_759
; %bb.758:
	v_mov_b32_e32 v0, 0x43000000
	v_add_f32_e64 v0, |s15|, v0
.LBB143_759:
	s_mov_b64 s[10:11], 0
.LBB143_760:
	s_andn2_b64 vcc, exec, s[10:11]
	s_cbranch_vccnz .LBB143_762
; %bb.761:
	s_cmp_gt_u32 s12, 0x7f800000
	s_movk_i32 s10, 0x7f
	s_cselect_b32 s10, s10, 0x7c
	v_mov_b32_e32 v0, s10
.LBB143_762:
	s_lshr_b32 s10, s15, 24
	s_and_b32 s10, s10, 0x80
	v_or_b32_e32 v0, s10, v0
	global_store_byte v[10:11], v0, off
.LBB143_763:
	s_mov_b64 s[12:13], 0
	s_mov_b64 s[10:11], -1
.LBB143_764:
	s_andn2_b64 vcc, exec, s[12:13]
	s_cbranch_vccnz .LBB143_781
; %bb.765:
	s_cmp_gt_i32 s14, 14
	s_mov_b64 s[12:13], -1
	s_cbranch_scc0 .LBB143_778
; %bb.766:
	s_cmp_eq_u32 s14, 15
	s_mov_b64 s[8:9], -1
	s_cbranch_scc0 .LBB143_777
; %bb.767:
	s_cmpk_lt_i32 s59, 0x80
	s_cbranch_scc1 .LBB143_771
; %bb.768:
	s_and_b32 s8, 0xffff, s59
	s_cmpk_eq_i32 s8, 0x80
	s_mov_b64 s[8:9], -1
	s_cbranch_scc0 .LBB143_770
; %bb.769:
	s_mov_b64 s[8:9], 0
.LBB143_770:
	s_mov_b64 s[10:11], 0
	s_branch .LBB143_772
.LBB143_771:
	s_mov_b64 s[10:11], -1
	s_mov_b64 s[8:9], 0
.LBB143_772:
	s_mov_b32 s12, 0x7f800001
	s_and_b64 vcc, exec, s[10:11]
	s_cbranch_vccz .LBB143_774
; %bb.773:
	s_and_b32 s8, 0xffff, s59
	s_cmp_lg_u32 s8, 0
	s_mov_b32 s12, 0
	s_cselect_b64 s[8:9], -1, 0
.LBB143_774:
	s_andn2_b64 vcc, exec, s[8:9]
	s_cbranch_vccnz .LBB143_776
; %bb.775:
	s_mov_b32 s12, s61
.LBB143_776:
	s_bfe_u32 s8, s12, 0x10010
	s_add_i32 s8, s12, s8
	s_addk_i32 s8, 0x7fff
	s_lshr_b32 s10, s8, 16
	v_cmp_o_f32_e64 s[8:9], s12, s12
	s_and_b64 s[8:9], s[8:9], exec
	s_cselect_b32 s8, s10, 0x7fc0
	v_mov_b32_e32 v0, s8
	global_store_short v[10:11], v0, off
	s_mov_b64 s[10:11], -1
	s_mov_b64 s[8:9], 0
.LBB143_777:
	s_mov_b64 s[12:13], 0
.LBB143_778:
	s_and_b64 vcc, exec, s[12:13]
	s_cbranch_vccz .LBB143_781
; %bb.779:
	s_cmp_eq_u32 s14, 11
	s_mov_b64 s[8:9], -1
	s_cbranch_scc0 .LBB143_781
; %bb.780:
	global_store_byte v[10:11], v14, off
	s_mov_b64 s[10:11], -1
	s_mov_b64 s[8:9], 0
.LBB143_781:
	s_mov_b64 s[12:13], 0
.LBB143_782:
	s_and_b64 vcc, exec, s[12:13]
	s_cbranch_vccz .LBB143_912
; %bb.783:
	s_cmp_lt_i32 s14, 5
	s_mov_b64 s[10:11], -1
	s_cbranch_scc1 .LBB143_860
; %bb.784:
	s_cmp_lt_i32 s14, 8
	s_cbranch_scc1 .LBB143_822
; %bb.785:
	s_cmp_lt_i32 s14, 9
	s_cbranch_scc1 .LBB143_810
; %bb.786:
	s_cmp_gt_i32 s14, 9
	s_cbranch_scc0 .LBB143_798
; %bb.787:
	s_cmpk_lt_i32 s59, 0x80
	s_cbranch_scc1 .LBB143_791
; %bb.788:
	s_and_b32 s10, 0xffff, s59
	s_cmpk_eq_i32 s10, 0x80
	s_mov_b64 s[10:11], -1
	s_cbranch_scc0 .LBB143_790
; %bb.789:
	s_mov_b64 s[10:11], 0
.LBB143_790:
	s_mov_b64 s[12:13], 0
	s_branch .LBB143_792
.LBB143_791:
	s_mov_b64 s[12:13], -1
	s_mov_b64 s[10:11], 0
.LBB143_792:
	s_and_b64 vcc, exec, s[12:13]
	s_cbranch_vccz .LBB143_794
; %bb.793:
	s_and_b32 s10, 0xffff, s59
	s_cmp_lg_u32 s10, 0
	s_mov_b64 s[12:13], 0
	s_cselect_b64 s[10:11], -1, 0
	s_branch .LBB143_795
.LBB143_794:
	s_mov_b32 s13, 0x7ff80000
	s_brev_b32 s12, 4
.LBB143_795:
	v_mov_b32_e32 v0, s12
	s_andn2_b64 vcc, exec, s[10:11]
	v_mov_b32_e32 v1, s13
	s_cbranch_vccnz .LBB143_797
; %bb.796:
	v_mov_b32_e32 v0, v6
	v_mov_b32_e32 v1, v7
.LBB143_797:
	v_mov_b32_e32 v2, 0
	v_mov_b32_e32 v3, v2
	global_store_dwordx4 v[10:11], v[0:3], off
	s_mov_b64 s[10:11], 0
.LBB143_798:
	s_and_b64 vcc, exec, s[10:11]
	s_cbranch_vccz .LBB143_809
; %bb.799:
	s_cmpk_lt_i32 s59, 0x80
	s_cbranch_scc1 .LBB143_803
; %bb.800:
	s_and_b32 s10, 0xffff, s59
	s_cmpk_eq_i32 s10, 0x80
	s_mov_b64 s[10:11], -1
	s_cbranch_scc0 .LBB143_802
; %bb.801:
	s_mov_b64 s[10:11], 0
.LBB143_802:
	s_mov_b64 s[12:13], 0
	s_branch .LBB143_804
.LBB143_803:
	s_mov_b64 s[12:13], -1
	s_mov_b64 s[10:11], 0
.LBB143_804:
	s_mov_b32 s15, 0x7f800001
	s_and_b64 vcc, exec, s[12:13]
	s_cbranch_vccz .LBB143_806
; %bb.805:
	s_and_b32 s15, 0xffff, s59
	s_cmp_lg_u32 s15, 0
	s_cselect_b64 s[10:11], -1, 0
.LBB143_806:
	s_andn2_b64 vcc, exec, s[10:11]
	s_cbranch_vccnz .LBB143_808
; %bb.807:
	s_mov_b32 s15, s61
.LBB143_808:
	v_mov_b32_e32 v0, s15
	v_mov_b32_e32 v1, 0
	global_store_dwordx2 v[10:11], v[0:1], off
.LBB143_809:
	s_mov_b64 s[10:11], 0
.LBB143_810:
	s_andn2_b64 vcc, exec, s[10:11]
	s_cbranch_vccnz .LBB143_821
; %bb.811:
	s_cmpk_lt_i32 s59, 0x80
	s_cbranch_scc1 .LBB143_815
; %bb.812:
	s_and_b32 s10, 0xffff, s59
	s_cmpk_eq_i32 s10, 0x80
	s_mov_b64 s[10:11], -1
	s_cbranch_scc0 .LBB143_814
; %bb.813:
	s_mov_b64 s[10:11], 0
.LBB143_814:
	s_mov_b64 s[12:13], 0
	s_branch .LBB143_816
.LBB143_815:
	s_mov_b64 s[12:13], -1
	s_mov_b64 s[10:11], 0
.LBB143_816:
	s_movk_i32 s15, 0x7e00
	s_and_b64 vcc, exec, s[12:13]
	s_cbranch_vccz .LBB143_818
; %bb.817:
	s_and_b32 s15, 0xffff, s59
	s_cmp_lg_u32 s15, 0
	s_cselect_b64 s[10:11], -1, 0
.LBB143_818:
	s_andn2_b64 vcc, exec, s[10:11]
	v_mov_b32_e32 v0, s15
	s_cbranch_vccnz .LBB143_820
; %bb.819:
	v_mov_b32_e32 v0, v13
.LBB143_820:
	global_store_dword v[10:11], v0, off
.LBB143_821:
	s_mov_b64 s[10:11], 0
.LBB143_822:
	s_andn2_b64 vcc, exec, s[10:11]
	s_cbranch_vccnz .LBB143_859
; %bb.823:
	s_cmp_lt_i32 s14, 6
	s_mov_b64 s[10:11], -1
	s_cbranch_scc1 .LBB143_848
; %bb.824:
	s_cmp_gt_i32 s14, 6
	s_cbranch_scc0 .LBB143_836
; %bb.825:
	s_cmpk_lt_i32 s59, 0x80
	s_cbranch_scc1 .LBB143_829
; %bb.826:
	s_and_b32 s10, 0xffff, s59
	s_cmpk_eq_i32 s10, 0x80
	s_mov_b64 s[10:11], -1
	s_cbranch_scc0 .LBB143_828
; %bb.827:
	s_mov_b64 s[10:11], 0
.LBB143_828:
	s_mov_b64 s[12:13], 0
	s_branch .LBB143_830
.LBB143_829:
	s_mov_b64 s[12:13], -1
	s_mov_b64 s[10:11], 0
.LBB143_830:
	s_and_b64 vcc, exec, s[12:13]
	s_cbranch_vccz .LBB143_832
; %bb.831:
	s_and_b32 s10, 0xffff, s59
	s_cmp_lg_u32 s10, 0
	s_mov_b64 s[12:13], 0
	s_cselect_b64 s[10:11], -1, 0
	s_branch .LBB143_833
.LBB143_832:
	s_mov_b32 s13, 0x7ff80000
	s_brev_b32 s12, 4
.LBB143_833:
	v_mov_b32_e32 v0, s12
	s_andn2_b64 vcc, exec, s[10:11]
	v_mov_b32_e32 v1, s13
	s_cbranch_vccnz .LBB143_835
; %bb.834:
	v_mov_b32_e32 v0, v6
	v_mov_b32_e32 v1, v7
.LBB143_835:
	global_store_dwordx2 v[10:11], v[0:1], off
	s_mov_b64 s[10:11], 0
.LBB143_836:
	s_and_b64 vcc, exec, s[10:11]
	s_cbranch_vccz .LBB143_847
; %bb.837:
	s_cmpk_lt_i32 s59, 0x80
	s_cbranch_scc1 .LBB143_841
; %bb.838:
	s_and_b32 s10, 0xffff, s59
	s_cmpk_eq_i32 s10, 0x80
	s_mov_b64 s[10:11], -1
	s_cbranch_scc0 .LBB143_840
; %bb.839:
	s_mov_b64 s[10:11], 0
.LBB143_840:
	s_mov_b64 s[12:13], 0
	s_branch .LBB143_842
.LBB143_841:
	s_mov_b64 s[12:13], -1
	s_mov_b64 s[10:11], 0
.LBB143_842:
	s_mov_b32 s15, 0x7f800001
	s_and_b64 vcc, exec, s[12:13]
	s_cbranch_vccz .LBB143_844
; %bb.843:
	s_and_b32 s10, 0xffff, s59
	s_cmp_lg_u32 s10, 0
	s_mov_b32 s15, 0
	s_cselect_b64 s[10:11], -1, 0
.LBB143_844:
	s_andn2_b64 vcc, exec, s[10:11]
	s_cbranch_vccnz .LBB143_846
; %bb.845:
	s_mov_b32 s15, s61
.LBB143_846:
	v_mov_b32_e32 v0, s15
	global_store_dword v[10:11], v0, off
.LBB143_847:
	s_mov_b64 s[10:11], 0
.LBB143_848:
	s_andn2_b64 vcc, exec, s[10:11]
	s_cbranch_vccnz .LBB143_859
; %bb.849:
	s_cmpk_lt_i32 s59, 0x80
	s_cbranch_scc1 .LBB143_853
; %bb.850:
	s_and_b32 s10, 0xffff, s59
	s_cmpk_eq_i32 s10, 0x80
	s_mov_b64 s[10:11], -1
	s_cbranch_scc0 .LBB143_852
; %bb.851:
	s_mov_b64 s[10:11], 0
.LBB143_852:
	s_mov_b64 s[12:13], 0
	s_branch .LBB143_854
.LBB143_853:
	s_mov_b64 s[12:13], -1
	s_mov_b64 s[10:11], 0
.LBB143_854:
	s_movk_i32 s15, 0x7e00
	s_and_b64 vcc, exec, s[12:13]
	s_cbranch_vccz .LBB143_856
; %bb.855:
	s_and_b32 s10, 0xffff, s59
	s_cmp_lg_u32 s10, 0
	s_cselect_b64 s[10:11], -1, 0
	s_mov_b32 s15, s59
.LBB143_856:
	s_andn2_b64 vcc, exec, s[10:11]
	v_mov_b32_e32 v0, s15
	s_cbranch_vccnz .LBB143_858
; %bb.857:
	v_mov_b32_e32 v0, v13
.LBB143_858:
	global_store_short v[10:11], v0, off
.LBB143_859:
	s_mov_b64 s[10:11], 0
.LBB143_860:
	s_andn2_b64 vcc, exec, s[10:11]
	s_cbranch_vccnz .LBB143_911
; %bb.861:
	s_cmp_lt_i32 s14, 2
	s_mov_b64 s[10:11], -1
	s_cbranch_scc1 .LBB143_892
; %bb.862:
	s_cmp_lt_i32 s14, 3
	s_cbranch_scc1 .LBB143_882
; %bb.863:
	s_cmp_gt_i32 s14, 3
	s_cbranch_scc0 .LBB143_872
; %bb.864:
	s_cmpk_lt_i32 s59, 0x80
	s_cbranch_scc1 .LBB143_866
; %bb.865:
	s_and_b32 s10, 0xffff, s59
	s_cmpk_lg_i32 s10, 0x80
	s_mov_b64 s[12:13], 0
	s_cselect_b64 s[10:11], -1, 0
	s_branch .LBB143_867
.LBB143_866:
	s_mov_b64 s[12:13], -1
	s_mov_b64 s[10:11], 0
.LBB143_867:
	s_andn2_b64 vcc, exec, s[12:13]
	s_cbranch_vccnz .LBB143_869
; %bb.868:
	s_and_b32 s10, 0xffff, s59
	s_cmp_lg_u32 s10, 0
	s_cselect_b64 s[10:11], -1, 0
.LBB143_869:
	v_mov_b32_e32 v0, 0
	s_andn2_b64 vcc, exec, s[10:11]
	v_mov_b32_e32 v1, 0
	s_cbranch_vccnz .LBB143_871
; %bb.870:
	v_mov_b32_e32 v0, v4
	v_mov_b32_e32 v1, v5
.LBB143_871:
	global_store_dwordx2 v[10:11], v[0:1], off
	s_mov_b64 s[10:11], 0
.LBB143_872:
	s_and_b64 vcc, exec, s[10:11]
	s_cbranch_vccz .LBB143_881
; %bb.873:
	s_cmpk_lt_i32 s59, 0x80
	s_cbranch_scc1 .LBB143_875
; %bb.874:
	s_and_b32 s10, 0xffff, s59
	s_cmpk_lg_i32 s10, 0x80
	s_mov_b64 s[12:13], 0
	s_cselect_b64 s[10:11], -1, 0
	s_branch .LBB143_876
.LBB143_875:
	s_mov_b64 s[12:13], -1
	s_mov_b64 s[10:11], 0
.LBB143_876:
	s_andn2_b64 vcc, exec, s[12:13]
	s_cbranch_vccnz .LBB143_878
; %bb.877:
	s_and_b32 s10, 0xffff, s59
	s_cmp_lg_u32 s10, 0
	s_cselect_b64 s[10:11], -1, 0
.LBB143_878:
	s_andn2_b64 vcc, exec, s[10:11]
	v_mov_b32_e32 v0, 0
	s_cbranch_vccnz .LBB143_880
; %bb.879:
	v_mov_b32_e32 v0, v12
.LBB143_880:
	global_store_dword v[10:11], v0, off
.LBB143_881:
	s_mov_b64 s[10:11], 0
.LBB143_882:
	s_andn2_b64 vcc, exec, s[10:11]
	s_cbranch_vccnz .LBB143_891
; %bb.883:
	s_cmpk_lt_i32 s59, 0x80
	s_cbranch_scc1 .LBB143_885
; %bb.884:
	s_and_b32 s10, 0xffff, s59
	s_cmpk_lg_i32 s10, 0x80
	s_mov_b64 s[12:13], 0
	s_cselect_b64 s[10:11], -1, 0
	s_branch .LBB143_886
.LBB143_885:
	s_mov_b64 s[12:13], -1
	s_mov_b64 s[10:11], 0
.LBB143_886:
	s_andn2_b64 vcc, exec, s[12:13]
	s_cbranch_vccnz .LBB143_888
; %bb.887:
	s_and_b32 s10, 0xffff, s59
	s_cmp_lg_u32 s10, 0
	s_cselect_b64 s[10:11], -1, 0
.LBB143_888:
	s_andn2_b64 vcc, exec, s[10:11]
	v_mov_b32_e32 v0, 0
	s_cbranch_vccnz .LBB143_890
; %bb.889:
	v_mov_b32_e32 v0, v12
.LBB143_890:
	global_store_short v[10:11], v0, off
.LBB143_891:
	s_mov_b64 s[10:11], 0
.LBB143_892:
	s_andn2_b64 vcc, exec, s[10:11]
	s_cbranch_vccnz .LBB143_911
; %bb.893:
	s_cmp_gt_i32 s14, 0
	s_mov_b64 s[10:11], -1
	s_cbranch_scc0 .LBB143_902
; %bb.894:
	s_cmpk_lt_i32 s59, 0x80
	s_cbranch_scc1 .LBB143_896
; %bb.895:
	s_and_b32 s10, 0xffff, s59
	s_cmpk_lg_i32 s10, 0x80
	s_mov_b64 s[12:13], 0
	s_cselect_b64 s[10:11], -1, 0
	s_branch .LBB143_897
.LBB143_896:
	s_mov_b64 s[12:13], -1
	s_mov_b64 s[10:11], 0
.LBB143_897:
	s_andn2_b64 vcc, exec, s[12:13]
	s_cbranch_vccnz .LBB143_899
; %bb.898:
	s_and_b32 s10, 0xffff, s59
	s_cmp_lg_u32 s10, 0
	s_cselect_b64 s[10:11], -1, 0
.LBB143_899:
	s_andn2_b64 vcc, exec, s[10:11]
	v_mov_b32_e32 v0, 0
	s_cbranch_vccnz .LBB143_901
; %bb.900:
	v_mov_b32_e32 v0, v12
.LBB143_901:
	global_store_byte v[10:11], v0, off
	s_mov_b64 s[10:11], 0
.LBB143_902:
	s_and_b64 vcc, exec, s[10:11]
	s_cbranch_vccz .LBB143_911
; %bb.903:
	s_cmpk_lt_i32 s59, 0x80
	s_cbranch_scc1 .LBB143_905
; %bb.904:
	s_and_b32 s10, 0xffff, s59
	s_cmpk_lg_i32 s10, 0x80
	s_mov_b64 s[12:13], 0
	s_cselect_b64 s[10:11], -1, 0
	s_branch .LBB143_906
.LBB143_905:
	s_mov_b64 s[12:13], -1
	s_mov_b64 s[10:11], 0
.LBB143_906:
	s_andn2_b64 vcc, exec, s[12:13]
	s_cbranch_vccnz .LBB143_908
; %bb.907:
	s_and_b32 s10, 0xffff, s59
	s_cmp_lg_u32 s10, 0
	s_cselect_b64 s[10:11], -1, 0
.LBB143_908:
	s_andn2_b64 vcc, exec, s[10:11]
	v_mov_b32_e32 v0, 0
	s_cbranch_vccnz .LBB143_910
; %bb.909:
	v_mov_b32_e32 v0, v4
.LBB143_910:
	global_store_byte v[10:11], v0, off
.LBB143_911:
	s_mov_b64 s[10:11], -1
.LBB143_912:
	s_andn2_b64 vcc, exec, s[10:11]
	s_cbranch_vccnz .LBB143_914
; %bb.913:
	v_add_u32_e32 v15, 0x80, v15
	s_mov_b64 s[10:11], -1
	s_branch .LBB143_915
.LBB143_914:
	s_mov_b64 s[10:11], 0
                                        ; implicit-def: $vgpr15
.LBB143_915:
	s_andn2_b64 s[12:13], s[48:49], exec
	s_and_b64 s[8:9], s[8:9], exec
	s_or_b64 s[54:55], s[12:13], s[8:9]
	s_orn2_b64 s[10:11], s[10:11], exec
.LBB143_916:
	s_or_b64 exec, exec, s[52:53]
	s_mov_b64 s[8:9], 0
	s_mov_b64 s[12:13], 0
                                        ; implicit-def: $vgpr10_vgpr11
	s_and_saveexec_b64 s[52:53], s[10:11]
	s_cbranch_execz .LBB143_1085
; %bb.917:
	v_cmp_gt_i32_e32 vcc, s64, v15
	s_mov_b64 s[10:11], s[54:55]
                                        ; implicit-def: $vgpr10_vgpr11
	s_and_saveexec_b64 s[56:57], vcc
	s_cbranch_execz .LBB143_1084
; %bb.918:
	s_andn2_b64 vcc, exec, s[30:31]
	s_cbranch_vccnz .LBB143_923
; %bb.919:
	s_andn2_b64 vcc, exec, s[42:43]
	s_cbranch_vccnz .LBB143_924
; %bb.920:
	s_add_i32 s65, s65, 1
	s_cmp_eq_u32 s58, 2
	s_cbranch_scc1 .LBB143_925
; %bb.921:
	s_and_b32 s64, s65, 28
	s_mov_b32 s66, 0
	v_mov_b32_e32 v0, 0
	s_mov_b64 s[42:43], s[24:25]
	v_mov_b32_e32 v1, v15
.LBB143_922:                            ; =>This Inner Loop Header: Depth=1
	s_load_dwordx8 s[8:15], s[42:43], 0x4
	s_load_dwordx4 s[16:19], s[42:43], 0x24
	s_load_dwordx4 s[20:23], s[40:41], 0x0
	s_add_u32 s42, s42, 48
	s_addc_u32 s43, s43, 0
	s_waitcnt lgkmcnt(0)
	v_mul_hi_u32 v2, s9, v1
	s_add_i32 s66, s66, 4
	s_add_u32 s40, s40, 16
	s_addc_u32 s41, s41, 0
	v_add_u32_e32 v2, v1, v2
	v_lshrrev_b32_e32 v2, s10, v2
	v_mul_lo_u32 v3, v2, s8
	v_mul_hi_u32 v10, s12, v2
	s_cmp_eq_u32 s64, s66
	v_sub_u32_e32 v1, v1, v3
	v_add_u32_e32 v3, v2, v10
	v_lshrrev_b32_e32 v3, s13, v3
	v_mul_lo_u32 v10, v1, s20
	v_mul_hi_u32 v1, s15, v3
	v_mul_lo_u32 v17, v3, s11
	v_add_u32_e32 v1, v3, v1
	v_lshrrev_b32_e32 v11, s16, v1
	v_mul_hi_u32 v1, s18, v11
	v_sub_u32_e32 v2, v2, v17
	v_mul_lo_u32 v17, v11, s14
	v_mul_lo_u32 v2, v2, s21
	v_add_u32_e32 v1, v11, v1
	v_lshrrev_b32_e32 v1, s19, v1
	v_mul_lo_u32 v18, v1, s17
	v_sub_u32_e32 v3, v3, v17
	v_mul_lo_u32 v3, v3, s22
	v_add3_u32 v0, v10, v0, v2
	v_sub_u32_e32 v11, v11, v18
	v_mul_lo_u32 v11, v11, s23
	v_add3_u32 v0, v3, v0, v11
	s_cbranch_scc0 .LBB143_922
	s_branch .LBB143_926
.LBB143_923:
	s_mov_b64 s[8:9], -1
                                        ; implicit-def: $vgpr0
	s_branch .LBB143_930
.LBB143_924:
	v_mov_b32_e32 v0, 0
	s_branch .LBB143_929
.LBB143_925:
	v_mov_b32_e32 v0, 0
	s_mov_b32 s64, 0
	v_mov_b32_e32 v1, v15
.LBB143_926:
	s_and_b32 s12, s65, 3
	s_cmp_eq_u32 s12, 0
	s_cbranch_scc1 .LBB143_929
; %bb.927:
	s_lshl_b32 s8, s64, 2
	s_add_u32 s8, s24, s8
	s_addc_u32 s9, s25, 0
	s_add_u32 s8, s8, 0xc4
	s_addc_u32 s9, s9, 0
	s_mul_i32 s10, s64, 12
	s_add_u32 s10, s24, s10
	s_addc_u32 s11, s25, 0
.LBB143_928:                            ; =>This Inner Loop Header: Depth=1
	s_load_dwordx2 s[14:15], s[10:11], 0x4
	s_load_dword s13, s[10:11], 0xc
	s_add_u32 s10, s10, 12
	s_addc_u32 s11, s11, 0
	s_waitcnt lgkmcnt(0)
	v_mul_hi_u32 v2, s15, v1
	s_load_dword s15, s[8:9], 0x0
	s_add_u32 s8, s8, 4
	s_addc_u32 s9, s9, 0
	v_add_u32_e32 v2, v1, v2
	v_lshrrev_b32_e32 v2, s13, v2
	v_mul_lo_u32 v3, v2, s14
	s_add_i32 s12, s12, -1
	s_cmp_lg_u32 s12, 0
	v_sub_u32_e32 v1, v1, v3
	s_waitcnt lgkmcnt(0)
	v_mad_u64_u32 v[0:1], s[14:15], v1, s15, v[0:1]
	v_mov_b32_e32 v1, v2
	s_cbranch_scc1 .LBB143_928
.LBB143_929:
	s_mov_b64 s[8:9], 0
.LBB143_930:
	s_andn2_b64 vcc, exec, s[8:9]
	s_cbranch_vccnz .LBB143_933
; %bb.931:
	v_mul_hi_u32 v0, s1, v15
	s_andn2_b64 vcc, exec, s[38:39]
	v_add_u32_e32 v0, v15, v0
	v_lshrrev_b32_e32 v1, s2, v0
	v_mul_lo_u32 v0, v1, s0
	v_sub_u32_e32 v0, v15, v0
	v_mul_lo_u32 v0, v0, s34
	s_cbranch_vccnz .LBB143_933
; %bb.932:
	v_mul_hi_u32 v2, s36, v1
	v_add_u32_e32 v2, v1, v2
	v_lshrrev_b32_e32 v2, s37, v2
	v_mul_lo_u32 v2, v2, s3
	v_sub_u32_e32 v1, v1, v2
	v_mad_u64_u32 v[0:1], s[0:1], v1, s35, v[0:1]
.LBB143_933:
	v_mov_b32_e32 v1, s7
	s_and_b32 s10, 0xffff, s60
	v_add_co_u32_e32 v10, vcc, s6, v0
	s_cmp_lt_i32 s10, 11
	v_addc_co_u32_e32 v11, vcc, 0, v1, vcc
	s_cbranch_scc1 .LBB143_943
; %bb.934:
	s_mov_b64 s[6:7], -1
	s_cmp_gt_i32 s10, 25
	s_mov_b64 s[0:1], s[54:55]
	s_cbranch_scc0 .LBB143_1001
; %bb.935:
	s_mov_b64 s[2:3], -1
	s_cmp_gt_i32 s10, 28
	s_mov_b64 s[0:1], s[54:55]
	s_cbranch_scc0 .LBB143_977
; %bb.936:
	s_cmp_gt_i32 s10, 43
	s_mov_b64 s[0:1], s[54:55]
	s_cbranch_scc0 .LBB143_964
; %bb.937:
	;; [unrolled: 4-line block ×3, first 2 shown]
	s_cmp_eq_u32 s10, 46
	s_mov_b64 s[0:1], -1
	s_cbranch_scc0 .LBB143_950
; %bb.939:
	s_cmpk_lt_i32 s59, 0x80
	s_cbranch_scc1 .LBB143_944
; %bb.940:
	s_and_b32 s0, 0xffff, s59
	s_cmpk_eq_i32 s0, 0x80
	s_mov_b64 s[0:1], -1
	s_cbranch_scc0 .LBB143_942
; %bb.941:
	s_mov_b64 s[0:1], 0
.LBB143_942:
	s_mov_b64 s[2:3], 0
	s_branch .LBB143_945
.LBB143_943:
	s_mov_b64 s[6:7], 0
	s_mov_b64 s[2:3], -1
	s_mov_b64 s[0:1], s[54:55]
	s_branch .LBB143_1083
.LBB143_944:
	s_mov_b64 s[0:1], 0
.LBB143_945:
	s_mov_b32 s6, 0x7f800001
	s_and_b64 vcc, exec, s[2:3]
	s_cbranch_vccz .LBB143_947
; %bb.946:
	s_and_b32 s0, 0xffff, s59
	s_cmp_lg_u32 s0, 0
	s_mov_b32 s6, 0
	s_cselect_b64 s[0:1], -1, 0
.LBB143_947:
	s_andn2_b64 vcc, exec, s[0:1]
	s_cbranch_vccnz .LBB143_949
; %bb.948:
	s_mov_b32 s6, s61
.LBB143_949:
	s_bfe_u32 s0, s6, 0x10010
	s_add_i32 s0, s6, s0
	s_addk_i32 s0, 0x7fff
	s_lshr_b32 s2, s0, 16
	v_cmp_o_f32_e64 s[0:1], s6, s6
	s_and_b64 s[0:1], s[0:1], exec
	s_cselect_b32 s0, s2, 0x7fc0
	v_mov_b32_e32 v0, s0
	global_store_dword v[10:11], v0, off
	s_mov_b64 s[0:1], 0
.LBB143_950:
	s_mov_b64 s[2:3], 0
.LBB143_951:
	s_and_b64 vcc, exec, s[2:3]
	s_cbranch_vccz .LBB143_963
; %bb.952:
	s_cmp_eq_u32 s10, 44
	s_mov_b64 s[0:1], -1
	s_cbranch_scc0 .LBB143_963
; %bb.953:
	s_cmpk_lt_i32 s59, 0x80
	s_cbranch_scc1 .LBB143_957
; %bb.954:
	s_and_b32 s0, 0xffff, s59
	s_cmpk_eq_i32 s0, 0x80
	s_mov_b64 s[0:1], -1
	s_cbranch_scc0 .LBB143_956
; %bb.955:
	s_mov_b64 s[0:1], 0
.LBB143_956:
	s_mov_b64 s[2:3], 0
	s_branch .LBB143_958
.LBB143_957:
	s_mov_b64 s[2:3], -1
	s_mov_b64 s[0:1], 0
.LBB143_958:
	s_mov_b32 s6, 0x7f800001
	s_and_b64 vcc, exec, s[2:3]
	s_cbranch_vccz .LBB143_968
; %bb.959:
	s_and_b32 s6, 0xffff, s59
	s_cmp_lg_u32 s6, 0
	s_cselect_b64 s[0:1], -1, 0
	s_andn2_b64 vcc, exec, s[0:1]
	s_cbranch_vccz .LBB143_969
.LBB143_960:
	s_lshr_b32 s0, s6, 23
	s_cmpk_eq_i32 s0, 0xff
	v_mov_b32_e32 v0, 0xff
	s_cbranch_scc1 .LBB143_962
.LBB143_961:
	s_bitcmp1_b32 s6, 22
	s_cselect_b64 s[2:3], -1, 0
	s_and_b32 s1, s6, 0x3fffff
	s_or_b32 s1, s0, s1
	s_cmp_lg_u32 s1, 0
	s_cselect_b64 s[6:7], -1, 0
	s_and_b64 s[2:3], s[2:3], s[6:7]
	v_cndmask_b32_e64 v0, 0, 1, s[2:3]
	v_add_u32_e32 v0, s0, v0
.LBB143_962:
	s_mov_b64 s[0:1], 0
	global_store_byte v[10:11], v0, off
.LBB143_963:
	s_mov_b64 s[2:3], 0
.LBB143_964:
	s_and_b64 vcc, exec, s[2:3]
	s_cbranch_vccz .LBB143_976
; %bb.965:
	s_cmp_eq_u32 s10, 29
	s_mov_b64 s[0:1], -1
	s_cbranch_scc0 .LBB143_976
; %bb.966:
	s_cmpk_lt_i32 s59, 0x80
	s_cbranch_scc1 .LBB143_970
; %bb.967:
	s_and_b32 s0, 0xffff, s59
	s_cmpk_lg_i32 s0, 0x80
	s_mov_b64 s[2:3], 0
	s_cselect_b64 s[0:1], -1, 0
	s_branch .LBB143_971
.LBB143_968:
	s_andn2_b64 vcc, exec, s[0:1]
	s_cbranch_vccnz .LBB143_960
.LBB143_969:
	s_mov_b32 s6, s63
	s_lshr_b32 s0, s6, 23
	s_cmpk_eq_i32 s0, 0xff
	v_mov_b32_e32 v0, 0xff
	s_cbranch_scc0 .LBB143_961
	s_branch .LBB143_962
.LBB143_970:
	s_mov_b64 s[2:3], -1
	s_mov_b64 s[0:1], 0
.LBB143_971:
	s_andn2_b64 vcc, exec, s[2:3]
	s_cbranch_vccnz .LBB143_973
; %bb.972:
	s_and_b32 s0, 0xffff, s59
	s_cmp_lg_u32 s0, 0
	s_cselect_b64 s[0:1], -1, 0
.LBB143_973:
	v_mov_b32_e32 v0, 0
	s_andn2_b64 vcc, exec, s[0:1]
	v_mov_b32_e32 v1, 0
	s_cbranch_vccnz .LBB143_975
; %bb.974:
	v_mov_b32_e32 v0, v8
	v_mov_b32_e32 v1, v9
.LBB143_975:
	s_mov_b64 s[0:1], 0
	global_store_dwordx2 v[10:11], v[0:1], off
.LBB143_976:
	s_mov_b64 s[2:3], 0
.LBB143_977:
	s_and_b64 vcc, exec, s[2:3]
	s_cbranch_vccz .LBB143_1000
; %bb.978:
	s_cmp_lt_i32 s10, 27
	s_mov_b64 s[2:3], -1
	s_cbranch_scc1 .LBB143_998
; %bb.979:
	s_cmp_gt_i32 s10, 27
	s_cbranch_scc0 .LBB143_988
; %bb.980:
	s_cmpk_lt_i32 s59, 0x80
	s_cbranch_scc1 .LBB143_982
; %bb.981:
	s_and_b32 s2, 0xffff, s59
	s_cmpk_lg_i32 s2, 0x80
	s_mov_b64 s[6:7], 0
	s_cselect_b64 s[2:3], -1, 0
	s_branch .LBB143_983
.LBB143_982:
	s_mov_b64 s[6:7], -1
	s_mov_b64 s[2:3], 0
.LBB143_983:
	s_andn2_b64 vcc, exec, s[6:7]
	s_cbranch_vccnz .LBB143_985
; %bb.984:
	s_and_b32 s2, 0xffff, s59
	s_cmp_lg_u32 s2, 0
	s_cselect_b64 s[2:3], -1, 0
.LBB143_985:
	s_andn2_b64 vcc, exec, s[2:3]
	v_mov_b32_e32 v0, 0
	s_cbranch_vccnz .LBB143_987
; %bb.986:
	v_mov_b32_e32 v0, v16
.LBB143_987:
	global_store_dword v[10:11], v0, off
	s_mov_b64 s[2:3], 0
.LBB143_988:
	s_and_b64 vcc, exec, s[2:3]
	s_cbranch_vccz .LBB143_997
; %bb.989:
	s_cmpk_lt_i32 s59, 0x80
	s_cbranch_scc1 .LBB143_991
; %bb.990:
	s_and_b32 s2, 0xffff, s59
	s_cmpk_lg_i32 s2, 0x80
	s_mov_b64 s[6:7], 0
	s_cselect_b64 s[2:3], -1, 0
	s_branch .LBB143_992
.LBB143_991:
	s_mov_b64 s[6:7], -1
	s_mov_b64 s[2:3], 0
.LBB143_992:
	s_andn2_b64 vcc, exec, s[6:7]
	s_cbranch_vccnz .LBB143_994
; %bb.993:
	s_and_b32 s2, 0xffff, s59
	s_cmp_lg_u32 s2, 0
	s_cselect_b64 s[2:3], -1, 0
.LBB143_994:
	s_andn2_b64 vcc, exec, s[2:3]
	v_mov_b32_e32 v0, 0
	s_cbranch_vccnz .LBB143_996
; %bb.995:
	v_mov_b32_e32 v0, v16
.LBB143_996:
	global_store_short v[10:11], v0, off
.LBB143_997:
	s_mov_b64 s[2:3], 0
.LBB143_998:
	s_andn2_b64 vcc, exec, s[2:3]
	s_cbranch_vccnz .LBB143_1000
; %bb.999:
	v_mov_b32_e32 v0, s62
	global_store_byte v[10:11], v0, off
.LBB143_1000:
	s_mov_b64 s[6:7], 0
.LBB143_1001:
	s_mov_b64 s[2:3], 0
	s_and_b64 vcc, exec, s[6:7]
	s_cbranch_vccz .LBB143_1009
; %bb.1002:
	s_cmp_gt_i32 s10, 22
	s_mov_b64 s[6:7], -1
	s_cbranch_scc0 .LBB143_1068
; %bb.1003:
	s_cmp_lt_i32 s10, 24
	s_cbranch_scc1 .LBB143_1046
; %bb.1004:
	s_cmp_gt_i32 s10, 24
	s_cbranch_scc0 .LBB143_1024
; %bb.1005:
	s_cmpk_lt_i32 s59, 0x80
	s_cbranch_scc1 .LBB143_1010
; %bb.1006:
	s_and_b32 s6, 0xffff, s59
	s_cmpk_eq_i32 s6, 0x80
	s_mov_b64 s[6:7], -1
	s_cbranch_scc0 .LBB143_1008
; %bb.1007:
	s_mov_b64 s[6:7], 0
.LBB143_1008:
	s_mov_b64 s[8:9], 0
	s_branch .LBB143_1011
.LBB143_1009:
	s_mov_b64 s[6:7], 0
	s_branch .LBB143_1083
.LBB143_1010:
	s_mov_b64 s[8:9], -1
	s_mov_b64 s[6:7], 0
.LBB143_1011:
	s_mov_b32 s11, 0x7f800001
	s_and_b64 vcc, exec, s[8:9]
	s_cbranch_vccz .LBB143_1014
; %bb.1012:
	s_and_b32 s6, 0xffff, s59
	s_cmp_lg_u32 s6, 0
	s_mov_b32 s11, 0
	s_cselect_b64 s[6:7], -1, 0
	s_andn2_b64 vcc, exec, s[6:7]
	s_cbranch_vccz .LBB143_1015
.LBB143_1013:
	s_and_b32 s6, s11, 0x7fffffff
	s_cmp_gt_u32 s6, 0x477fffff
	v_mov_b32_e32 v1, 0x80
	s_cbranch_scc0 .LBB143_1016
	s_branch .LBB143_1023
.LBB143_1014:
	s_andn2_b64 vcc, exec, s[6:7]
	s_cbranch_vccnz .LBB143_1013
.LBB143_1015:
	s_mov_b32 s11, s61
	s_and_b32 s6, s11, 0x7fffffff
	s_cmp_gt_u32 s6, 0x477fffff
	v_mov_b32_e32 v1, 0x80
	s_cbranch_scc1 .LBB143_1023
.LBB143_1016:
	s_cmp_lt_u32 s6, 0x38000000
	s_cbranch_scc1 .LBB143_1018
; %bb.1017:
	s_bfe_u32 s6, s11, 0x10015
	s_add_i32 s6, s11, s6
	s_add_i32 s6, s6, 0x88fffff
	s_lshr_b32 s12, s6, 21
	s_mov_b64 s[8:9], 0
	s_mov_b64 s[6:7], -1
	s_branch .LBB143_1019
.LBB143_1018:
	s_mov_b64 s[8:9], -1
	s_mov_b64 s[6:7], 0
                                        ; implicit-def: $sgpr12
.LBB143_1019:
	s_andn2_b64 vcc, exec, s[8:9]
	v_mov_b32_e32 v0, s12
	s_cbranch_vccnz .LBB143_1021
; %bb.1020:
	v_mov_b32_e32 v0, 0x42800000
	v_add_f32_e64 v0, |s11|, v0
	v_and_b32_e32 v0, 0xff, v0
	v_cmp_ne_u32_e64 s[6:7], 0, v0
.LBB143_1021:
	s_andn2_b64 vcc, exec, s[6:7]
	v_mov_b32_e32 v1, 0
	s_cbranch_vccnz .LBB143_1023
; %bb.1022:
	s_lshr_b32 s6, s11, 24
	s_and_b32 s6, s6, 0x80
	v_or_b32_e32 v1, s6, v0
.LBB143_1023:
	global_store_byte v[10:11], v1, off
	s_mov_b64 s[6:7], 0
.LBB143_1024:
	s_and_b64 vcc, exec, s[6:7]
	s_cbranch_vccz .LBB143_1045
; %bb.1025:
	s_cmpk_lt_i32 s59, 0x80
	s_cbranch_scc1 .LBB143_1029
; %bb.1026:
	s_and_b32 s6, 0xffff, s59
	s_cmpk_eq_i32 s6, 0x80
	s_mov_b64 s[6:7], -1
	s_cbranch_scc0 .LBB143_1028
; %bb.1027:
	s_mov_b64 s[6:7], 0
.LBB143_1028:
	s_mov_b64 s[8:9], 0
	s_branch .LBB143_1030
.LBB143_1029:
	s_mov_b64 s[8:9], -1
	s_mov_b64 s[6:7], 0
.LBB143_1030:
	s_mov_b32 s11, 0x7f800001
	s_and_b64 vcc, exec, s[8:9]
	s_cbranch_vccz .LBB143_1035
; %bb.1031:
	s_and_b32 s6, 0xffff, s59
	s_cmp_lg_u32 s6, 0
	s_mov_b32 s11, 0
	s_cselect_b64 s[6:7], -1, 0
	s_andn2_b64 vcc, exec, s[6:7]
	s_cbranch_vccz .LBB143_1036
.LBB143_1032:
	s_and_b32 s8, s11, 0x7fffffff
	s_cmp_gt_u32 s8, 0x43efffff
	s_cbranch_scc1 .LBB143_1037
.LBB143_1033:
	s_cmp_lt_u32 s8, 0x3c800000
	s_cbranch_scc1 .LBB143_1038
; %bb.1034:
	s_bfe_u32 s6, s11, 0x10014
	s_add_i32 s6, s11, s6
	s_add_i32 s6, s6, 0x407ffff
	s_lshr_b32 s7, s6, 20
	s_and_b32 s6, s6, 0xff00000
	s_cmp_lg_u32 s6, 0x7f00000
	s_cselect_b32 s9, s7, 0x7e
	s_mov_b64 s[6:7], 0
	s_branch .LBB143_1039
.LBB143_1035:
	s_andn2_b64 vcc, exec, s[6:7]
	s_cbranch_vccnz .LBB143_1032
.LBB143_1036:
	s_mov_b32 s11, s61
	s_and_b32 s8, s11, 0x7fffffff
	s_cmp_gt_u32 s8, 0x43efffff
	s_cbranch_scc0 .LBB143_1033
.LBB143_1037:
	s_mov_b64 s[6:7], -1
                                        ; implicit-def: $vgpr0
	s_branch .LBB143_1042
.LBB143_1038:
	s_mov_b64 s[6:7], -1
                                        ; implicit-def: $sgpr9
.LBB143_1039:
	s_andn2_b64 vcc, exec, s[6:7]
	v_mov_b32_e32 v0, s9
	s_cbranch_vccnz .LBB143_1041
; %bb.1040:
	v_mov_b32_e32 v0, 0x46800000
	v_add_f32_e64 v0, |s11|, v0
.LBB143_1041:
	s_mov_b64 s[6:7], 0
.LBB143_1042:
	s_andn2_b64 vcc, exec, s[6:7]
	s_cbranch_vccnz .LBB143_1044
; %bb.1043:
	s_cmp_gt_u32 s8, 0x7f800000
	s_movk_i32 s6, 0x7f
	s_cselect_b32 s6, s6, 0x7e
	v_mov_b32_e32 v0, s6
.LBB143_1044:
	s_lshr_b32 s6, s11, 24
	s_and_b32 s6, s6, 0x80
	v_or_b32_e32 v0, s6, v0
	global_store_byte v[10:11], v0, off
.LBB143_1045:
	s_mov_b64 s[6:7], 0
.LBB143_1046:
	s_andn2_b64 vcc, exec, s[6:7]
	s_cbranch_vccnz .LBB143_1067
; %bb.1047:
	s_cmpk_lt_i32 s59, 0x80
	s_cbranch_scc1 .LBB143_1051
; %bb.1048:
	s_and_b32 s6, 0xffff, s59
	s_cmpk_eq_i32 s6, 0x80
	s_mov_b64 s[6:7], -1
	s_cbranch_scc0 .LBB143_1050
; %bb.1049:
	s_mov_b64 s[6:7], 0
.LBB143_1050:
	s_mov_b64 s[8:9], 0
	s_branch .LBB143_1052
.LBB143_1051:
	s_mov_b64 s[8:9], -1
	s_mov_b64 s[6:7], 0
.LBB143_1052:
	s_mov_b32 s11, 0x7f800001
	s_and_b64 vcc, exec, s[8:9]
	s_cbranch_vccz .LBB143_1057
; %bb.1053:
	s_and_b32 s6, 0xffff, s59
	s_cmp_lg_u32 s6, 0
	s_mov_b32 s11, 0
	s_cselect_b64 s[6:7], -1, 0
	s_andn2_b64 vcc, exec, s[6:7]
	s_cbranch_vccz .LBB143_1058
.LBB143_1054:
	s_and_b32 s8, s11, 0x7fffffff
	s_cmp_gt_u32 s8, 0x477fffff
	s_cbranch_scc1 .LBB143_1059
.LBB143_1055:
	s_cmp_lt_u32 s8, 0x38800000
	s_cbranch_scc1 .LBB143_1060
; %bb.1056:
	s_bfe_u32 s6, s11, 0x10015
	s_add_i32 s6, s11, s6
	s_add_i32 s6, s6, 0x80fffff
	s_lshr_b32 s9, s6, 21
	s_mov_b64 s[6:7], 0
	s_branch .LBB143_1061
.LBB143_1057:
	s_andn2_b64 vcc, exec, s[6:7]
	s_cbranch_vccnz .LBB143_1054
.LBB143_1058:
	s_mov_b32 s11, s61
	s_and_b32 s8, s11, 0x7fffffff
	s_cmp_gt_u32 s8, 0x477fffff
	s_cbranch_scc0 .LBB143_1055
.LBB143_1059:
	s_mov_b64 s[6:7], -1
                                        ; implicit-def: $vgpr0
	s_branch .LBB143_1064
.LBB143_1060:
	s_mov_b64 s[6:7], -1
                                        ; implicit-def: $sgpr9
.LBB143_1061:
	s_andn2_b64 vcc, exec, s[6:7]
	v_mov_b32_e32 v0, s9
	s_cbranch_vccnz .LBB143_1063
; %bb.1062:
	v_mov_b32_e32 v0, 0x43000000
	v_add_f32_e64 v0, |s11|, v0
.LBB143_1063:
	s_mov_b64 s[6:7], 0
.LBB143_1064:
	s_andn2_b64 vcc, exec, s[6:7]
	s_cbranch_vccnz .LBB143_1066
; %bb.1065:
	s_cmp_gt_u32 s8, 0x7f800000
	s_movk_i32 s6, 0x7f
	s_cselect_b32 s6, s6, 0x7c
	v_mov_b32_e32 v0, s6
.LBB143_1066:
	s_lshr_b32 s6, s11, 24
	s_and_b32 s6, s6, 0x80
	v_or_b32_e32 v0, s6, v0
	global_store_byte v[10:11], v0, off
.LBB143_1067:
	s_mov_b64 s[6:7], 0
.LBB143_1068:
	s_andn2_b64 vcc, exec, s[6:7]
	s_mov_b64 s[6:7], 0
	s_cbranch_vccnz .LBB143_1083
; %bb.1069:
	s_cmp_gt_i32 s10, 14
	s_mov_b64 s[8:9], -1
	s_cbranch_scc0 .LBB143_1081
; %bb.1070:
	s_cmp_eq_u32 s10, 15
	s_mov_b64 s[0:1], -1
	s_cbranch_scc0 .LBB143_1080
; %bb.1071:
	s_cmpk_lt_i32 s59, 0x80
	s_cbranch_scc1 .LBB143_1076
; %bb.1072:
	s_and_b32 s0, 0xffff, s59
	s_cmpk_eq_i32 s0, 0x80
	s_mov_b64 s[0:1], -1
	s_cbranch_scc0 .LBB143_1074
; %bb.1073:
	s_mov_b64 s[0:1], 0
	s_mov_b32 s8, 0x7f800001
	s_and_b64 vcc, exec, s[6:7]
	s_cbranch_vccz .LBB143_1077
	s_branch .LBB143_1075
.LBB143_1074:
	s_mov_b32 s8, 0x7f800001
	s_and_b64 vcc, exec, s[6:7]
	s_cbranch_vccz .LBB143_1077
.LBB143_1075:
	s_and_b32 s0, 0xffff, s59
	s_cmp_lg_u32 s0, 0
	s_mov_b32 s8, 0
	s_cselect_b64 s[0:1], -1, 0
	s_andn2_b64 vcc, exec, s[0:1]
	s_cbranch_vccz .LBB143_1078
	s_branch .LBB143_1079
.LBB143_1076:
	s_mov_b64 s[0:1], 0
	s_mov_b32 s8, 0x7f800001
	s_cbranch_execnz .LBB143_1075
.LBB143_1077:
	s_andn2_b64 vcc, exec, s[0:1]
	s_cbranch_vccnz .LBB143_1079
.LBB143_1078:
	s_mov_b32 s8, s61
.LBB143_1079:
	s_bfe_u32 s0, s8, 0x10010
	s_add_i32 s0, s8, s0
	s_addk_i32 s0, 0x7fff
	s_lshr_b32 s6, s0, 16
	v_cmp_o_f32_e64 s[0:1], s8, s8
	s_and_b64 s[0:1], s[0:1], exec
	s_cselect_b32 s0, s6, 0x7fc0
	v_mov_b32_e32 v0, s0
	global_store_short v[10:11], v0, off
	s_mov_b64 s[0:1], 0
.LBB143_1080:
	s_mov_b64 s[8:9], 0
.LBB143_1081:
	s_mov_b64 s[6:7], 0
	s_and_b64 vcc, exec, s[8:9]
	s_cbranch_vccz .LBB143_1083
; %bb.1082:
	s_cmp_lg_u32 s10, 11
	s_cselect_b64 s[8:9], -1, 0
	s_andn2_b64 s[0:1], s[0:1], exec
	s_and_b64 s[8:9], s[8:9], exec
	s_mov_b64 s[6:7], -1
	s_or_b64 s[0:1], s[0:1], s[8:9]
.LBB143_1083:
	s_and_b64 s[12:13], s[2:3], exec
	s_andn2_b64 s[2:3], s[54:55], exec
	s_and_b64 s[0:1], s[0:1], exec
	s_and_b64 s[8:9], s[6:7], exec
	s_or_b64 s[10:11], s[2:3], s[0:1]
.LBB143_1084:
	s_or_b64 exec, exec, s[56:57]
	s_andn2_b64 s[0:1], s[54:55], exec
	s_and_b64 s[2:3], s[10:11], exec
	s_and_b64 s[12:13], s[12:13], exec
	;; [unrolled: 1-line block ×3, first 2 shown]
	s_or_b64 s[54:55], s[0:1], s[2:3]
.LBB143_1085:
	s_or_b64 exec, exec, s[52:53]
	s_andn2_b64 s[0:1], s[48:49], exec
	s_and_b64 s[2:3], s[54:55], exec
	s_and_b64 s[12:13], s[12:13], exec
	;; [unrolled: 1-line block ×3, first 2 shown]
	s_or_b64 s[48:49], s[0:1], s[2:3]
.LBB143_1086:
	s_or_b64 exec, exec, s[50:51]
	s_andn2_b64 s[0:1], s[44:45], exec
	s_and_b64 s[2:3], s[48:49], exec
	s_and_b64 s[8:9], s[12:13], exec
	s_and_b64 s[50:51], s[10:11], exec
	s_or_b64 s[44:45], s[0:1], s[2:3]
	s_or_b64 exec, exec, s[46:47]
	s_mov_b64 s[0:1], 0
	s_and_saveexec_b64 s[2:3], s[44:45]
	s_cbranch_execz .LBB143_311
.LBB143_1087:
	s_mov_b64 s[0:1], exec
	s_andn2_b64 s[50:51], s[50:51], exec
	s_trap 2
	s_or_b64 exec, exec, s[2:3]
	s_and_saveexec_b64 s[2:3], s[50:51]
	s_xor_b64 s[2:3], exec, s[2:3]
	s_cbranch_execnz .LBB143_312
.LBB143_1088:
	s_or_b64 exec, exec, s[2:3]
	s_and_saveexec_b64 s[2:3], s[8:9]
	s_xor_b64 s[2:3], exec, s[2:3]
	s_cbranch_execz .LBB143_1217
.LBB143_1089:
	s_sext_i32_i16 s8, s60
	s_cmp_lt_i32 s8, 5
	s_mov_b64 s[6:7], -1
	s_cbranch_scc1 .LBB143_1166
; %bb.1090:
	s_cmp_lt_i32 s8, 8
	s_cbranch_scc1 .LBB143_1128
; %bb.1091:
	s_cmp_lt_i32 s8, 9
	s_cbranch_scc1 .LBB143_1116
; %bb.1092:
	s_cmp_gt_i32 s8, 9
	s_cbranch_scc0 .LBB143_1104
; %bb.1093:
	s_cmpk_lt_i32 s59, 0x80
	s_cbranch_scc1 .LBB143_1097
; %bb.1094:
	s_and_b32 s6, 0xffff, s59
	s_cmpk_eq_i32 s6, 0x80
	s_mov_b64 s[6:7], -1
	s_cbranch_scc0 .LBB143_1096
; %bb.1095:
	s_mov_b64 s[6:7], 0
.LBB143_1096:
	s_mov_b64 s[8:9], 0
	s_branch .LBB143_1098
.LBB143_1097:
	s_mov_b64 s[8:9], -1
	s_mov_b64 s[6:7], 0
.LBB143_1098:
	s_and_b64 vcc, exec, s[8:9]
	s_cbranch_vccz .LBB143_1100
; %bb.1099:
	s_and_b32 s6, 0xffff, s59
	s_cmp_lg_u32 s6, 0
	s_mov_b64 s[8:9], 0
	s_cselect_b64 s[6:7], -1, 0
	s_branch .LBB143_1101
.LBB143_1100:
	s_mov_b32 s9, 0x7ff80000
	s_brev_b32 s8, 4
.LBB143_1101:
	v_mov_b32_e32 v0, s8
	s_andn2_b64 vcc, exec, s[6:7]
	v_mov_b32_e32 v1, s9
	s_cbranch_vccnz .LBB143_1103
; %bb.1102:
	v_mov_b32_e32 v0, v6
	v_mov_b32_e32 v1, v7
.LBB143_1103:
	v_mov_b32_e32 v2, 0
	v_mov_b32_e32 v3, v2
	global_store_dwordx4 v[10:11], v[0:3], off
	s_mov_b64 s[6:7], 0
.LBB143_1104:
	s_and_b64 vcc, exec, s[6:7]
	s_cbranch_vccz .LBB143_1115
; %bb.1105:
	s_cmpk_lt_i32 s59, 0x80
	s_cbranch_scc1 .LBB143_1109
; %bb.1106:
	s_and_b32 s6, 0xffff, s59
	s_cmpk_eq_i32 s6, 0x80
	s_mov_b64 s[6:7], -1
	s_cbranch_scc0 .LBB143_1108
; %bb.1107:
	s_mov_b64 s[6:7], 0
.LBB143_1108:
	s_mov_b64 s[8:9], 0
	s_branch .LBB143_1110
.LBB143_1109:
	s_mov_b64 s[8:9], -1
	s_mov_b64 s[6:7], 0
.LBB143_1110:
	s_mov_b32 s10, 0x7f800001
	s_and_b64 vcc, exec, s[8:9]
	s_cbranch_vccz .LBB143_1112
; %bb.1111:
	s_and_b32 s10, 0xffff, s59
	s_cmp_lg_u32 s10, 0
	s_cselect_b64 s[6:7], -1, 0
.LBB143_1112:
	s_andn2_b64 vcc, exec, s[6:7]
	s_cbranch_vccnz .LBB143_1114
; %bb.1113:
	s_mov_b32 s10, s61
.LBB143_1114:
	v_mov_b32_e32 v0, s10
	v_mov_b32_e32 v1, 0
	global_store_dwordx2 v[10:11], v[0:1], off
.LBB143_1115:
	s_mov_b64 s[6:7], 0
.LBB143_1116:
	s_andn2_b64 vcc, exec, s[6:7]
	s_cbranch_vccnz .LBB143_1127
; %bb.1117:
	s_cmpk_lt_i32 s59, 0x80
	s_cbranch_scc1 .LBB143_1121
; %bb.1118:
	s_and_b32 s6, 0xffff, s59
	s_cmpk_eq_i32 s6, 0x80
	s_mov_b64 s[6:7], -1
	s_cbranch_scc0 .LBB143_1120
; %bb.1119:
	s_mov_b64 s[6:7], 0
.LBB143_1120:
	s_mov_b64 s[8:9], 0
	s_branch .LBB143_1122
.LBB143_1121:
	s_mov_b64 s[8:9], -1
	s_mov_b64 s[6:7], 0
.LBB143_1122:
	s_movk_i32 s10, 0x7e00
	s_and_b64 vcc, exec, s[8:9]
	s_cbranch_vccz .LBB143_1124
; %bb.1123:
	s_and_b32 s10, 0xffff, s59
	s_cmp_lg_u32 s10, 0
	s_cselect_b64 s[6:7], -1, 0
.LBB143_1124:
	s_andn2_b64 vcc, exec, s[6:7]
	v_mov_b32_e32 v0, s10
	s_cbranch_vccnz .LBB143_1126
; %bb.1125:
	v_mov_b32_e32 v0, v13
.LBB143_1126:
	global_store_dword v[10:11], v0, off
.LBB143_1127:
	s_mov_b64 s[6:7], 0
.LBB143_1128:
	s_andn2_b64 vcc, exec, s[6:7]
	s_cbranch_vccnz .LBB143_1165
; %bb.1129:
	s_sext_i32_i16 s8, s60
	s_cmp_lt_i32 s8, 6
	s_mov_b64 s[6:7], -1
	s_cbranch_scc1 .LBB143_1154
; %bb.1130:
	s_cmp_gt_i32 s8, 6
	s_cbranch_scc0 .LBB143_1142
; %bb.1131:
	s_cmpk_lt_i32 s59, 0x80
	s_cbranch_scc1 .LBB143_1135
; %bb.1132:
	s_and_b32 s6, 0xffff, s59
	s_cmpk_eq_i32 s6, 0x80
	s_mov_b64 s[6:7], -1
	s_cbranch_scc0 .LBB143_1134
; %bb.1133:
	s_mov_b64 s[6:7], 0
.LBB143_1134:
	s_mov_b64 s[8:9], 0
	s_branch .LBB143_1136
.LBB143_1135:
	s_mov_b64 s[8:9], -1
	s_mov_b64 s[6:7], 0
.LBB143_1136:
	s_and_b64 vcc, exec, s[8:9]
	s_cbranch_vccz .LBB143_1138
; %bb.1137:
	s_and_b32 s6, 0xffff, s59
	s_cmp_lg_u32 s6, 0
	s_mov_b64 s[8:9], 0
	s_cselect_b64 s[6:7], -1, 0
	s_branch .LBB143_1139
.LBB143_1138:
	s_mov_b32 s9, 0x7ff80000
	s_brev_b32 s8, 4
.LBB143_1139:
	v_mov_b32_e32 v0, s8
	s_andn2_b64 vcc, exec, s[6:7]
	v_mov_b32_e32 v1, s9
	s_cbranch_vccnz .LBB143_1141
; %bb.1140:
	v_mov_b32_e32 v0, v6
	v_mov_b32_e32 v1, v7
.LBB143_1141:
	global_store_dwordx2 v[10:11], v[0:1], off
	s_mov_b64 s[6:7], 0
.LBB143_1142:
	s_and_b64 vcc, exec, s[6:7]
	s_cbranch_vccz .LBB143_1153
; %bb.1143:
	s_cmpk_lt_i32 s59, 0x80
	s_cbranch_scc1 .LBB143_1147
; %bb.1144:
	s_and_b32 s6, 0xffff, s59
	s_cmpk_eq_i32 s6, 0x80
	s_mov_b64 s[6:7], -1
	s_cbranch_scc0 .LBB143_1146
; %bb.1145:
	s_mov_b64 s[6:7], 0
.LBB143_1146:
	s_mov_b64 s[8:9], 0
	s_branch .LBB143_1148
.LBB143_1147:
	s_mov_b64 s[8:9], -1
	s_mov_b64 s[6:7], 0
.LBB143_1148:
	s_mov_b32 s10, 0x7f800001
	s_and_b64 vcc, exec, s[8:9]
	s_cbranch_vccz .LBB143_1150
; %bb.1149:
	s_and_b32 s6, 0xffff, s59
	s_cmp_lg_u32 s6, 0
	s_mov_b32 s10, 0
	s_cselect_b64 s[6:7], -1, 0
.LBB143_1150:
	s_andn2_b64 vcc, exec, s[6:7]
	s_cbranch_vccnz .LBB143_1152
; %bb.1151:
	s_mov_b32 s10, s61
.LBB143_1152:
	v_mov_b32_e32 v0, s10
	global_store_dword v[10:11], v0, off
.LBB143_1153:
	s_mov_b64 s[6:7], 0
.LBB143_1154:
	s_andn2_b64 vcc, exec, s[6:7]
	s_cbranch_vccnz .LBB143_1165
; %bb.1155:
	s_cmpk_lt_i32 s59, 0x80
	s_cbranch_scc1 .LBB143_1159
; %bb.1156:
	s_and_b32 s6, 0xffff, s59
	s_cmpk_eq_i32 s6, 0x80
	s_mov_b64 s[6:7], -1
	s_cbranch_scc0 .LBB143_1158
; %bb.1157:
	s_mov_b64 s[6:7], 0
.LBB143_1158:
	s_mov_b64 s[8:9], 0
	s_branch .LBB143_1160
.LBB143_1159:
	s_mov_b64 s[8:9], -1
	s_mov_b64 s[6:7], 0
.LBB143_1160:
	s_movk_i32 s10, 0x7e00
	s_and_b64 vcc, exec, s[8:9]
	s_cbranch_vccz .LBB143_1162
; %bb.1161:
	s_and_b32 s6, 0xffff, s59
	s_cmp_lg_u32 s6, 0
	s_cselect_b64 s[6:7], -1, 0
	s_mov_b32 s10, s59
.LBB143_1162:
	s_andn2_b64 vcc, exec, s[6:7]
	v_mov_b32_e32 v0, s10
	s_cbranch_vccnz .LBB143_1164
; %bb.1163:
	v_mov_b32_e32 v0, v13
.LBB143_1164:
	global_store_short v[10:11], v0, off
.LBB143_1165:
	s_mov_b64 s[6:7], 0
.LBB143_1166:
	s_andn2_b64 vcc, exec, s[6:7]
	s_cbranch_vccnz .LBB143_1217
; %bb.1167:
	s_sext_i32_i16 s8, s60
	s_cmp_lt_i32 s8, 2
	s_mov_b64 s[6:7], -1
	s_cbranch_scc1 .LBB143_1198
; %bb.1168:
	s_cmp_lt_i32 s8, 3
	s_cbranch_scc1 .LBB143_1188
; %bb.1169:
	s_cmp_gt_i32 s8, 3
	s_cbranch_scc0 .LBB143_1178
; %bb.1170:
	s_cmpk_lt_i32 s59, 0x80
	s_cbranch_scc1 .LBB143_1172
; %bb.1171:
	s_and_b32 s6, 0xffff, s59
	s_cmpk_lg_i32 s6, 0x80
	s_mov_b64 s[8:9], 0
	s_cselect_b64 s[6:7], -1, 0
	s_branch .LBB143_1173
.LBB143_1172:
	s_mov_b64 s[8:9], -1
	s_mov_b64 s[6:7], 0
.LBB143_1173:
	s_andn2_b64 vcc, exec, s[8:9]
	s_cbranch_vccnz .LBB143_1175
; %bb.1174:
	s_and_b32 s6, 0xffff, s59
	s_cmp_lg_u32 s6, 0
	s_cselect_b64 s[6:7], -1, 0
.LBB143_1175:
	v_mov_b32_e32 v0, 0
	s_andn2_b64 vcc, exec, s[6:7]
	v_mov_b32_e32 v1, 0
	s_cbranch_vccnz .LBB143_1177
; %bb.1176:
	v_mov_b32_e32 v0, v4
	v_mov_b32_e32 v1, v5
.LBB143_1177:
	global_store_dwordx2 v[10:11], v[0:1], off
	s_mov_b64 s[6:7], 0
.LBB143_1178:
	s_and_b64 vcc, exec, s[6:7]
	s_cbranch_vccz .LBB143_1187
; %bb.1179:
	s_cmpk_lt_i32 s59, 0x80
	s_cbranch_scc1 .LBB143_1181
; %bb.1180:
	s_and_b32 s6, 0xffff, s59
	s_cmpk_lg_i32 s6, 0x80
	s_mov_b64 s[8:9], 0
	s_cselect_b64 s[6:7], -1, 0
	s_branch .LBB143_1182
.LBB143_1181:
	s_mov_b64 s[8:9], -1
	s_mov_b64 s[6:7], 0
.LBB143_1182:
	s_andn2_b64 vcc, exec, s[8:9]
	s_cbranch_vccnz .LBB143_1184
; %bb.1183:
	s_and_b32 s6, 0xffff, s59
	s_cmp_lg_u32 s6, 0
	s_cselect_b64 s[6:7], -1, 0
.LBB143_1184:
	s_andn2_b64 vcc, exec, s[6:7]
	v_mov_b32_e32 v0, 0
	s_cbranch_vccnz .LBB143_1186
; %bb.1185:
	v_mov_b32_e32 v0, v12
.LBB143_1186:
	global_store_dword v[10:11], v0, off
.LBB143_1187:
	s_mov_b64 s[6:7], 0
.LBB143_1188:
	s_andn2_b64 vcc, exec, s[6:7]
	s_cbranch_vccnz .LBB143_1197
; %bb.1189:
	s_cmpk_lt_i32 s59, 0x80
	s_cbranch_scc1 .LBB143_1191
; %bb.1190:
	s_and_b32 s6, 0xffff, s59
	s_cmpk_lg_i32 s6, 0x80
	s_mov_b64 s[8:9], 0
	s_cselect_b64 s[6:7], -1, 0
	s_branch .LBB143_1192
.LBB143_1191:
	s_mov_b64 s[8:9], -1
	s_mov_b64 s[6:7], 0
.LBB143_1192:
	s_andn2_b64 vcc, exec, s[8:9]
	s_cbranch_vccnz .LBB143_1194
; %bb.1193:
	s_and_b32 s6, 0xffff, s59
	s_cmp_lg_u32 s6, 0
	s_cselect_b64 s[6:7], -1, 0
.LBB143_1194:
	s_andn2_b64 vcc, exec, s[6:7]
	v_mov_b32_e32 v0, 0
	s_cbranch_vccnz .LBB143_1196
; %bb.1195:
	v_mov_b32_e32 v0, v12
.LBB143_1196:
	global_store_short v[10:11], v0, off
.LBB143_1197:
	s_mov_b64 s[6:7], 0
.LBB143_1198:
	s_andn2_b64 vcc, exec, s[6:7]
	s_cbranch_vccnz .LBB143_1217
; %bb.1199:
	s_sext_i32_i16 s6, s60
	s_cmp_gt_i32 s6, 0
	s_mov_b64 s[6:7], -1
	s_cbranch_scc0 .LBB143_1208
; %bb.1200:
	s_cmpk_lt_i32 s59, 0x80
	s_cbranch_scc1 .LBB143_1202
; %bb.1201:
	s_and_b32 s6, 0xffff, s59
	s_cmpk_lg_i32 s6, 0x80
	s_mov_b64 s[8:9], 0
	s_cselect_b64 s[6:7], -1, 0
	s_branch .LBB143_1203
.LBB143_1202:
	s_mov_b64 s[8:9], -1
	s_mov_b64 s[6:7], 0
.LBB143_1203:
	s_andn2_b64 vcc, exec, s[8:9]
	s_cbranch_vccnz .LBB143_1205
; %bb.1204:
	s_and_b32 s6, 0xffff, s59
	s_cmp_lg_u32 s6, 0
	s_cselect_b64 s[6:7], -1, 0
.LBB143_1205:
	s_andn2_b64 vcc, exec, s[6:7]
	v_mov_b32_e32 v0, 0
	s_cbranch_vccnz .LBB143_1207
; %bb.1206:
	v_mov_b32_e32 v0, v12
.LBB143_1207:
	global_store_byte v[10:11], v0, off
	s_mov_b64 s[6:7], 0
.LBB143_1208:
	s_and_b64 vcc, exec, s[6:7]
	s_cbranch_vccz .LBB143_1217
; %bb.1209:
	s_cmpk_lt_i32 s59, 0x80
	s_cbranch_scc1 .LBB143_1211
; %bb.1210:
	s_and_b32 s6, 0xffff, s59
	s_cmpk_lg_i32 s6, 0x80
	s_mov_b64 s[8:9], 0
	s_cselect_b64 s[6:7], -1, 0
	s_branch .LBB143_1212
.LBB143_1211:
	s_mov_b64 s[8:9], -1
	s_mov_b64 s[6:7], 0
.LBB143_1212:
	s_andn2_b64 vcc, exec, s[8:9]
	s_cbranch_vccnz .LBB143_1214
; %bb.1213:
	s_and_b32 s6, 0xffff, s59
	s_cmp_lg_u32 s6, 0
	s_cselect_b64 s[6:7], -1, 0
.LBB143_1214:
	s_andn2_b64 vcc, exec, s[6:7]
	v_mov_b32_e32 v0, 0
	s_cbranch_vccnz .LBB143_1216
; %bb.1215:
	v_mov_b32_e32 v0, v4
.LBB143_1216:
	global_store_byte v[10:11], v0, off
.LBB143_1217:
	s_or_b64 exec, exec, s[2:3]
	s_and_b64 s[6:7], s[0:1], exec
                                        ; implicit-def: $vgpr2
                                        ; implicit-def: $vgpr15
.LBB143_1218:
	s_or_saveexec_b64 s[26:27], s[26:27]
	s_mov_b64 s[2:3], 0
                                        ; implicit-def: $vgpr4_vgpr5
                                        ; implicit-def: $sgpr12
                                        ; implicit-def: $sgpr16
	s_xor_b64 exec, exec, s[26:27]
	s_cbranch_execz .LBB143_2137
; %bb.1219:
	v_cndmask_b32_e64 v0, 0, 1, s[30:31]
	v_cmp_ne_u32_e64 s[0:1], 1, v0
	s_andn2_b64 vcc, exec, s[30:31]
	s_cbranch_vccnz .LBB143_1225
; %bb.1220:
	s_cmp_lg_u32 s33, 0
	s_mov_b32 s30, 0
	s_cbranch_scc0 .LBB143_1226
; %bb.1221:
	s_min_u32 s31, s58, 15
	s_add_i32 s31, s31, 1
	s_cmp_eq_u32 s58, 2
	s_cbranch_scc1 .LBB143_1227
; %bb.1222:
	s_and_b32 s30, s31, 28
	s_add_u32 s2, s24, 0xc4
	s_addc_u32 s3, s25, 0
	s_mov_b32 s34, 0
	v_mov_b32_e32 v0, 0
	s_mov_b64 s[28:29], s[24:25]
	v_mov_b32_e32 v1, v15
.LBB143_1223:                           ; =>This Inner Loop Header: Depth=1
	s_load_dwordx8 s[8:15], s[28:29], 0x4
	s_load_dwordx4 s[16:19], s[28:29], 0x24
	s_load_dwordx4 s[20:23], s[2:3], 0x0
	s_add_u32 s28, s28, 48
	s_addc_u32 s29, s29, 0
	s_waitcnt lgkmcnt(0)
	v_mul_hi_u32 v3, s9, v1
	s_add_i32 s34, s34, 4
	s_add_u32 s2, s2, 16
	s_addc_u32 s3, s3, 0
	v_add_u32_e32 v3, v1, v3
	v_lshrrev_b32_e32 v3, s10, v3
	v_mul_lo_u32 v4, v3, s8
	v_mul_hi_u32 v5, s12, v3
	s_cmp_lg_u32 s30, s34
	v_sub_u32_e32 v1, v1, v4
	v_add_u32_e32 v4, v3, v5
	v_lshrrev_b32_e32 v4, s13, v4
	v_mul_lo_u32 v5, v1, s20
	v_mul_hi_u32 v1, s15, v4
	v_mul_lo_u32 v7, v4, s11
	v_add_u32_e32 v1, v4, v1
	v_lshrrev_b32_e32 v6, s16, v1
	v_mul_hi_u32 v1, s18, v6
	v_sub_u32_e32 v3, v3, v7
	v_mul_lo_u32 v7, v6, s14
	v_mul_lo_u32 v3, v3, s21
	v_add_u32_e32 v1, v6, v1
	v_lshrrev_b32_e32 v1, s19, v1
	v_mul_lo_u32 v8, v1, s17
	v_sub_u32_e32 v4, v4, v7
	v_mul_lo_u32 v4, v4, s22
	v_add3_u32 v0, v5, v0, v3
	v_sub_u32_e32 v6, v6, v8
	v_mul_lo_u32 v6, v6, s23
	v_add3_u32 v0, v4, v0, v6
	s_cbranch_scc1 .LBB143_1223
; %bb.1224:
	s_and_b32 s10, s31, 3
	s_cmp_eq_u32 s10, 0
	s_cbranch_scc0 .LBB143_1228
	s_branch .LBB143_1230
.LBB143_1225:
                                        ; implicit-def: $vgpr0
	s_branch .LBB143_1231
.LBB143_1226:
	v_mov_b32_e32 v0, 0
	s_branch .LBB143_1230
.LBB143_1227:
	v_mov_b32_e32 v0, 0
	v_mov_b32_e32 v1, v15
	s_and_b32 s10, s31, 3
	s_cmp_eq_u32 s10, 0
	s_cbranch_scc1 .LBB143_1230
.LBB143_1228:
	s_lshl_b32 s2, s30, 2
	s_add_u32 s2, s24, s2
	s_addc_u32 s3, s25, 0
	s_add_u32 s2, s2, 0xc4
	s_addc_u32 s3, s3, 0
	s_mul_i32 s8, s30, 12
	s_add_u32 s8, s24, s8
	s_addc_u32 s9, s25, 0
.LBB143_1229:                           ; =>This Inner Loop Header: Depth=1
	s_load_dwordx2 s[12:13], s[8:9], 0x4
	s_load_dword s11, s[8:9], 0xc
	s_add_u32 s8, s8, 12
	s_addc_u32 s9, s9, 0
	s_waitcnt lgkmcnt(0)
	v_mul_hi_u32 v3, s13, v1
	s_load_dword s13, s[2:3], 0x0
	s_add_u32 s2, s2, 4
	s_addc_u32 s3, s3, 0
	v_add_u32_e32 v3, v1, v3
	v_lshrrev_b32_e32 v3, s11, v3
	v_mul_lo_u32 v4, v3, s12
	s_add_i32 s10, s10, -1
	s_cmp_lg_u32 s10, 0
	v_sub_u32_e32 v1, v1, v4
	s_waitcnt lgkmcnt(0)
	v_mad_u64_u32 v[0:1], s[12:13], v1, s13, v[0:1]
	v_mov_b32_e32 v1, v3
	s_cbranch_scc1 .LBB143_1229
.LBB143_1230:
	s_cbranch_execnz .LBB143_1233
.LBB143_1231:
	s_load_dwordx4 s[8:11], s[24:25], 0x4
	s_load_dword s2, s[24:25], 0xc4
	s_cmp_lt_u32 s33, 2
	s_waitcnt lgkmcnt(0)
	v_mul_hi_u32 v0, s9, v15
	v_add_u32_e32 v0, v15, v0
	v_lshrrev_b32_e32 v1, s10, v0
	v_mul_lo_u32 v0, v1, s8
	v_sub_u32_e32 v0, v15, v0
	v_mul_lo_u32 v0, v0, s2
	s_cbranch_scc1 .LBB143_1233
; %bb.1232:
	s_load_dwordx4 s[8:11], s[24:25], 0x10
	s_load_dword s2, s[24:25], 0xc8
	s_waitcnt lgkmcnt(0)
	v_mul_hi_u32 v3, s9, v1
	v_add_u32_e32 v3, v1, v3
	v_lshrrev_b32_e32 v3, s10, v3
	v_mul_lo_u32 v3, v3, s8
	v_sub_u32_e32 v1, v1, v3
	v_mad_u64_u32 v[0:1], s[2:3], v1, s2, v[0:1]
.LBB143_1233:
	s_and_b64 vcc, exec, s[0:1]
	v_add_u32_e32 v1, 0x80, v15
	s_cbranch_vccnz .LBB143_1239
; %bb.1234:
	s_cmp_lg_u32 s33, 0
	s_mov_b32 s30, 0
	s_cbranch_scc0 .LBB143_1240
; %bb.1235:
	s_min_u32 s31, s58, 15
	s_add_i32 s31, s31, 1
	s_cmp_eq_u32 s58, 2
	s_cbranch_scc1 .LBB143_1241
; %bb.1236:
	s_and_b32 s30, s31, 28
	s_add_u32 s2, s24, 0xc4
	s_addc_u32 s3, s25, 0
	s_mov_b32 s34, 0
	v_mov_b32_e32 v8, 0
	s_mov_b64 s[28:29], s[24:25]
	v_mov_b32_e32 v3, v1
.LBB143_1237:                           ; =>This Inner Loop Header: Depth=1
	s_load_dwordx8 s[8:15], s[28:29], 0x4
	s_load_dwordx4 s[16:19], s[28:29], 0x24
	s_load_dwordx4 s[20:23], s[2:3], 0x0
	s_add_u32 s28, s28, 48
	s_addc_u32 s29, s29, 0
	s_waitcnt lgkmcnt(0)
	v_mul_hi_u32 v4, s9, v3
	s_add_i32 s34, s34, 4
	s_add_u32 s2, s2, 16
	s_addc_u32 s3, s3, 0
	v_add_u32_e32 v4, v3, v4
	v_lshrrev_b32_e32 v4, s10, v4
	v_mul_lo_u32 v5, v4, s8
	v_mul_hi_u32 v6, s12, v4
	s_cmp_lg_u32 s30, s34
	v_sub_u32_e32 v3, v3, v5
	v_add_u32_e32 v5, v4, v6
	v_lshrrev_b32_e32 v5, s13, v5
	v_mul_lo_u32 v6, v3, s20
	v_mul_hi_u32 v3, s15, v5
	v_mul_lo_u32 v9, v5, s11
	v_add_u32_e32 v3, v5, v3
	v_lshrrev_b32_e32 v7, s16, v3
	v_mul_hi_u32 v3, s18, v7
	v_sub_u32_e32 v4, v4, v9
	v_mul_lo_u32 v9, v7, s14
	v_mul_lo_u32 v4, v4, s21
	v_add_u32_e32 v3, v7, v3
	v_lshrrev_b32_e32 v3, s19, v3
	v_mul_lo_u32 v10, v3, s17
	v_sub_u32_e32 v5, v5, v9
	v_mul_lo_u32 v5, v5, s22
	v_add3_u32 v4, v6, v8, v4
	v_sub_u32_e32 v7, v7, v10
	v_mul_lo_u32 v7, v7, s23
	v_add3_u32 v8, v5, v4, v7
	s_cbranch_scc1 .LBB143_1237
; %bb.1238:
	s_and_b32 s10, s31, 3
	s_cmp_eq_u32 s10, 0
	s_cbranch_scc0 .LBB143_1242
	s_branch .LBB143_1244
.LBB143_1239:
                                        ; implicit-def: $vgpr8
	s_branch .LBB143_1245
.LBB143_1240:
	v_mov_b32_e32 v8, 0
	s_branch .LBB143_1244
.LBB143_1241:
	v_mov_b32_e32 v8, 0
	v_mov_b32_e32 v3, v1
	s_and_b32 s10, s31, 3
	s_cmp_eq_u32 s10, 0
	s_cbranch_scc1 .LBB143_1244
.LBB143_1242:
	s_lshl_b32 s2, s30, 2
	s_add_u32 s2, s24, s2
	s_addc_u32 s3, s25, 0
	s_add_u32 s2, s2, 0xc4
	s_addc_u32 s3, s3, 0
	s_mul_i32 s8, s30, 12
	s_add_u32 s8, s24, s8
	s_addc_u32 s9, s25, 0
.LBB143_1243:                           ; =>This Inner Loop Header: Depth=1
	s_load_dwordx2 s[12:13], s[8:9], 0x4
	s_load_dword s11, s[8:9], 0xc
	s_add_u32 s8, s8, 12
	s_addc_u32 s9, s9, 0
	s_waitcnt lgkmcnt(0)
	v_mul_hi_u32 v4, s13, v3
	s_load_dword s13, s[2:3], 0x0
	s_add_u32 s2, s2, 4
	s_addc_u32 s3, s3, 0
	v_add_u32_e32 v4, v3, v4
	v_lshrrev_b32_e32 v4, s11, v4
	v_mul_lo_u32 v5, v4, s12
	s_add_i32 s10, s10, -1
	s_cmp_lg_u32 s10, 0
	v_sub_u32_e32 v3, v3, v5
	s_waitcnt lgkmcnt(0)
	v_mad_u64_u32 v[8:9], s[12:13], v3, s13, v[8:9]
	v_mov_b32_e32 v3, v4
	s_cbranch_scc1 .LBB143_1243
.LBB143_1244:
	s_cbranch_execnz .LBB143_1247
.LBB143_1245:
	s_load_dwordx4 s[8:11], s[24:25], 0x4
	s_load_dword s2, s[24:25], 0xc4
	s_cmp_lt_u32 s33, 2
	s_waitcnt lgkmcnt(0)
	v_mul_hi_u32 v3, s9, v1
	v_add_u32_e32 v3, v1, v3
	v_lshrrev_b32_e32 v3, s10, v3
	v_mul_lo_u32 v4, v3, s8
	v_sub_u32_e32 v1, v1, v4
	v_mul_lo_u32 v8, v1, s2
	s_cbranch_scc1 .LBB143_1247
; %bb.1246:
	s_load_dwordx4 s[8:11], s[24:25], 0x10
	s_load_dword s2, s[24:25], 0xc8
	s_waitcnt lgkmcnt(0)
	v_mul_hi_u32 v1, s9, v3
	v_add_u32_e32 v1, v3, v1
	v_lshrrev_b32_e32 v1, s10, v1
	v_mul_lo_u32 v1, v1, s8
	v_sub_u32_e32 v1, v3, v1
	v_mad_u64_u32 v[8:9], s[2:3], v1, s2, v[8:9]
.LBB143_1247:
	s_and_b64 vcc, exec, s[0:1]
	v_add_u32_e32 v1, 0x100, v15
	s_cbranch_vccnz .LBB143_1253
; %bb.1248:
	s_cmp_lg_u32 s33, 0
	s_mov_b32 s30, 0
	s_cbranch_scc0 .LBB143_1254
; %bb.1249:
	s_min_u32 s31, s58, 15
	s_add_i32 s31, s31, 1
	s_cmp_eq_u32 s58, 2
	s_cbranch_scc1 .LBB143_1255
; %bb.1250:
	s_and_b32 s30, s31, 28
	s_add_u32 s2, s24, 0xc4
	s_addc_u32 s3, s25, 0
	s_mov_b32 s34, 0
	v_mov_b32_e32 v6, 0
	s_mov_b64 s[28:29], s[24:25]
	v_mov_b32_e32 v3, v1
.LBB143_1251:                           ; =>This Inner Loop Header: Depth=1
	s_load_dwordx8 s[8:15], s[28:29], 0x4
	s_load_dwordx4 s[16:19], s[28:29], 0x24
	s_load_dwordx4 s[20:23], s[2:3], 0x0
	s_add_u32 s28, s28, 48
	s_addc_u32 s29, s29, 0
	s_waitcnt lgkmcnt(0)
	v_mul_hi_u32 v4, s9, v3
	s_add_i32 s34, s34, 4
	s_add_u32 s2, s2, 16
	s_addc_u32 s3, s3, 0
	v_add_u32_e32 v4, v3, v4
	v_lshrrev_b32_e32 v4, s10, v4
	v_mul_lo_u32 v5, v4, s8
	v_mul_hi_u32 v7, s12, v4
	s_cmp_lg_u32 s30, s34
	v_sub_u32_e32 v3, v3, v5
	v_add_u32_e32 v5, v4, v7
	v_lshrrev_b32_e32 v5, s13, v5
	v_mul_lo_u32 v7, v3, s20
	v_mul_hi_u32 v3, s15, v5
	v_mul_lo_u32 v10, v5, s11
	v_add_u32_e32 v3, v5, v3
	v_lshrrev_b32_e32 v9, s16, v3
	v_mul_hi_u32 v3, s18, v9
	v_sub_u32_e32 v4, v4, v10
	v_mul_lo_u32 v10, v9, s14
	v_mul_lo_u32 v4, v4, s21
	v_add_u32_e32 v3, v9, v3
	v_lshrrev_b32_e32 v3, s19, v3
	v_mul_lo_u32 v11, v3, s17
	v_sub_u32_e32 v5, v5, v10
	v_mul_lo_u32 v5, v5, s22
	v_add3_u32 v4, v7, v6, v4
	v_sub_u32_e32 v9, v9, v11
	v_mul_lo_u32 v9, v9, s23
	v_add3_u32 v6, v5, v4, v9
	s_cbranch_scc1 .LBB143_1251
; %bb.1252:
	s_and_b32 s10, s31, 3
	s_cmp_eq_u32 s10, 0
	s_cbranch_scc0 .LBB143_1256
	s_branch .LBB143_1258
.LBB143_1253:
                                        ; implicit-def: $vgpr6
	s_branch .LBB143_1259
.LBB143_1254:
	v_mov_b32_e32 v6, 0
	s_branch .LBB143_1258
.LBB143_1255:
	v_mov_b32_e32 v6, 0
	v_mov_b32_e32 v3, v1
	s_and_b32 s10, s31, 3
	s_cmp_eq_u32 s10, 0
	s_cbranch_scc1 .LBB143_1258
.LBB143_1256:
	s_lshl_b32 s2, s30, 2
	s_add_u32 s2, s24, s2
	s_addc_u32 s3, s25, 0
	s_add_u32 s2, s2, 0xc4
	s_addc_u32 s3, s3, 0
	s_mul_i32 s8, s30, 12
	s_add_u32 s8, s24, s8
	s_addc_u32 s9, s25, 0
.LBB143_1257:                           ; =>This Inner Loop Header: Depth=1
	s_load_dwordx2 s[12:13], s[8:9], 0x4
	s_load_dword s11, s[8:9], 0xc
	s_add_u32 s8, s8, 12
	s_addc_u32 s9, s9, 0
	s_waitcnt lgkmcnt(0)
	v_mul_hi_u32 v4, s13, v3
	s_load_dword s13, s[2:3], 0x0
	s_add_u32 s2, s2, 4
	s_addc_u32 s3, s3, 0
	v_add_u32_e32 v4, v3, v4
	v_lshrrev_b32_e32 v4, s11, v4
	v_mul_lo_u32 v5, v4, s12
	s_add_i32 s10, s10, -1
	s_cmp_lg_u32 s10, 0
	v_sub_u32_e32 v3, v3, v5
	s_waitcnt lgkmcnt(0)
	v_mad_u64_u32 v[6:7], s[12:13], v3, s13, v[6:7]
	v_mov_b32_e32 v3, v4
	s_cbranch_scc1 .LBB143_1257
.LBB143_1258:
	s_cbranch_execnz .LBB143_1261
.LBB143_1259:
	s_load_dwordx4 s[8:11], s[24:25], 0x4
	s_load_dword s2, s[24:25], 0xc4
	s_cmp_lt_u32 s33, 2
	s_waitcnt lgkmcnt(0)
	v_mul_hi_u32 v3, s9, v1
	v_add_u32_e32 v3, v1, v3
	v_lshrrev_b32_e32 v3, s10, v3
	v_mul_lo_u32 v4, v3, s8
	v_sub_u32_e32 v1, v1, v4
	v_mul_lo_u32 v6, v1, s2
	s_cbranch_scc1 .LBB143_1261
; %bb.1260:
	s_load_dwordx4 s[8:11], s[24:25], 0x10
	s_load_dword s2, s[24:25], 0xc8
	s_waitcnt lgkmcnt(0)
	v_mul_hi_u32 v1, s9, v3
	v_add_u32_e32 v1, v3, v1
	v_lshrrev_b32_e32 v1, s10, v1
	v_mul_lo_u32 v1, v1, s8
	v_sub_u32_e32 v1, v3, v1
	v_mad_u64_u32 v[6:7], s[2:3], v1, s2, v[6:7]
.LBB143_1261:
	s_and_b64 vcc, exec, s[0:1]
	s_cbranch_vccnz .LBB143_1267
; %bb.1262:
	s_cmp_lg_u32 s33, 0
	s_mov_b32 s28, 0
	s_cbranch_scc0 .LBB143_1268
; %bb.1263:
	s_min_u32 s29, s58, 15
	s_add_i32 s29, s29, 1
	s_cmp_eq_u32 s58, 2
	s_cbranch_scc1 .LBB143_1269
; %bb.1264:
	s_and_b32 s28, s29, 28
	s_add_u32 s20, s24, 0xc4
	s_addc_u32 s21, s25, 0
	s_mov_b32 s30, 0
	v_mov_b32_e32 v4, 0
	s_mov_b64 s[22:23], s[24:25]
	v_mov_b32_e32 v1, v2
.LBB143_1265:                           ; =>This Inner Loop Header: Depth=1
	s_load_dwordx8 s[8:15], s[22:23], 0x4
	s_load_dwordx4 s[0:3], s[22:23], 0x24
	s_load_dwordx4 s[16:19], s[20:21], 0x0
	s_add_u32 s22, s22, 48
	s_addc_u32 s23, s23, 0
	s_waitcnt lgkmcnt(0)
	v_mul_hi_u32 v3, s9, v1
	s_add_i32 s30, s30, 4
	s_add_u32 s20, s20, 16
	s_addc_u32 s21, s21, 0
	v_add_u32_e32 v3, v1, v3
	v_lshrrev_b32_e32 v3, s10, v3
	v_mul_lo_u32 v5, v3, s8
	v_mul_hi_u32 v7, s12, v3
	s_cmp_lg_u32 s28, s30
	v_sub_u32_e32 v1, v1, v5
	v_add_u32_e32 v5, v3, v7
	v_lshrrev_b32_e32 v5, s13, v5
	v_mul_lo_u32 v7, v1, s16
	v_mul_hi_u32 v1, s15, v5
	v_mul_lo_u32 v10, v5, s11
	v_add_u32_e32 v1, v5, v1
	v_lshrrev_b32_e32 v9, s0, v1
	v_mul_hi_u32 v1, s2, v9
	v_sub_u32_e32 v3, v3, v10
	v_mul_lo_u32 v10, v9, s14
	v_mul_lo_u32 v3, v3, s17
	v_add_u32_e32 v1, v9, v1
	v_lshrrev_b32_e32 v1, s3, v1
	v_mul_lo_u32 v11, v1, s1
	v_sub_u32_e32 v5, v5, v10
	v_mul_lo_u32 v5, v5, s18
	v_add3_u32 v3, v7, v4, v3
	v_sub_u32_e32 v9, v9, v11
	v_mul_lo_u32 v9, v9, s19
	v_add3_u32 v4, v5, v3, v9
	s_cbranch_scc1 .LBB143_1265
; %bb.1266:
	s_and_b32 s8, s29, 3
	s_cmp_eq_u32 s8, 0
	s_cbranch_scc0 .LBB143_1270
	s_branch .LBB143_1272
.LBB143_1267:
                                        ; implicit-def: $vgpr4
	s_branch .LBB143_1273
.LBB143_1268:
	v_mov_b32_e32 v4, 0
	s_branch .LBB143_1272
.LBB143_1269:
	v_mov_b32_e32 v4, 0
	v_mov_b32_e32 v1, v2
	s_and_b32 s8, s29, 3
	s_cmp_eq_u32 s8, 0
	s_cbranch_scc1 .LBB143_1272
.LBB143_1270:
	s_lshl_b32 s0, s28, 2
	s_add_u32 s0, s24, s0
	s_addc_u32 s1, s25, 0
	s_add_u32 s0, s0, 0xc4
	s_addc_u32 s1, s1, 0
	s_mul_i32 s2, s28, 12
	s_add_u32 s2, s24, s2
	s_addc_u32 s3, s25, 0
.LBB143_1271:                           ; =>This Inner Loop Header: Depth=1
	s_load_dwordx2 s[10:11], s[2:3], 0x4
	s_load_dword s9, s[2:3], 0xc
	s_add_u32 s2, s2, 12
	s_addc_u32 s3, s3, 0
	s_waitcnt lgkmcnt(0)
	v_mul_hi_u32 v3, s11, v1
	s_load_dword s11, s[0:1], 0x0
	s_add_u32 s0, s0, 4
	s_addc_u32 s1, s1, 0
	v_add_u32_e32 v3, v1, v3
	v_lshrrev_b32_e32 v3, s9, v3
	v_mul_lo_u32 v5, v3, s10
	s_add_i32 s8, s8, -1
	s_cmp_lg_u32 s8, 0
	v_sub_u32_e32 v1, v1, v5
	s_waitcnt lgkmcnt(0)
	v_mad_u64_u32 v[4:5], s[10:11], v1, s11, v[4:5]
	v_mov_b32_e32 v1, v3
	s_cbranch_scc1 .LBB143_1271
.LBB143_1272:
	s_cbranch_execnz .LBB143_1275
.LBB143_1273:
	s_load_dwordx4 s[0:3], s[24:25], 0x4
	s_waitcnt lgkmcnt(0)
	s_load_dword s3, s[24:25], 0xc4
	s_cmp_lt_u32 s33, 2
	v_mul_hi_u32 v1, s1, v2
	v_add_u32_e32 v1, v2, v1
	v_lshrrev_b32_e32 v1, s2, v1
	v_mul_lo_u32 v3, v1, s0
	v_sub_u32_e32 v2, v2, v3
	s_waitcnt lgkmcnt(0)
	v_mul_lo_u32 v4, v2, s3
	s_cbranch_scc1 .LBB143_1275
; %bb.1274:
	s_load_dwordx4 s[0:3], s[24:25], 0x10
	s_waitcnt lgkmcnt(0)
	s_load_dword s3, s[24:25], 0xc8
	v_mul_hi_u32 v2, s1, v1
	v_add_u32_e32 v2, v1, v2
	v_lshrrev_b32_e32 v2, s2, v2
	v_mul_lo_u32 v2, v2, s0
	v_sub_u32_e32 v1, v1, v2
	s_waitcnt lgkmcnt(0)
	v_mad_u64_u32 v[4:5], s[0:1], v1, s3, v[4:5]
.LBB143_1275:
	s_load_dwordx2 s[2:3], s[24:25], 0x108
	s_load_dword s16, s[24:25], 0x110
	s_waitcnt lgkmcnt(0)
	v_mov_b32_e32 v1, s3
	s_bfe_u32 s14, s16, 0x80008
	v_add_co_u32_e32 v9, vcc, s2, v0
	s_cmp_lt_i32 s14, 11
	v_addc_co_u32_e32 v10, vcc, 0, v1, vcc
	s_cbranch_scc1 .LBB143_1284
; %bb.1276:
	s_and_b32 s15, 0xffff, s14
	s_mov_b64 s[12:13], -1
	s_mov_b64 s[8:9], 0
	s_cmp_gt_i32 s15, 25
	s_mov_b64 s[10:11], 0
	s_mov_b64 s[0:1], 0
	s_cbranch_scc0 .LBB143_1343
; %bb.1277:
	s_cmp_gt_i32 s15, 28
	s_cbranch_scc0 .LBB143_1318
; %bb.1278:
	s_cmp_gt_i32 s15, 43
	s_cbranch_scc0 .LBB143_1305
; %bb.1279:
	s_cmp_gt_i32 s15, 45
	s_cbranch_scc0 .LBB143_1292
; %bb.1280:
	s_mov_b64 s[0:1], -1
	s_mov_b64 s[12:13], 0
	s_cmp_eq_u32 s15, 46
	s_cbranch_scc0 .LBB143_1292
; %bb.1281:
	s_and_b32 s17, s16, 0xff
	s_cmpk_lt_i32 s17, 0x80
	s_cbranch_scc1 .LBB143_1288
; %bb.1282:
	s_and_b32 s0, 0xffff, s17
	s_cmpk_eq_i32 s0, 0x80
	s_mov_b64 s[0:1], -1
	s_cbranch_scc0 .LBB143_1286
; %bb.1283:
	s_mov_b64 s[0:1], 0
	s_mov_b32 s18, 0x7f800001
	s_and_b64 vcc, exec, s[10:11]
	s_cbranch_vccz .LBB143_1289
	s_branch .LBB143_1287
.LBB143_1284:
	s_mov_b64 s[10:11], 0
	s_mov_b64 s[0:1], s[6:7]
	s_cbranch_execnz .LBB143_1428
.LBB143_1285:
	s_andn2_b64 vcc, exec, s[10:11]
	s_cbranch_vccz .LBB143_1558
	s_branch .LBB143_2135
.LBB143_1286:
	s_mov_b32 s18, 0x7f800001
	s_and_b64 vcc, exec, s[10:11]
	s_cbranch_vccz .LBB143_1289
.LBB143_1287:
	s_and_b32 s0, 0xffff, s17
	s_cmp_lg_u32 s0, 0
	s_mov_b32 s18, 0
	s_cselect_b64 s[0:1], -1, 0
	s_andn2_b64 vcc, exec, s[0:1]
	s_cbranch_vccz .LBB143_1290
	s_branch .LBB143_1291
.LBB143_1288:
	s_mov_b64 s[0:1], 0
	s_mov_b32 s18, 0x7f800001
	s_cbranch_execnz .LBB143_1287
.LBB143_1289:
	s_andn2_b64 vcc, exec, s[0:1]
	s_cbranch_vccnz .LBB143_1291
.LBB143_1290:
	s_and_b32 s1, s16, 7
	s_flbit_i32_b32 s11, s1
	s_min_u32 s11, s11, 32
	s_sub_i32 s17, s11, 28
	s_lshl_b32 s17, s16, s17
	s_lshl_b32 s0, s16, 24
	s_bfe_u32 s10, s16, 0x40003
	s_sub_i32 s11, 29, s11
	s_and_b32 s17, s17, 7
	s_cmp_eq_u32 s10, 0
	s_cselect_b32 s10, s11, s10
	s_cselect_b32 s1, s17, s1
	s_lshl_b32 s10, s10, 23
	s_and_b32 s0, s0, 0x80000000
	s_add_i32 s10, s10, 0x3b800000
	s_lshl_b32 s1, s1, 20
	s_or_b32 s0, s0, s10
	s_or_b32 s18, s0, s1
.LBB143_1291:
	s_bfe_u32 s0, s18, 0x10010
	s_add_i32 s0, s18, s0
	s_addk_i32 s0, 0x7fff
	s_lshr_b32 s10, s0, 16
	v_cmp_o_f32_e64 s[0:1], s18, s18
	s_and_b64 s[0:1], s[0:1], exec
	s_cselect_b32 s0, s10, 0x7fc0
	v_mov_b32_e32 v0, s0
	s_mov_b64 s[0:1], 0
	s_mov_b64 s[10:11], -1
	global_store_dword v[9:10], v0, off
.LBB143_1292:
	s_and_b64 vcc, exec, s[12:13]
	s_cbranch_vccz .LBB143_1304
; %bb.1293:
	s_cmp_eq_u32 s15, 44
	s_mov_b64 s[0:1], -1
	s_cbranch_scc0 .LBB143_1304
; %bb.1294:
	s_and_b32 s12, s16, 0xff
	s_cmpk_lt_i32 s12, 0x80
	s_cbranch_scc1 .LBB143_1298
; %bb.1295:
	s_and_b32 s0, 0xffff, s12
	s_cmpk_eq_i32 s0, 0x80
	s_mov_b64 s[0:1], -1
	s_cbranch_scc0 .LBB143_1297
; %bb.1296:
	s_mov_b64 s[0:1], 0
.LBB143_1297:
	s_mov_b64 s[10:11], 0
	s_branch .LBB143_1299
.LBB143_1298:
	s_mov_b64 s[10:11], -1
	s_mov_b64 s[0:1], 0
.LBB143_1299:
	s_mov_b32 s13, 0x7f800001
	s_and_b64 vcc, exec, s[10:11]
	s_cbranch_vccz .LBB143_1309
; %bb.1300:
	s_and_b32 s13, 0xffff, s12
	s_cmp_lg_u32 s13, 0
	s_cselect_b64 s[0:1], -1, 0
	s_andn2_b64 vcc, exec, s[0:1]
	s_cbranch_vccz .LBB143_1310
.LBB143_1301:
	s_lshr_b32 s0, s13, 23
	s_cmpk_eq_i32 s0, 0xff
	v_mov_b32_e32 v0, 0xff
	s_cbranch_scc1 .LBB143_1303
.LBB143_1302:
	s_bitcmp1_b32 s13, 22
	s_cselect_b64 s[10:11], -1, 0
	s_and_b32 s1, s13, 0x3fffff
	s_or_b32 s1, s0, s1
	s_cmp_lg_u32 s1, 0
	s_cselect_b64 s[12:13], -1, 0
	s_and_b64 s[10:11], s[10:11], s[12:13]
	v_cndmask_b32_e64 v0, 0, 1, s[10:11]
	v_add_u32_e32 v0, s0, v0
.LBB143_1303:
	s_mov_b64 s[0:1], 0
	s_mov_b64 s[10:11], -1
	global_store_byte v[9:10], v0, off
.LBB143_1304:
	s_mov_b64 s[12:13], 0
.LBB143_1305:
	s_and_b64 vcc, exec, s[12:13]
	s_cbranch_vccz .LBB143_1317
; %bb.1306:
	s_cmp_eq_u32 s15, 29
	s_mov_b64 s[0:1], -1
	s_cbranch_scc0 .LBB143_1317
; %bb.1307:
	s_and_b32 s12, s16, 0xff
	s_cmpk_lt_i32 s12, 0x80
	s_cbranch_scc1 .LBB143_1311
; %bb.1308:
	s_and_b32 s0, 0xffff, s12
	s_cmpk_lg_i32 s0, 0x80
	s_mov_b64 s[10:11], 0
	s_cselect_b64 s[0:1], -1, 0
	s_branch .LBB143_1312
.LBB143_1309:
	s_andn2_b64 vcc, exec, s[0:1]
	s_cbranch_vccnz .LBB143_1301
.LBB143_1310:
	s_and_b32 s0, s16, 7
	s_flbit_i32_b32 s10, s0
	s_min_u32 s10, s10, 32
	s_sub_i32 s11, s10, 28
	s_lshl_b32 s11, s16, s11
	s_bfe_u32 s1, s16, 0x40003
	s_sub_i32 s10, 29, s10
	s_and_b32 s11, s11, 7
	s_cmp_eq_u32 s1, 0
	s_cselect_b32 s1, s10, s1
	s_cselect_b32 s0, s11, s0
	s_lshl_b32 s0, s0, 20
	s_lshl_b32 s1, s1, 23
	s_or_b32 s0, s1, s0
	s_add_i32 s13, s0, 0x3b800000
	s_lshr_b32 s0, s13, 23
	s_cmpk_eq_i32 s0, 0xff
	v_mov_b32_e32 v0, 0xff
	s_cbranch_scc0 .LBB143_1302
	s_branch .LBB143_1303
.LBB143_1311:
	s_mov_b64 s[10:11], -1
	s_mov_b64 s[0:1], 0
.LBB143_1312:
	s_andn2_b64 vcc, exec, s[10:11]
	s_cbranch_vccnz .LBB143_1314
; %bb.1313:
	s_and_b32 s0, 0xffff, s12
	s_cmp_lg_u32 s0, 0
	s_cselect_b64 s[0:1], -1, 0
.LBB143_1314:
	v_mov_b32_e32 v0, 0
	s_andn2_b64 vcc, exec, s[0:1]
	v_mov_b32_e32 v1, 0
	s_cbranch_vccnz .LBB143_1316
; %bb.1315:
	s_and_b32 s1, s16, 7
	s_flbit_i32_b32 s11, s1
	s_min_u32 s11, s11, 32
	s_sub_i32 s12, s11, 28
	s_lshl_b32 s12, s16, s12
	s_lshl_b32 s0, s16, 24
	s_bfe_u32 s10, s16, 0x40003
	s_sub_i32 s11, 29, s11
	s_and_b32 s12, s12, 7
	s_cmp_eq_u32 s10, 0
	s_cselect_b32 s10, s11, s10
	s_cselect_b32 s1, s12, s1
	s_lshl_b32 s10, s10, 23
	s_and_b32 s0, s0, 0x80000000
	s_add_i32 s10, s10, 0x3b800000
	s_lshl_b32 s1, s1, 20
	s_or_b32 s0, s0, s10
	s_or_b32 s0, s0, s1
	v_trunc_f32_e32 v0, s0
	v_mul_f32_e32 v1, 0x2f800000, v0
	v_floor_f32_e32 v1, v1
	v_fmac_f32_e32 v0, 0xcf800000, v1
	v_cvt_u32_f32_e32 v0, v0
	v_cvt_u32_f32_e32 v1, v1
.LBB143_1316:
	global_store_dwordx2 v[9:10], v[0:1], off
	s_mov_b64 s[0:1], 0
	s_mov_b64 s[10:11], -1
.LBB143_1317:
	s_mov_b64 s[12:13], 0
.LBB143_1318:
	s_and_b64 vcc, exec, s[12:13]
	s_cbranch_vccz .LBB143_1342
; %bb.1319:
	s_cmp_lt_i32 s15, 27
	s_mov_b64 s[10:11], -1
	s_cbranch_scc1 .LBB143_1339
; %bb.1320:
	s_cmp_gt_i32 s15, 27
	s_cbranch_scc0 .LBB143_1329
; %bb.1321:
	s_and_b32 s17, s16, 0xff
	s_cmpk_lt_i32 s17, 0x80
	s_cbranch_scc1 .LBB143_1323
; %bb.1322:
	s_and_b32 s10, 0xffff, s17
	s_cmpk_lg_i32 s10, 0x80
	s_mov_b64 s[12:13], 0
	s_cselect_b64 s[10:11], -1, 0
	s_branch .LBB143_1324
.LBB143_1323:
	s_mov_b64 s[12:13], -1
	s_mov_b64 s[10:11], 0
.LBB143_1324:
	s_andn2_b64 vcc, exec, s[12:13]
	s_cbranch_vccnz .LBB143_1326
; %bb.1325:
	s_and_b32 s10, 0xffff, s17
	s_cmp_lg_u32 s10, 0
	s_cselect_b64 s[10:11], -1, 0
.LBB143_1326:
	s_andn2_b64 vcc, exec, s[10:11]
	v_mov_b32_e32 v0, 0
	s_cbranch_vccnz .LBB143_1328
; %bb.1327:
	s_and_b32 s11, s16, 7
	s_flbit_i32_b32 s13, s11
	s_min_u32 s13, s13, 32
	s_sub_i32 s17, s13, 28
	s_lshl_b32 s17, s16, s17
	s_lshl_b32 s10, s16, 24
	s_bfe_u32 s12, s16, 0x40003
	s_sub_i32 s13, 29, s13
	s_and_b32 s17, s17, 7
	s_cmp_eq_u32 s12, 0
	s_cselect_b32 s12, s13, s12
	s_cselect_b32 s11, s17, s11
	s_lshl_b32 s12, s12, 23
	s_and_b32 s10, s10, 0x80000000
	s_add_i32 s12, s12, 0x3b800000
	s_lshl_b32 s11, s11, 20
	s_or_b32 s10, s10, s12
	s_or_b32 s10, s10, s11
	v_cvt_u32_f32_e32 v0, s10
.LBB143_1328:
	global_store_dword v[9:10], v0, off
	s_mov_b64 s[10:11], 0
.LBB143_1329:
	s_and_b64 vcc, exec, s[10:11]
	s_cbranch_vccz .LBB143_1338
; %bb.1330:
	s_and_b32 s17, s16, 0xff
	s_cmpk_lt_i32 s17, 0x80
	s_cbranch_scc1 .LBB143_1332
; %bb.1331:
	s_and_b32 s10, 0xffff, s17
	s_cmpk_lg_i32 s10, 0x80
	s_mov_b64 s[12:13], 0
	s_cselect_b64 s[10:11], -1, 0
	s_branch .LBB143_1333
.LBB143_1332:
	s_mov_b64 s[12:13], -1
	s_mov_b64 s[10:11], 0
.LBB143_1333:
	s_andn2_b64 vcc, exec, s[12:13]
	s_cbranch_vccnz .LBB143_1335
; %bb.1334:
	s_and_b32 s10, 0xffff, s17
	s_cmp_lg_u32 s10, 0
	s_cselect_b64 s[10:11], -1, 0
.LBB143_1335:
	s_andn2_b64 vcc, exec, s[10:11]
	v_mov_b32_e32 v0, 0
	s_cbranch_vccnz .LBB143_1337
; %bb.1336:
	s_and_b32 s11, s16, 7
	s_flbit_i32_b32 s13, s11
	s_min_u32 s13, s13, 32
	s_sub_i32 s17, s13, 28
	s_lshl_b32 s17, s16, s17
	s_lshl_b32 s10, s16, 24
	s_bfe_u32 s12, s16, 0x40003
	s_sub_i32 s13, 29, s13
	s_and_b32 s17, s17, 7
	s_cmp_eq_u32 s12, 0
	s_cselect_b32 s12, s13, s12
	s_cselect_b32 s11, s17, s11
	s_lshl_b32 s12, s12, 23
	s_and_b32 s10, s10, 0x80000000
	s_add_i32 s12, s12, 0x3b800000
	s_lshl_b32 s11, s11, 20
	s_or_b32 s10, s10, s12
	s_or_b32 s10, s10, s11
	v_cvt_u32_f32_e32 v0, s10
.LBB143_1337:
	global_store_short v[9:10], v0, off
.LBB143_1338:
	s_mov_b64 s[10:11], 0
.LBB143_1339:
	s_andn2_b64 vcc, exec, s[10:11]
	s_cbranch_vccnz .LBB143_1341
; %bb.1340:
	v_mov_b32_e32 v0, s16
	global_store_byte v[9:10], v0, off
.LBB143_1341:
	s_mov_b64 s[10:11], -1
.LBB143_1342:
	s_mov_b64 s[12:13], 0
.LBB143_1343:
	s_and_b64 vcc, exec, s[12:13]
	s_cbranch_vccz .LBB143_1424
; %bb.1344:
	s_cmp_gt_i32 s15, 22
	s_mov_b64 s[8:9], -1
	s_cbranch_scc0 .LBB143_1409
; %bb.1345:
	s_cmp_lt_i32 s15, 24
	s_cbranch_scc1 .LBB143_1387
; %bb.1346:
	s_cmp_gt_i32 s15, 24
	s_cbranch_scc0 .LBB143_1365
; %bb.1347:
	s_and_b32 s13, s16, 0xff
	s_cmpk_lt_i32 s13, 0x80
	s_cbranch_scc1 .LBB143_1351
; %bb.1348:
	s_and_b32 s8, 0xffff, s13
	s_cmpk_eq_i32 s8, 0x80
	s_mov_b64 s[8:9], -1
	s_cbranch_scc0 .LBB143_1350
; %bb.1349:
	s_mov_b64 s[8:9], 0
.LBB143_1350:
	s_mov_b64 s[10:11], 0
	s_branch .LBB143_1352
.LBB143_1351:
	s_mov_b64 s[10:11], -1
	s_mov_b64 s[8:9], 0
.LBB143_1352:
	s_mov_b32 s12, 0x7f800001
	s_and_b64 vcc, exec, s[10:11]
	s_cbranch_vccz .LBB143_1355
; %bb.1353:
	s_and_b32 s8, 0xffff, s13
	s_cmp_lg_u32 s8, 0
	s_mov_b32 s12, 0
	s_cselect_b64 s[8:9], -1, 0
	s_andn2_b64 vcc, exec, s[8:9]
	s_cbranch_vccz .LBB143_1356
.LBB143_1354:
	s_and_b32 s8, s12, 0x7fffffff
	s_cmp_gt_u32 s8, 0x477fffff
	v_mov_b32_e32 v1, 0x80
	s_cbranch_scc0 .LBB143_1357
	s_branch .LBB143_1364
.LBB143_1355:
	s_andn2_b64 vcc, exec, s[8:9]
	s_cbranch_vccnz .LBB143_1354
.LBB143_1356:
	s_and_b32 s9, s16, 7
	s_flbit_i32_b32 s11, s9
	s_min_u32 s11, s11, 32
	s_sub_i32 s12, s11, 28
	s_lshl_b32 s12, s16, s12
	s_lshl_b32 s8, s16, 24
	s_bfe_u32 s10, s16, 0x40003
	s_sub_i32 s11, 29, s11
	s_and_b32 s12, s12, 7
	s_cmp_eq_u32 s10, 0
	s_cselect_b32 s10, s11, s10
	s_cselect_b32 s9, s12, s9
	s_lshl_b32 s10, s10, 23
	s_and_b32 s8, s8, 0x80000000
	s_add_i32 s10, s10, 0x3b800000
	s_lshl_b32 s9, s9, 20
	s_or_b32 s8, s8, s10
	s_or_b32 s12, s8, s9
	s_and_b32 s8, s12, 0x7fffffff
	s_cmp_gt_u32 s8, 0x477fffff
	v_mov_b32_e32 v1, 0x80
	s_cbranch_scc1 .LBB143_1364
.LBB143_1357:
	s_cmp_gt_u32 s8, 0x37ffffff
	s_cbranch_scc0 .LBB143_1359
; %bb.1358:
	s_bfe_u32 s8, s12, 0x10015
	s_add_i32 s8, s12, s8
	s_add_i32 s8, s8, 0x88fffff
	s_lshr_b32 s13, s8, 21
	s_mov_b64 s[10:11], 0
	s_mov_b64 s[8:9], -1
	s_branch .LBB143_1360
.LBB143_1359:
	s_mov_b64 s[10:11], -1
	s_mov_b64 s[8:9], 0
                                        ; implicit-def: $sgpr13
.LBB143_1360:
	s_andn2_b64 vcc, exec, s[10:11]
	v_mov_b32_e32 v0, s13
	s_cbranch_vccnz .LBB143_1362
; %bb.1361:
	v_mov_b32_e32 v0, 0x42800000
	v_add_f32_e64 v0, |s12|, v0
	v_and_b32_e32 v0, 0xff, v0
	v_cmp_ne_u32_e64 s[8:9], 0, v0
.LBB143_1362:
	s_andn2_b64 vcc, exec, s[8:9]
	v_mov_b32_e32 v1, 0
	s_cbranch_vccnz .LBB143_1364
; %bb.1363:
	s_lshr_b32 s8, s12, 24
	s_and_b32 s8, s8, 0x80
	v_or_b32_e32 v1, s8, v0
.LBB143_1364:
	global_store_byte v[9:10], v1, off
	s_mov_b64 s[8:9], 0
.LBB143_1365:
	s_and_b64 vcc, exec, s[8:9]
	s_cbranch_vccz .LBB143_1386
; %bb.1366:
	s_and_b32 s13, s16, 0xff
	s_cmpk_lt_i32 s13, 0x80
	s_cbranch_scc1 .LBB143_1370
; %bb.1367:
	s_and_b32 s8, 0xffff, s13
	s_cmpk_eq_i32 s8, 0x80
	s_mov_b64 s[8:9], -1
	s_cbranch_scc0 .LBB143_1369
; %bb.1368:
	s_mov_b64 s[8:9], 0
.LBB143_1369:
	s_mov_b64 s[10:11], 0
	s_branch .LBB143_1371
.LBB143_1370:
	s_mov_b64 s[10:11], -1
	s_mov_b64 s[8:9], 0
.LBB143_1371:
	s_mov_b32 s12, 0x7f800001
	s_and_b64 vcc, exec, s[10:11]
	s_cbranch_vccz .LBB143_1376
; %bb.1372:
	s_and_b32 s8, 0xffff, s13
	s_cmp_lg_u32 s8, 0
	s_mov_b32 s12, 0
	s_cselect_b64 s[8:9], -1, 0
	s_andn2_b64 vcc, exec, s[8:9]
	s_cbranch_vccz .LBB143_1377
.LBB143_1373:
	s_and_b32 s10, s12, 0x7fffffff
	s_cmp_lt_u32 s10, 0x43f00000
	s_cbranch_scc0 .LBB143_1378
.LBB143_1374:
	s_cmp_gt_u32 s10, 0x3c7fffff
	s_cbranch_scc0 .LBB143_1379
; %bb.1375:
	s_bfe_u32 s8, s12, 0x10014
	s_add_i32 s8, s12, s8
	s_add_i32 s8, s8, 0x407ffff
	s_lshr_b32 s9, s8, 20
	s_and_b32 s8, s8, 0xff00000
	s_cmp_lg_u32 s8, 0x7f00000
	s_cselect_b32 s11, s9, 0x7e
	s_mov_b64 s[8:9], 0
	s_branch .LBB143_1380
.LBB143_1376:
	s_andn2_b64 vcc, exec, s[8:9]
	s_cbranch_vccnz .LBB143_1373
.LBB143_1377:
	s_and_b32 s9, s16, 7
	s_flbit_i32_b32 s11, s9
	s_min_u32 s11, s11, 32
	s_sub_i32 s12, s11, 28
	s_lshl_b32 s12, s16, s12
	s_lshl_b32 s8, s16, 24
	s_bfe_u32 s10, s16, 0x40003
	s_sub_i32 s11, 29, s11
	s_and_b32 s12, s12, 7
	s_cmp_eq_u32 s10, 0
	s_cselect_b32 s10, s11, s10
	s_cselect_b32 s9, s12, s9
	s_lshl_b32 s10, s10, 23
	s_and_b32 s8, s8, 0x80000000
	s_add_i32 s10, s10, 0x3b800000
	s_lshl_b32 s9, s9, 20
	s_or_b32 s8, s8, s10
	s_or_b32 s12, s8, s9
	s_and_b32 s10, s12, 0x7fffffff
	s_cmp_lt_u32 s10, 0x43f00000
	s_cbranch_scc1 .LBB143_1374
.LBB143_1378:
	s_mov_b64 s[8:9], -1
                                        ; implicit-def: $vgpr0
	s_branch .LBB143_1383
.LBB143_1379:
	s_mov_b64 s[8:9], -1
                                        ; implicit-def: $sgpr11
.LBB143_1380:
	s_andn2_b64 vcc, exec, s[8:9]
	v_mov_b32_e32 v0, s11
	s_cbranch_vccnz .LBB143_1382
; %bb.1381:
	v_mov_b32_e32 v0, 0x46800000
	v_add_f32_e64 v0, |s12|, v0
.LBB143_1382:
	s_mov_b64 s[8:9], 0
.LBB143_1383:
	s_andn2_b64 vcc, exec, s[8:9]
	s_cbranch_vccnz .LBB143_1385
; %bb.1384:
	s_cmp_gt_u32 s10, 0x7f800000
	s_movk_i32 s8, 0x7f
	s_cselect_b32 s8, s8, 0x7e
	v_mov_b32_e32 v0, s8
.LBB143_1385:
	s_lshr_b32 s8, s12, 24
	s_and_b32 s8, s8, 0x80
	v_or_b32_e32 v0, s8, v0
	global_store_byte v[9:10], v0, off
.LBB143_1386:
	s_mov_b64 s[8:9], 0
.LBB143_1387:
	s_andn2_b64 vcc, exec, s[8:9]
	s_cbranch_vccnz .LBB143_1408
; %bb.1388:
	s_and_b32 s13, s16, 0xff
	s_cmpk_lt_i32 s13, 0x80
	s_cbranch_scc1 .LBB143_1392
; %bb.1389:
	s_and_b32 s8, 0xffff, s13
	s_cmpk_eq_i32 s8, 0x80
	s_mov_b64 s[8:9], -1
	s_cbranch_scc0 .LBB143_1391
; %bb.1390:
	s_mov_b64 s[8:9], 0
.LBB143_1391:
	s_mov_b64 s[10:11], 0
	s_branch .LBB143_1393
.LBB143_1392:
	s_mov_b64 s[10:11], -1
	s_mov_b64 s[8:9], 0
.LBB143_1393:
	s_mov_b32 s12, 0x7f800001
	s_and_b64 vcc, exec, s[10:11]
	s_cbranch_vccz .LBB143_1398
; %bb.1394:
	s_and_b32 s8, 0xffff, s13
	s_cmp_lg_u32 s8, 0
	s_mov_b32 s12, 0
	s_cselect_b64 s[8:9], -1, 0
	s_andn2_b64 vcc, exec, s[8:9]
	s_cbranch_vccz .LBB143_1399
.LBB143_1395:
	s_and_b32 s10, s12, 0x7fffffff
	s_cmp_lt_u32 s10, 0x47800000
	s_cbranch_scc0 .LBB143_1400
.LBB143_1396:
	s_cmp_gt_u32 s10, 0x387fffff
	s_cbranch_scc0 .LBB143_1401
; %bb.1397:
	s_bfe_u32 s8, s12, 0x10015
	s_add_i32 s8, s12, s8
	s_add_i32 s8, s8, 0x80fffff
	s_lshr_b32 s11, s8, 21
	s_mov_b64 s[8:9], 0
	s_branch .LBB143_1402
.LBB143_1398:
	s_andn2_b64 vcc, exec, s[8:9]
	s_cbranch_vccnz .LBB143_1395
.LBB143_1399:
	s_and_b32 s9, s16, 7
	s_flbit_i32_b32 s11, s9
	s_min_u32 s11, s11, 32
	s_sub_i32 s12, s11, 28
	s_lshl_b32 s12, s16, s12
	s_lshl_b32 s8, s16, 24
	s_bfe_u32 s10, s16, 0x40003
	s_sub_i32 s11, 29, s11
	s_and_b32 s12, s12, 7
	s_cmp_eq_u32 s10, 0
	s_cselect_b32 s10, s11, s10
	s_cselect_b32 s9, s12, s9
	s_lshl_b32 s10, s10, 23
	s_and_b32 s8, s8, 0x80000000
	s_add_i32 s10, s10, 0x3b800000
	s_lshl_b32 s9, s9, 20
	s_or_b32 s8, s8, s10
	s_or_b32 s12, s8, s9
	s_and_b32 s10, s12, 0x7fffffff
	s_cmp_lt_u32 s10, 0x47800000
	s_cbranch_scc1 .LBB143_1396
.LBB143_1400:
	s_mov_b64 s[8:9], -1
                                        ; implicit-def: $vgpr0
	s_branch .LBB143_1405
.LBB143_1401:
	s_mov_b64 s[8:9], -1
                                        ; implicit-def: $sgpr11
.LBB143_1402:
	s_andn2_b64 vcc, exec, s[8:9]
	v_mov_b32_e32 v0, s11
	s_cbranch_vccnz .LBB143_1404
; %bb.1403:
	v_mov_b32_e32 v0, 0x43000000
	v_add_f32_e64 v0, |s12|, v0
.LBB143_1404:
	s_mov_b64 s[8:9], 0
.LBB143_1405:
	s_andn2_b64 vcc, exec, s[8:9]
	s_cbranch_vccnz .LBB143_1407
; %bb.1406:
	s_cmp_gt_u32 s10, 0x7f800000
	s_movk_i32 s8, 0x7f
	s_cselect_b32 s8, s8, 0x7c
	v_mov_b32_e32 v0, s8
.LBB143_1407:
	s_lshr_b32 s8, s12, 24
	s_and_b32 s8, s8, 0x80
	v_or_b32_e32 v0, s8, v0
	global_store_byte v[9:10], v0, off
.LBB143_1408:
	s_mov_b64 s[8:9], 0
	s_mov_b64 s[10:11], -1
.LBB143_1409:
	s_andn2_b64 vcc, exec, s[8:9]
	s_mov_b64 s[8:9], 0
	s_cbranch_vccnz .LBB143_1424
; %bb.1410:
	s_cmp_gt_i32 s15, 14
	s_mov_b64 s[12:13], -1
	s_cbranch_scc0 .LBB143_1422
; %bb.1411:
	s_cmp_eq_u32 s15, 15
	s_mov_b64 s[0:1], -1
	s_cbranch_scc0 .LBB143_1421
; %bb.1412:
	s_and_b32 s10, s16, 0xff
	s_cmpk_lt_i32 s10, 0x80
	s_cbranch_scc1 .LBB143_1417
; %bb.1413:
	s_and_b32 s0, 0xffff, s10
	s_cmpk_eq_i32 s0, 0x80
	s_mov_b64 s[0:1], -1
	s_cbranch_scc0 .LBB143_1415
; %bb.1414:
	s_mov_b64 s[0:1], 0
	s_mov_b32 s11, 0x7f800001
	s_and_b64 vcc, exec, s[8:9]
	s_cbranch_vccz .LBB143_1418
	s_branch .LBB143_1416
.LBB143_1415:
	s_mov_b32 s11, 0x7f800001
	s_and_b64 vcc, exec, s[8:9]
	s_cbranch_vccz .LBB143_1418
.LBB143_1416:
	s_and_b32 s0, 0xffff, s10
	s_cmp_lg_u32 s0, 0
	s_mov_b32 s11, 0
	s_cselect_b64 s[0:1], -1, 0
	s_andn2_b64 vcc, exec, s[0:1]
	s_cbranch_vccz .LBB143_1419
	s_branch .LBB143_1420
.LBB143_1417:
	s_mov_b64 s[0:1], 0
	s_mov_b32 s11, 0x7f800001
	s_cbranch_execnz .LBB143_1416
.LBB143_1418:
	s_andn2_b64 vcc, exec, s[0:1]
	s_cbranch_vccnz .LBB143_1420
.LBB143_1419:
	s_and_b32 s1, s16, 7
	s_flbit_i32_b32 s9, s1
	s_min_u32 s9, s9, 32
	s_sub_i32 s10, s9, 28
	s_lshl_b32 s10, s16, s10
	s_lshl_b32 s0, s16, 24
	s_bfe_u32 s8, s16, 0x40003
	s_sub_i32 s9, 29, s9
	s_and_b32 s10, s10, 7
	s_cmp_eq_u32 s8, 0
	s_cselect_b32 s8, s9, s8
	s_cselect_b32 s1, s10, s1
	s_lshl_b32 s8, s8, 23
	s_and_b32 s0, s0, 0x80000000
	s_add_i32 s8, s8, 0x3b800000
	s_lshl_b32 s1, s1, 20
	s_or_b32 s0, s0, s8
	s_or_b32 s11, s0, s1
.LBB143_1420:
	s_bfe_u32 s0, s11, 0x10010
	s_add_i32 s0, s11, s0
	s_addk_i32 s0, 0x7fff
	s_lshr_b32 s8, s0, 16
	v_cmp_o_f32_e64 s[0:1], s11, s11
	s_and_b64 s[0:1], s[0:1], exec
	s_cselect_b32 s0, s8, 0x7fc0
	v_mov_b32_e32 v0, s0
	global_store_short v[9:10], v0, off
	s_mov_b64 s[0:1], 0
	s_mov_b64 s[10:11], -1
.LBB143_1421:
	s_mov_b64 s[12:13], 0
.LBB143_1422:
	s_mov_b64 s[8:9], 0
	s_and_b64 vcc, exec, s[12:13]
	s_cbranch_vccz .LBB143_1424
; %bb.1423:
	s_cmp_lg_u32 s15, 11
	s_mov_b64 s[8:9], -1
	s_cselect_b64 s[0:1], -1, 0
.LBB143_1424:
	s_and_b64 vcc, exec, s[0:1]
	s_mov_b64 s[0:1], s[6:7]
	s_cbranch_vccnz .LBB143_1436
; %bb.1425:
	s_andn2_b64 vcc, exec, s[8:9]
	s_cbranch_vccnz .LBB143_1427
.LBB143_1426:
	s_and_b32 s8, s16, 0xff
	s_cmp_lg_u32 s8, 0
	s_cselect_b64 s[8:9], -1, 0
	v_cndmask_b32_e64 v0, 0, 1, s[8:9]
	s_mov_b64 s[10:11], -1
	global_store_byte v[9:10], v0, off
.LBB143_1427:
	s_branch .LBB143_1285
.LBB143_1428:
	s_and_b32 s12, 0xffff, s14
	s_cmp_lt_i32 s12, 5
	s_mov_b64 s[8:9], -1
	s_cbranch_scc1 .LBB143_1506
; %bb.1429:
	s_cmp_lt_i32 s12, 8
	s_cbranch_scc1 .LBB143_1468
; %bb.1430:
	s_cmp_lt_i32 s12, 9
	s_cbranch_scc1 .LBB143_1456
; %bb.1431:
	s_cmp_gt_i32 s12, 9
	s_cbranch_scc0 .LBB143_1444
; %bb.1432:
	s_and_b32 s13, s16, 0xff
	s_cmpk_lt_i32 s13, 0x80
	s_cbranch_scc1 .LBB143_1437
; %bb.1433:
	s_and_b32 s8, 0xffff, s13
	s_cmpk_eq_i32 s8, 0x80
	s_mov_b64 s[8:9], -1
	s_cbranch_scc0 .LBB143_1435
; %bb.1434:
	s_mov_b64 s[8:9], 0
.LBB143_1435:
	s_mov_b64 s[10:11], 0
	s_branch .LBB143_1438
.LBB143_1436:
	s_or_b64 s[0:1], s[6:7], exec
	s_trap 2
	s_cbranch_execz .LBB143_1426
	s_branch .LBB143_1427
.LBB143_1437:
	s_mov_b64 s[10:11], -1
	s_mov_b64 s[8:9], 0
.LBB143_1438:
	s_and_b64 vcc, exec, s[10:11]
	s_cbranch_vccz .LBB143_1440
; %bb.1439:
	s_and_b32 s8, 0xffff, s13
	s_cmp_lg_u32 s8, 0
	s_mov_b64 s[10:11], 0
	s_cselect_b64 s[8:9], -1, 0
	s_branch .LBB143_1441
.LBB143_1440:
	s_mov_b32 s11, 0x7ff80000
	s_brev_b32 s10, 4
.LBB143_1441:
	v_mov_b32_e32 v0, s10
	s_andn2_b64 vcc, exec, s[8:9]
	v_mov_b32_e32 v1, s11
	s_cbranch_vccnz .LBB143_1443
; %bb.1442:
	s_and_b32 s9, s16, 7
	s_flbit_i32_b32 s11, s9
	s_min_u32 s11, s11, 32
	s_sub_i32 s13, s11, 28
	s_lshl_b32 s13, s16, s13
	s_lshl_b32 s8, s16, 24
	s_bfe_u32 s10, s16, 0x40003
	s_sub_i32 s11, 29, s11
	s_and_b32 s13, s13, 7
	s_cmp_eq_u32 s10, 0
	s_cselect_b32 s10, s11, s10
	s_cselect_b32 s9, s13, s9
	s_lshl_b32 s10, s10, 23
	s_and_b32 s8, s8, 0x80000000
	s_add_i32 s10, s10, 0x3b800000
	s_lshl_b32 s9, s9, 20
	s_or_b32 s8, s8, s10
	s_or_b32 s8, s8, s9
	v_cvt_f64_f32_e32 v[0:1], s8
.LBB143_1443:
	v_mov_b32_e32 v2, 0
	v_mov_b32_e32 v3, v2
	global_store_dwordx4 v[9:10], v[0:3], off
	s_mov_b64 s[8:9], 0
.LBB143_1444:
	s_and_b64 vcc, exec, s[8:9]
	s_cbranch_vccz .LBB143_1455
; %bb.1445:
	s_and_b32 s13, s16, 0xff
	s_cmpk_lt_i32 s13, 0x80
	s_cbranch_scc1 .LBB143_1449
; %bb.1446:
	s_and_b32 s8, 0xffff, s13
	s_cmpk_eq_i32 s8, 0x80
	s_mov_b64 s[8:9], -1
	s_cbranch_scc0 .LBB143_1448
; %bb.1447:
	s_mov_b64 s[8:9], 0
.LBB143_1448:
	s_mov_b64 s[10:11], 0
	s_branch .LBB143_1450
.LBB143_1449:
	s_mov_b64 s[10:11], -1
	s_mov_b64 s[8:9], 0
.LBB143_1450:
	s_mov_b32 s15, 0x7f800001
	s_and_b64 vcc, exec, s[10:11]
	s_cbranch_vccz .LBB143_1452
; %bb.1451:
	s_and_b32 s15, 0xffff, s13
	s_cmp_lg_u32 s15, 0
	s_cselect_b64 s[8:9], -1, 0
.LBB143_1452:
	s_andn2_b64 vcc, exec, s[8:9]
	s_cbranch_vccnz .LBB143_1454
; %bb.1453:
	s_and_b32 s9, s16, 7
	s_flbit_i32_b32 s11, s9
	s_min_u32 s11, s11, 32
	s_sub_i32 s13, s11, 28
	s_lshl_b32 s13, s16, s13
	s_lshl_b32 s8, s16, 24
	s_bfe_u32 s10, s16, 0x40003
	s_sub_i32 s11, 29, s11
	s_and_b32 s13, s13, 7
	s_cmp_eq_u32 s10, 0
	s_cselect_b32 s10, s11, s10
	s_cselect_b32 s9, s13, s9
	s_lshl_b32 s10, s10, 23
	s_and_b32 s8, s8, 0x80000000
	s_add_i32 s10, s10, 0x3b800000
	s_lshl_b32 s9, s9, 20
	s_or_b32 s8, s8, s10
	s_or_b32 s15, s8, s9
.LBB143_1454:
	v_mov_b32_e32 v0, s15
	v_mov_b32_e32 v1, 0
	global_store_dwordx2 v[9:10], v[0:1], off
.LBB143_1455:
	s_mov_b64 s[8:9], 0
.LBB143_1456:
	s_andn2_b64 vcc, exec, s[8:9]
	s_cbranch_vccnz .LBB143_1467
; %bb.1457:
	s_and_b32 s13, s16, 0xff
	s_cmpk_lt_i32 s13, 0x80
	s_cbranch_scc1 .LBB143_1461
; %bb.1458:
	s_and_b32 s8, 0xffff, s13
	s_cmpk_eq_i32 s8, 0x80
	s_mov_b64 s[8:9], -1
	s_cbranch_scc0 .LBB143_1460
; %bb.1459:
	s_mov_b64 s[8:9], 0
.LBB143_1460:
	s_mov_b64 s[10:11], 0
	s_branch .LBB143_1462
.LBB143_1461:
	s_mov_b64 s[10:11], -1
	s_mov_b64 s[8:9], 0
.LBB143_1462:
	s_movk_i32 s15, 0x7e00
	s_and_b64 vcc, exec, s[10:11]
	s_cbranch_vccz .LBB143_1464
; %bb.1463:
	s_and_b32 s15, 0xffff, s13
	s_cmp_lg_u32 s15, 0
	s_cselect_b64 s[8:9], -1, 0
.LBB143_1464:
	s_andn2_b64 vcc, exec, s[8:9]
	v_mov_b32_e32 v0, s15
	s_cbranch_vccnz .LBB143_1466
; %bb.1465:
	s_and_b32 s9, s16, 7
	s_flbit_i32_b32 s11, s9
	s_min_u32 s11, s11, 32
	s_sub_i32 s13, s11, 28
	s_lshl_b32 s13, s16, s13
	s_lshl_b32 s8, s16, 24
	s_bfe_u32 s10, s16, 0x40003
	s_sub_i32 s11, 29, s11
	s_and_b32 s13, s13, 7
	s_cmp_eq_u32 s10, 0
	s_cselect_b32 s10, s11, s10
	s_cselect_b32 s9, s13, s9
	s_lshl_b32 s10, s10, 23
	s_and_b32 s8, s8, 0x80000000
	s_add_i32 s10, s10, 0x3b800000
	s_lshl_b32 s9, s9, 20
	s_or_b32 s8, s8, s10
	s_or_b32 s8, s8, s9
	v_cvt_f16_f32_e32 v0, s8
.LBB143_1466:
	global_store_dword v[9:10], v0, off
.LBB143_1467:
	s_mov_b64 s[8:9], 0
.LBB143_1468:
	s_andn2_b64 vcc, exec, s[8:9]
	s_cbranch_vccnz .LBB143_1505
; %bb.1469:
	s_cmp_lt_i32 s12, 6
	s_mov_b64 s[8:9], -1
	s_cbranch_scc1 .LBB143_1494
; %bb.1470:
	s_cmp_gt_i32 s12, 6
	s_cbranch_scc0 .LBB143_1482
; %bb.1471:
	s_and_b32 s13, s16, 0xff
	s_cmpk_lt_i32 s13, 0x80
	s_cbranch_scc1 .LBB143_1475
; %bb.1472:
	s_and_b32 s8, 0xffff, s13
	s_cmpk_eq_i32 s8, 0x80
	s_mov_b64 s[8:9], -1
	s_cbranch_scc0 .LBB143_1474
; %bb.1473:
	s_mov_b64 s[8:9], 0
.LBB143_1474:
	s_mov_b64 s[10:11], 0
	s_branch .LBB143_1476
.LBB143_1475:
	s_mov_b64 s[10:11], -1
	s_mov_b64 s[8:9], 0
.LBB143_1476:
	s_and_b64 vcc, exec, s[10:11]
	s_cbranch_vccz .LBB143_1478
; %bb.1477:
	s_and_b32 s8, 0xffff, s13
	s_cmp_lg_u32 s8, 0
	s_mov_b64 s[10:11], 0
	s_cselect_b64 s[8:9], -1, 0
	s_branch .LBB143_1479
.LBB143_1478:
	s_mov_b32 s11, 0x7ff80000
	s_brev_b32 s10, 4
.LBB143_1479:
	v_mov_b32_e32 v0, s10
	s_andn2_b64 vcc, exec, s[8:9]
	v_mov_b32_e32 v1, s11
	s_cbranch_vccnz .LBB143_1481
; %bb.1480:
	s_and_b32 s9, s16, 7
	s_flbit_i32_b32 s11, s9
	s_min_u32 s11, s11, 32
	s_sub_i32 s13, s11, 28
	s_lshl_b32 s13, s16, s13
	s_lshl_b32 s8, s16, 24
	s_bfe_u32 s10, s16, 0x40003
	s_sub_i32 s11, 29, s11
	s_and_b32 s13, s13, 7
	s_cmp_eq_u32 s10, 0
	s_cselect_b32 s10, s11, s10
	s_cselect_b32 s9, s13, s9
	s_lshl_b32 s10, s10, 23
	s_and_b32 s8, s8, 0x80000000
	s_add_i32 s10, s10, 0x3b800000
	s_lshl_b32 s9, s9, 20
	s_or_b32 s8, s8, s10
	s_or_b32 s8, s8, s9
	v_cvt_f64_f32_e32 v[0:1], s8
.LBB143_1481:
	global_store_dwordx2 v[9:10], v[0:1], off
	s_mov_b64 s[8:9], 0
.LBB143_1482:
	s_and_b64 vcc, exec, s[8:9]
	s_cbranch_vccz .LBB143_1493
; %bb.1483:
	s_and_b32 s13, s16, 0xff
	s_cmpk_lt_i32 s13, 0x80
	s_cbranch_scc1 .LBB143_1487
; %bb.1484:
	s_and_b32 s8, 0xffff, s13
	s_cmpk_eq_i32 s8, 0x80
	s_mov_b64 s[8:9], -1
	s_cbranch_scc0 .LBB143_1486
; %bb.1485:
	s_mov_b64 s[8:9], 0
.LBB143_1486:
	s_mov_b64 s[10:11], 0
	s_branch .LBB143_1488
.LBB143_1487:
	s_mov_b64 s[10:11], -1
	s_mov_b64 s[8:9], 0
.LBB143_1488:
	s_mov_b32 s15, 0x7f800001
	s_and_b64 vcc, exec, s[10:11]
	s_cbranch_vccz .LBB143_1490
; %bb.1489:
	s_and_b32 s15, 0xffff, s13
	s_cmp_lg_u32 s15, 0
	s_cselect_b64 s[8:9], -1, 0
.LBB143_1490:
	s_andn2_b64 vcc, exec, s[8:9]
	s_cbranch_vccnz .LBB143_1492
; %bb.1491:
	s_and_b32 s9, s16, 7
	s_flbit_i32_b32 s11, s9
	s_min_u32 s11, s11, 32
	s_sub_i32 s13, s11, 28
	s_lshl_b32 s13, s16, s13
	s_lshl_b32 s8, s16, 24
	s_bfe_u32 s10, s16, 0x40003
	s_sub_i32 s11, 29, s11
	s_and_b32 s13, s13, 7
	s_cmp_eq_u32 s10, 0
	s_cselect_b32 s10, s11, s10
	s_cselect_b32 s9, s13, s9
	s_lshl_b32 s10, s10, 23
	s_and_b32 s8, s8, 0x80000000
	s_add_i32 s10, s10, 0x3b800000
	s_lshl_b32 s9, s9, 20
	s_or_b32 s8, s8, s10
	s_or_b32 s15, s8, s9
.LBB143_1492:
	v_mov_b32_e32 v0, s15
	global_store_dword v[9:10], v0, off
.LBB143_1493:
	s_mov_b64 s[8:9], 0
.LBB143_1494:
	s_andn2_b64 vcc, exec, s[8:9]
	s_cbranch_vccnz .LBB143_1505
; %bb.1495:
	s_and_b32 s13, s16, 0xff
	s_cmpk_lt_i32 s13, 0x80
	s_cbranch_scc1 .LBB143_1499
; %bb.1496:
	s_and_b32 s8, 0xffff, s13
	s_cmpk_eq_i32 s8, 0x80
	s_mov_b64 s[8:9], -1
	s_cbranch_scc0 .LBB143_1498
; %bb.1497:
	s_mov_b64 s[8:9], 0
.LBB143_1498:
	s_mov_b64 s[10:11], 0
	s_branch .LBB143_1500
.LBB143_1499:
	s_mov_b64 s[10:11], -1
	s_mov_b64 s[8:9], 0
.LBB143_1500:
	s_movk_i32 s15, 0x7e00
	s_and_b64 vcc, exec, s[10:11]
	s_cbranch_vccz .LBB143_1502
; %bb.1501:
	s_and_b32 s8, 0xffff, s13
	s_cmp_lg_u32 s8, 0
	s_cselect_b64 s[8:9], -1, 0
	s_mov_b32 s15, s13
.LBB143_1502:
	s_andn2_b64 vcc, exec, s[8:9]
	v_mov_b32_e32 v0, s15
	s_cbranch_vccnz .LBB143_1504
; %bb.1503:
	s_and_b32 s9, s16, 7
	s_flbit_i32_b32 s11, s9
	s_min_u32 s11, s11, 32
	s_sub_i32 s13, s11, 28
	s_lshl_b32 s13, s16, s13
	s_lshl_b32 s8, s16, 24
	s_bfe_u32 s10, s16, 0x40003
	s_sub_i32 s11, 29, s11
	s_and_b32 s13, s13, 7
	s_cmp_eq_u32 s10, 0
	s_cselect_b32 s10, s11, s10
	s_cselect_b32 s9, s13, s9
	s_lshl_b32 s10, s10, 23
	s_and_b32 s8, s8, 0x80000000
	s_add_i32 s10, s10, 0x3b800000
	s_lshl_b32 s9, s9, 20
	s_or_b32 s8, s8, s10
	s_or_b32 s8, s8, s9
	v_cvt_f16_f32_e32 v0, s8
.LBB143_1504:
	global_store_short v[9:10], v0, off
.LBB143_1505:
	s_mov_b64 s[8:9], 0
.LBB143_1506:
	s_andn2_b64 vcc, exec, s[8:9]
	s_cbranch_vccnz .LBB143_1557
; %bb.1507:
	s_cmp_lt_i32 s12, 2
	s_mov_b64 s[8:9], -1
	s_cbranch_scc1 .LBB143_1538
; %bb.1508:
	s_cmp_lt_i32 s12, 3
	s_cbranch_scc1 .LBB143_1528
; %bb.1509:
	s_cmp_gt_i32 s12, 3
	s_cbranch_scc0 .LBB143_1518
; %bb.1510:
	s_and_b32 s13, s16, 0xff
	s_cmpk_lt_i32 s13, 0x80
	s_cbranch_scc1 .LBB143_1512
; %bb.1511:
	s_and_b32 s8, 0xffff, s13
	s_cmpk_lg_i32 s8, 0x80
	s_mov_b64 s[10:11], 0
	s_cselect_b64 s[8:9], -1, 0
	s_branch .LBB143_1513
.LBB143_1512:
	s_mov_b64 s[10:11], -1
	s_mov_b64 s[8:9], 0
.LBB143_1513:
	s_andn2_b64 vcc, exec, s[10:11]
	s_cbranch_vccnz .LBB143_1515
; %bb.1514:
	s_and_b32 s8, 0xffff, s13
	s_cmp_lg_u32 s8, 0
	s_cselect_b64 s[8:9], -1, 0
.LBB143_1515:
	v_mov_b32_e32 v0, 0
	s_andn2_b64 vcc, exec, s[8:9]
	v_mov_b32_e32 v1, 0
	s_cbranch_vccnz .LBB143_1517
; %bb.1516:
	s_and_b32 s9, s16, 7
	s_flbit_i32_b32 s11, s9
	s_min_u32 s11, s11, 32
	s_sub_i32 s13, s11, 28
	s_lshl_b32 s13, s16, s13
	s_lshl_b32 s8, s16, 24
	s_bfe_u32 s10, s16, 0x40003
	s_sub_i32 s11, 29, s11
	s_and_b32 s13, s13, 7
	s_cmp_eq_u32 s10, 0
	s_cselect_b32 s10, s11, s10
	s_cselect_b32 s9, s13, s9
	s_lshl_b32 s10, s10, 23
	s_and_b32 s8, s8, 0x80000000
	s_add_i32 s10, s10, 0x3b800000
	s_lshl_b32 s9, s9, 20
	s_or_b32 s8, s8, s10
	s_or_b32 s8, s8, s9
	v_trunc_f32_e32 v0, s8
	s_mov_b32 s8, 0x2f800000
	v_mul_f32_e64 v1, |v0|, s8
	v_floor_f32_e32 v1, v1
	s_mov_b32 s8, 0xcf800000
	v_fma_f32 v2, v1, s8, |v0|
	v_cvt_u32_f32_e32 v2, v2
	v_cvt_u32_f32_e32 v1, v1
	v_ashrrev_i32_e32 v3, 31, v0
	v_xor_b32_e32 v0, v2, v3
	v_xor_b32_e32 v1, v1, v3
	v_sub_co_u32_e32 v0, vcc, v0, v3
	v_subb_co_u32_e32 v1, vcc, v1, v3, vcc
.LBB143_1517:
	global_store_dwordx2 v[9:10], v[0:1], off
	s_mov_b64 s[8:9], 0
.LBB143_1518:
	s_and_b64 vcc, exec, s[8:9]
	s_cbranch_vccz .LBB143_1527
; %bb.1519:
	s_and_b32 s13, s16, 0xff
	s_cmpk_lt_i32 s13, 0x80
	s_cbranch_scc1 .LBB143_1521
; %bb.1520:
	s_and_b32 s8, 0xffff, s13
	s_cmpk_lg_i32 s8, 0x80
	s_mov_b64 s[10:11], 0
	s_cselect_b64 s[8:9], -1, 0
	s_branch .LBB143_1522
.LBB143_1521:
	s_mov_b64 s[10:11], -1
	s_mov_b64 s[8:9], 0
.LBB143_1522:
	s_andn2_b64 vcc, exec, s[10:11]
	s_cbranch_vccnz .LBB143_1524
; %bb.1523:
	s_and_b32 s8, 0xffff, s13
	s_cmp_lg_u32 s8, 0
	s_cselect_b64 s[8:9], -1, 0
.LBB143_1524:
	s_andn2_b64 vcc, exec, s[8:9]
	v_mov_b32_e32 v0, 0
	s_cbranch_vccnz .LBB143_1526
; %bb.1525:
	s_and_b32 s9, s16, 7
	s_flbit_i32_b32 s11, s9
	s_min_u32 s11, s11, 32
	s_sub_i32 s13, s11, 28
	s_lshl_b32 s13, s16, s13
	s_lshl_b32 s8, s16, 24
	s_bfe_u32 s10, s16, 0x40003
	s_sub_i32 s11, 29, s11
	s_and_b32 s13, s13, 7
	s_cmp_eq_u32 s10, 0
	s_cselect_b32 s10, s11, s10
	s_cselect_b32 s9, s13, s9
	s_lshl_b32 s10, s10, 23
	s_and_b32 s8, s8, 0x80000000
	s_add_i32 s10, s10, 0x3b800000
	s_lshl_b32 s9, s9, 20
	s_or_b32 s8, s8, s10
	s_or_b32 s8, s8, s9
	v_cvt_i32_f32_e32 v0, s8
.LBB143_1526:
	global_store_dword v[9:10], v0, off
.LBB143_1527:
	s_mov_b64 s[8:9], 0
.LBB143_1528:
	s_andn2_b64 vcc, exec, s[8:9]
	s_cbranch_vccnz .LBB143_1537
; %bb.1529:
	s_and_b32 s13, s16, 0xff
	s_cmpk_lt_i32 s13, 0x80
	s_cbranch_scc1 .LBB143_1531
; %bb.1530:
	s_and_b32 s8, 0xffff, s13
	s_cmpk_lg_i32 s8, 0x80
	s_mov_b64 s[10:11], 0
	s_cselect_b64 s[8:9], -1, 0
	s_branch .LBB143_1532
.LBB143_1531:
	s_mov_b64 s[10:11], -1
	s_mov_b64 s[8:9], 0
.LBB143_1532:
	s_andn2_b64 vcc, exec, s[10:11]
	s_cbranch_vccnz .LBB143_1534
; %bb.1533:
	s_and_b32 s8, 0xffff, s13
	s_cmp_lg_u32 s8, 0
	s_cselect_b64 s[8:9], -1, 0
.LBB143_1534:
	s_andn2_b64 vcc, exec, s[8:9]
	v_mov_b32_e32 v0, 0
	s_cbranch_vccnz .LBB143_1536
; %bb.1535:
	s_and_b32 s9, s16, 7
	s_flbit_i32_b32 s11, s9
	s_min_u32 s11, s11, 32
	s_sub_i32 s13, s11, 28
	s_lshl_b32 s13, s16, s13
	s_lshl_b32 s8, s16, 24
	s_bfe_u32 s10, s16, 0x40003
	s_sub_i32 s11, 29, s11
	s_and_b32 s13, s13, 7
	s_cmp_eq_u32 s10, 0
	s_cselect_b32 s10, s11, s10
	s_cselect_b32 s9, s13, s9
	s_lshl_b32 s10, s10, 23
	s_and_b32 s8, s8, 0x80000000
	s_add_i32 s10, s10, 0x3b800000
	s_lshl_b32 s9, s9, 20
	s_or_b32 s8, s8, s10
	s_or_b32 s8, s8, s9
	v_cvt_i32_f32_e32 v0, s8
.LBB143_1536:
	global_store_short v[9:10], v0, off
.LBB143_1537:
	s_mov_b64 s[8:9], 0
.LBB143_1538:
	s_andn2_b64 vcc, exec, s[8:9]
	s_cbranch_vccnz .LBB143_1557
; %bb.1539:
	s_cmp_gt_i32 s12, 0
	s_mov_b64 s[8:9], -1
	s_cbranch_scc0 .LBB143_1548
; %bb.1540:
	s_and_b32 s12, s16, 0xff
	s_cmpk_lt_i32 s12, 0x80
	s_cbranch_scc1 .LBB143_1542
; %bb.1541:
	s_and_b32 s8, 0xffff, s12
	s_cmpk_lg_i32 s8, 0x80
	s_mov_b64 s[10:11], 0
	s_cselect_b64 s[8:9], -1, 0
	s_branch .LBB143_1543
.LBB143_1542:
	s_mov_b64 s[10:11], -1
	s_mov_b64 s[8:9], 0
.LBB143_1543:
	s_andn2_b64 vcc, exec, s[10:11]
	s_cbranch_vccnz .LBB143_1545
; %bb.1544:
	s_and_b32 s8, 0xffff, s12
	s_cmp_lg_u32 s8, 0
	s_cselect_b64 s[8:9], -1, 0
.LBB143_1545:
	s_andn2_b64 vcc, exec, s[8:9]
	v_mov_b32_e32 v0, 0
	s_cbranch_vccnz .LBB143_1547
; %bb.1546:
	s_and_b32 s9, s16, 7
	s_flbit_i32_b32 s11, s9
	s_min_u32 s11, s11, 32
	s_sub_i32 s12, s11, 28
	s_lshl_b32 s12, s16, s12
	s_lshl_b32 s8, s16, 24
	s_bfe_u32 s10, s16, 0x40003
	s_sub_i32 s11, 29, s11
	s_and_b32 s12, s12, 7
	s_cmp_eq_u32 s10, 0
	s_cselect_b32 s10, s11, s10
	s_cselect_b32 s9, s12, s9
	s_lshl_b32 s10, s10, 23
	s_and_b32 s8, s8, 0x80000000
	s_add_i32 s10, s10, 0x3b800000
	s_lshl_b32 s9, s9, 20
	s_or_b32 s8, s8, s10
	s_or_b32 s8, s8, s9
	v_cvt_i32_f32_e32 v0, s8
.LBB143_1547:
	global_store_byte v[9:10], v0, off
	s_mov_b64 s[8:9], 0
.LBB143_1548:
	s_and_b64 vcc, exec, s[8:9]
	s_cbranch_vccz .LBB143_1557
; %bb.1549:
	s_and_b32 s12, s16, 0xff
	s_cmpk_lt_i32 s12, 0x80
	s_cbranch_scc1 .LBB143_1551
; %bb.1550:
	s_and_b32 s8, 0xffff, s12
	s_cmpk_lg_i32 s8, 0x80
	s_mov_b64 s[10:11], 0
	s_cselect_b64 s[8:9], -1, 0
	s_branch .LBB143_1552
.LBB143_1551:
	s_mov_b64 s[10:11], -1
	s_mov_b64 s[8:9], 0
.LBB143_1552:
	s_andn2_b64 vcc, exec, s[10:11]
	s_cbranch_vccnz .LBB143_1554
; %bb.1553:
	s_and_b32 s8, 0xffff, s12
	s_cmp_lg_u32 s8, 0
	s_cselect_b64 s[8:9], -1, 0
.LBB143_1554:
	s_andn2_b64 vcc, exec, s[8:9]
	v_mov_b32_e32 v0, 0
	s_cbranch_vccnz .LBB143_1556
; %bb.1555:
	s_and_b32 s9, s16, 7
	s_flbit_i32_b32 s11, s9
	s_min_u32 s11, s11, 32
	s_sub_i32 s12, s11, 28
	s_lshl_b32 s12, s16, s12
	s_lshl_b32 s8, s16, 24
	s_bfe_u32 s10, s16, 0x40003
	s_sub_i32 s11, 29, s11
	s_and_b32 s12, s12, 7
	s_cmp_eq_u32 s10, 0
	s_cselect_b32 s10, s11, s10
	s_cselect_b32 s9, s12, s9
	s_lshl_b32 s10, s10, 23
	s_and_b32 s8, s8, 0x80000000
	s_add_i32 s10, s10, 0x3b800000
	s_lshl_b32 s9, s9, 20
	s_or_b32 s8, s8, s10
	s_or_b32 s8, s8, s9
	v_trunc_f32_e32 v0, s8
	s_mov_b32 s8, 0x2f800000
	v_mul_f32_e64 v1, |v0|, s8
	v_floor_f32_e32 v1, v1
	s_mov_b32 s8, 0xcf800000
	v_fma_f32 v1, v1, s8, |v0|
	v_cvt_u32_f32_e32 v1, v1
	v_ashrrev_i32_e32 v0, 31, v0
	v_xor_b32_e32 v1, v1, v0
	v_sub_u32_e32 v0, v1, v0
.LBB143_1556:
	global_store_byte v[9:10], v0, off
.LBB143_1557:
.LBB143_1558:
	v_mov_b32_e32 v0, s3
	s_and_b32 s17, 0xffff, s14
	v_add_co_u32_e32 v7, vcc, s2, v8
	s_cmp_lt_i32 s17, 11
	v_addc_co_u32_e32 v8, vcc, 0, v0, vcc
	s_cbranch_scc1 .LBB143_1567
; %bb.1559:
	s_mov_b64 s[14:15], -1
	s_mov_b64 s[10:11], 0
	s_cmp_gt_i32 s17, 25
	s_mov_b64 s[12:13], 0
	s_mov_b64 s[8:9], 0
	s_cbranch_scc0 .LBB143_1626
; %bb.1560:
	s_cmp_gt_i32 s17, 28
	s_cbranch_scc0 .LBB143_1601
; %bb.1561:
	s_cmp_gt_i32 s17, 43
	;; [unrolled: 3-line block ×3, first 2 shown]
	s_cbranch_scc0 .LBB143_1575
; %bb.1563:
	s_mov_b64 s[8:9], -1
	s_mov_b64 s[14:15], 0
	s_cmp_eq_u32 s17, 46
	s_cbranch_scc0 .LBB143_1575
; %bb.1564:
	s_and_b32 s18, s16, 0xff
	s_cmpk_lt_i32 s18, 0x80
	s_cbranch_scc1 .LBB143_1571
; %bb.1565:
	s_and_b32 s8, 0xffff, s18
	s_cmpk_eq_i32 s8, 0x80
	s_mov_b64 s[8:9], -1
	s_cbranch_scc0 .LBB143_1569
; %bb.1566:
	s_mov_b64 s[8:9], 0
	s_mov_b32 s19, 0x7f800001
	s_and_b64 vcc, exec, s[12:13]
	s_cbranch_vccz .LBB143_1572
	s_branch .LBB143_1570
.LBB143_1567:
	s_mov_b64 s[12:13], 0
	s_cbranch_execnz .LBB143_1711
.LBB143_1568:
	s_andn2_b64 vcc, exec, s[12:13]
	s_cbranch_vccz .LBB143_1841
	s_branch .LBB143_2135
.LBB143_1569:
	s_mov_b32 s19, 0x7f800001
	s_and_b64 vcc, exec, s[12:13]
	s_cbranch_vccz .LBB143_1572
.LBB143_1570:
	s_and_b32 s8, 0xffff, s18
	s_cmp_lg_u32 s8, 0
	s_mov_b32 s19, 0
	s_cselect_b64 s[8:9], -1, 0
	s_andn2_b64 vcc, exec, s[8:9]
	s_cbranch_vccz .LBB143_1573
	s_branch .LBB143_1574
.LBB143_1571:
	s_mov_b64 s[8:9], 0
	s_mov_b32 s19, 0x7f800001
	s_cbranch_execnz .LBB143_1570
.LBB143_1572:
	s_andn2_b64 vcc, exec, s[8:9]
	s_cbranch_vccnz .LBB143_1574
.LBB143_1573:
	s_and_b32 s9, s16, 7
	s_flbit_i32_b32 s13, s9
	s_min_u32 s13, s13, 32
	s_sub_i32 s18, s13, 28
	s_lshl_b32 s18, s16, s18
	s_lshl_b32 s8, s16, 24
	s_bfe_u32 s12, s16, 0x40003
	s_sub_i32 s13, 29, s13
	s_and_b32 s18, s18, 7
	s_cmp_eq_u32 s12, 0
	s_cselect_b32 s12, s13, s12
	s_cselect_b32 s9, s18, s9
	s_lshl_b32 s12, s12, 23
	s_and_b32 s8, s8, 0x80000000
	s_add_i32 s12, s12, 0x3b800000
	s_lshl_b32 s9, s9, 20
	s_or_b32 s8, s8, s12
	s_or_b32 s19, s8, s9
.LBB143_1574:
	s_bfe_u32 s8, s19, 0x10010
	s_add_i32 s8, s19, s8
	s_addk_i32 s8, 0x7fff
	s_lshr_b32 s12, s8, 16
	v_cmp_o_f32_e64 s[8:9], s19, s19
	s_and_b64 s[8:9], s[8:9], exec
	s_cselect_b32 s8, s12, 0x7fc0
	v_mov_b32_e32 v0, s8
	s_mov_b64 s[8:9], 0
	s_mov_b64 s[12:13], -1
	global_store_dword v[7:8], v0, off
.LBB143_1575:
	s_and_b64 vcc, exec, s[14:15]
	s_cbranch_vccz .LBB143_1587
; %bb.1576:
	s_cmp_eq_u32 s17, 44
	s_mov_b64 s[8:9], -1
	s_cbranch_scc0 .LBB143_1587
; %bb.1577:
	s_and_b32 s14, s16, 0xff
	s_cmpk_lt_i32 s14, 0x80
	s_cbranch_scc1 .LBB143_1581
; %bb.1578:
	s_and_b32 s8, 0xffff, s14
	s_cmpk_eq_i32 s8, 0x80
	s_mov_b64 s[8:9], -1
	s_cbranch_scc0 .LBB143_1580
; %bb.1579:
	s_mov_b64 s[8:9], 0
.LBB143_1580:
	s_mov_b64 s[12:13], 0
	s_branch .LBB143_1582
.LBB143_1581:
	s_mov_b64 s[12:13], -1
	s_mov_b64 s[8:9], 0
.LBB143_1582:
	s_mov_b32 s15, 0x7f800001
	s_and_b64 vcc, exec, s[12:13]
	s_cbranch_vccz .LBB143_1592
; %bb.1583:
	s_and_b32 s15, 0xffff, s14
	s_cmp_lg_u32 s15, 0
	s_cselect_b64 s[8:9], -1, 0
	s_andn2_b64 vcc, exec, s[8:9]
	s_cbranch_vccz .LBB143_1593
.LBB143_1584:
	s_lshr_b32 s8, s15, 23
	s_cmpk_eq_i32 s8, 0xff
	v_mov_b32_e32 v0, 0xff
	s_cbranch_scc1 .LBB143_1586
.LBB143_1585:
	s_bitcmp1_b32 s15, 22
	s_cselect_b64 s[12:13], -1, 0
	s_and_b32 s9, s15, 0x3fffff
	s_or_b32 s9, s8, s9
	s_cmp_lg_u32 s9, 0
	s_cselect_b64 s[14:15], -1, 0
	s_and_b64 s[12:13], s[12:13], s[14:15]
	v_cndmask_b32_e64 v0, 0, 1, s[12:13]
	v_add_u32_e32 v0, s8, v0
.LBB143_1586:
	s_mov_b64 s[8:9], 0
	s_mov_b64 s[12:13], -1
	global_store_byte v[7:8], v0, off
.LBB143_1587:
	s_mov_b64 s[14:15], 0
.LBB143_1588:
	s_and_b64 vcc, exec, s[14:15]
	s_cbranch_vccz .LBB143_1600
; %bb.1589:
	s_cmp_eq_u32 s17, 29
	s_mov_b64 s[8:9], -1
	s_cbranch_scc0 .LBB143_1600
; %bb.1590:
	s_and_b32 s14, s16, 0xff
	s_cmpk_lt_i32 s14, 0x80
	s_cbranch_scc1 .LBB143_1594
; %bb.1591:
	s_and_b32 s8, 0xffff, s14
	s_cmpk_lg_i32 s8, 0x80
	s_mov_b64 s[12:13], 0
	s_cselect_b64 s[8:9], -1, 0
	s_branch .LBB143_1595
.LBB143_1592:
	s_andn2_b64 vcc, exec, s[8:9]
	s_cbranch_vccnz .LBB143_1584
.LBB143_1593:
	s_and_b32 s8, s16, 7
	s_flbit_i32_b32 s12, s8
	s_min_u32 s12, s12, 32
	s_sub_i32 s13, s12, 28
	s_lshl_b32 s13, s16, s13
	s_bfe_u32 s9, s16, 0x40003
	s_sub_i32 s12, 29, s12
	s_and_b32 s13, s13, 7
	s_cmp_eq_u32 s9, 0
	s_cselect_b32 s9, s12, s9
	s_cselect_b32 s8, s13, s8
	s_lshl_b32 s8, s8, 20
	s_lshl_b32 s9, s9, 23
	s_or_b32 s8, s9, s8
	s_add_i32 s15, s8, 0x3b800000
	s_lshr_b32 s8, s15, 23
	s_cmpk_eq_i32 s8, 0xff
	v_mov_b32_e32 v0, 0xff
	s_cbranch_scc0 .LBB143_1585
	s_branch .LBB143_1586
.LBB143_1594:
	s_mov_b64 s[12:13], -1
	s_mov_b64 s[8:9], 0
.LBB143_1595:
	s_andn2_b64 vcc, exec, s[12:13]
	s_cbranch_vccnz .LBB143_1597
; %bb.1596:
	s_and_b32 s8, 0xffff, s14
	s_cmp_lg_u32 s8, 0
	s_cselect_b64 s[8:9], -1, 0
.LBB143_1597:
	v_mov_b32_e32 v0, 0
	s_andn2_b64 vcc, exec, s[8:9]
	v_mov_b32_e32 v1, 0
	s_cbranch_vccnz .LBB143_1599
; %bb.1598:
	s_and_b32 s9, s16, 7
	s_flbit_i32_b32 s13, s9
	s_min_u32 s13, s13, 32
	s_sub_i32 s14, s13, 28
	s_lshl_b32 s14, s16, s14
	s_lshl_b32 s8, s16, 24
	s_bfe_u32 s12, s16, 0x40003
	s_sub_i32 s13, 29, s13
	s_and_b32 s14, s14, 7
	s_cmp_eq_u32 s12, 0
	s_cselect_b32 s12, s13, s12
	s_cselect_b32 s9, s14, s9
	s_lshl_b32 s12, s12, 23
	s_and_b32 s8, s8, 0x80000000
	s_add_i32 s12, s12, 0x3b800000
	s_lshl_b32 s9, s9, 20
	s_or_b32 s8, s8, s12
	s_or_b32 s8, s8, s9
	v_trunc_f32_e32 v0, s8
	v_mul_f32_e32 v1, 0x2f800000, v0
	v_floor_f32_e32 v1, v1
	v_fmac_f32_e32 v0, 0xcf800000, v1
	v_cvt_u32_f32_e32 v0, v0
	v_cvt_u32_f32_e32 v1, v1
.LBB143_1599:
	global_store_dwordx2 v[7:8], v[0:1], off
	s_mov_b64 s[8:9], 0
	s_mov_b64 s[12:13], -1
.LBB143_1600:
	s_mov_b64 s[14:15], 0
.LBB143_1601:
	s_and_b64 vcc, exec, s[14:15]
	s_cbranch_vccz .LBB143_1625
; %bb.1602:
	s_cmp_lt_i32 s17, 27
	s_mov_b64 s[12:13], -1
	s_cbranch_scc1 .LBB143_1622
; %bb.1603:
	s_cmp_gt_i32 s17, 27
	s_cbranch_scc0 .LBB143_1612
; %bb.1604:
	s_and_b32 s18, s16, 0xff
	s_cmpk_lt_i32 s18, 0x80
	s_cbranch_scc1 .LBB143_1606
; %bb.1605:
	s_and_b32 s12, 0xffff, s18
	s_cmpk_lg_i32 s12, 0x80
	s_mov_b64 s[14:15], 0
	s_cselect_b64 s[12:13], -1, 0
	s_branch .LBB143_1607
.LBB143_1606:
	s_mov_b64 s[14:15], -1
	s_mov_b64 s[12:13], 0
.LBB143_1607:
	s_andn2_b64 vcc, exec, s[14:15]
	s_cbranch_vccnz .LBB143_1609
; %bb.1608:
	s_and_b32 s12, 0xffff, s18
	s_cmp_lg_u32 s12, 0
	s_cselect_b64 s[12:13], -1, 0
.LBB143_1609:
	s_andn2_b64 vcc, exec, s[12:13]
	v_mov_b32_e32 v0, 0
	s_cbranch_vccnz .LBB143_1611
; %bb.1610:
	s_and_b32 s13, s16, 7
	s_flbit_i32_b32 s15, s13
	s_min_u32 s15, s15, 32
	s_sub_i32 s18, s15, 28
	s_lshl_b32 s18, s16, s18
	s_lshl_b32 s12, s16, 24
	s_bfe_u32 s14, s16, 0x40003
	s_sub_i32 s15, 29, s15
	s_and_b32 s18, s18, 7
	s_cmp_eq_u32 s14, 0
	s_cselect_b32 s14, s15, s14
	s_cselect_b32 s13, s18, s13
	s_lshl_b32 s14, s14, 23
	s_and_b32 s12, s12, 0x80000000
	s_add_i32 s14, s14, 0x3b800000
	s_lshl_b32 s13, s13, 20
	s_or_b32 s12, s12, s14
	s_or_b32 s12, s12, s13
	v_cvt_u32_f32_e32 v0, s12
.LBB143_1611:
	global_store_dword v[7:8], v0, off
	s_mov_b64 s[12:13], 0
.LBB143_1612:
	s_and_b64 vcc, exec, s[12:13]
	s_cbranch_vccz .LBB143_1621
; %bb.1613:
	s_and_b32 s18, s16, 0xff
	s_cmpk_lt_i32 s18, 0x80
	s_cbranch_scc1 .LBB143_1615
; %bb.1614:
	s_and_b32 s12, 0xffff, s18
	s_cmpk_lg_i32 s12, 0x80
	s_mov_b64 s[14:15], 0
	s_cselect_b64 s[12:13], -1, 0
	s_branch .LBB143_1616
.LBB143_1615:
	s_mov_b64 s[14:15], -1
	s_mov_b64 s[12:13], 0
.LBB143_1616:
	s_andn2_b64 vcc, exec, s[14:15]
	s_cbranch_vccnz .LBB143_1618
; %bb.1617:
	s_and_b32 s12, 0xffff, s18
	s_cmp_lg_u32 s12, 0
	s_cselect_b64 s[12:13], -1, 0
.LBB143_1618:
	s_andn2_b64 vcc, exec, s[12:13]
	v_mov_b32_e32 v0, 0
	s_cbranch_vccnz .LBB143_1620
; %bb.1619:
	s_and_b32 s13, s16, 7
	s_flbit_i32_b32 s15, s13
	s_min_u32 s15, s15, 32
	s_sub_i32 s18, s15, 28
	s_lshl_b32 s18, s16, s18
	s_lshl_b32 s12, s16, 24
	s_bfe_u32 s14, s16, 0x40003
	s_sub_i32 s15, 29, s15
	s_and_b32 s18, s18, 7
	s_cmp_eq_u32 s14, 0
	s_cselect_b32 s14, s15, s14
	s_cselect_b32 s13, s18, s13
	s_lshl_b32 s14, s14, 23
	s_and_b32 s12, s12, 0x80000000
	s_add_i32 s14, s14, 0x3b800000
	s_lshl_b32 s13, s13, 20
	s_or_b32 s12, s12, s14
	s_or_b32 s12, s12, s13
	v_cvt_u32_f32_e32 v0, s12
.LBB143_1620:
	global_store_short v[7:8], v0, off
.LBB143_1621:
	s_mov_b64 s[12:13], 0
.LBB143_1622:
	s_andn2_b64 vcc, exec, s[12:13]
	s_cbranch_vccnz .LBB143_1624
; %bb.1623:
	v_mov_b32_e32 v0, s16
	global_store_byte v[7:8], v0, off
.LBB143_1624:
	s_mov_b64 s[12:13], -1
.LBB143_1625:
	s_mov_b64 s[14:15], 0
.LBB143_1626:
	s_and_b64 vcc, exec, s[14:15]
	s_cbranch_vccz .LBB143_1707
; %bb.1627:
	s_cmp_gt_i32 s17, 22
	s_mov_b64 s[10:11], -1
	s_cbranch_scc0 .LBB143_1692
; %bb.1628:
	s_cmp_lt_i32 s17, 24
	s_cbranch_scc1 .LBB143_1670
; %bb.1629:
	s_cmp_gt_i32 s17, 24
	s_cbranch_scc0 .LBB143_1648
; %bb.1630:
	s_and_b32 s15, s16, 0xff
	s_cmpk_lt_i32 s15, 0x80
	s_cbranch_scc1 .LBB143_1634
; %bb.1631:
	s_and_b32 s10, 0xffff, s15
	s_cmpk_eq_i32 s10, 0x80
	s_mov_b64 s[10:11], -1
	s_cbranch_scc0 .LBB143_1633
; %bb.1632:
	s_mov_b64 s[10:11], 0
.LBB143_1633:
	s_mov_b64 s[12:13], 0
	s_branch .LBB143_1635
.LBB143_1634:
	s_mov_b64 s[12:13], -1
	s_mov_b64 s[10:11], 0
.LBB143_1635:
	s_mov_b32 s14, 0x7f800001
	s_and_b64 vcc, exec, s[12:13]
	s_cbranch_vccz .LBB143_1638
; %bb.1636:
	s_and_b32 s10, 0xffff, s15
	s_cmp_lg_u32 s10, 0
	s_mov_b32 s14, 0
	s_cselect_b64 s[10:11], -1, 0
	s_andn2_b64 vcc, exec, s[10:11]
	s_cbranch_vccz .LBB143_1639
.LBB143_1637:
	s_and_b32 s10, s14, 0x7fffffff
	s_cmp_gt_u32 s10, 0x477fffff
	v_mov_b32_e32 v1, 0x80
	s_cbranch_scc0 .LBB143_1640
	s_branch .LBB143_1647
.LBB143_1638:
	s_andn2_b64 vcc, exec, s[10:11]
	s_cbranch_vccnz .LBB143_1637
.LBB143_1639:
	s_and_b32 s11, s16, 7
	s_flbit_i32_b32 s13, s11
	s_min_u32 s13, s13, 32
	s_sub_i32 s14, s13, 28
	s_lshl_b32 s14, s16, s14
	s_lshl_b32 s10, s16, 24
	s_bfe_u32 s12, s16, 0x40003
	s_sub_i32 s13, 29, s13
	s_and_b32 s14, s14, 7
	s_cmp_eq_u32 s12, 0
	s_cselect_b32 s12, s13, s12
	s_cselect_b32 s11, s14, s11
	s_lshl_b32 s12, s12, 23
	s_and_b32 s10, s10, 0x80000000
	s_add_i32 s12, s12, 0x3b800000
	s_lshl_b32 s11, s11, 20
	s_or_b32 s10, s10, s12
	s_or_b32 s14, s10, s11
	s_and_b32 s10, s14, 0x7fffffff
	s_cmp_gt_u32 s10, 0x477fffff
	v_mov_b32_e32 v1, 0x80
	s_cbranch_scc1 .LBB143_1647
.LBB143_1640:
	s_cmp_gt_u32 s10, 0x37ffffff
	s_cbranch_scc0 .LBB143_1642
; %bb.1641:
	s_bfe_u32 s10, s14, 0x10015
	s_add_i32 s10, s14, s10
	s_add_i32 s10, s10, 0x88fffff
	s_lshr_b32 s15, s10, 21
	s_mov_b64 s[12:13], 0
	s_mov_b64 s[10:11], -1
	s_branch .LBB143_1643
.LBB143_1642:
	s_mov_b64 s[12:13], -1
	s_mov_b64 s[10:11], 0
                                        ; implicit-def: $sgpr15
.LBB143_1643:
	s_andn2_b64 vcc, exec, s[12:13]
	v_mov_b32_e32 v0, s15
	s_cbranch_vccnz .LBB143_1645
; %bb.1644:
	v_mov_b32_e32 v0, 0x42800000
	v_add_f32_e64 v0, |s14|, v0
	v_and_b32_e32 v0, 0xff, v0
	v_cmp_ne_u32_e64 s[10:11], 0, v0
.LBB143_1645:
	s_andn2_b64 vcc, exec, s[10:11]
	v_mov_b32_e32 v1, 0
	s_cbranch_vccnz .LBB143_1647
; %bb.1646:
	s_lshr_b32 s10, s14, 24
	s_and_b32 s10, s10, 0x80
	v_or_b32_e32 v1, s10, v0
.LBB143_1647:
	global_store_byte v[7:8], v1, off
	s_mov_b64 s[10:11], 0
.LBB143_1648:
	s_and_b64 vcc, exec, s[10:11]
	s_cbranch_vccz .LBB143_1669
; %bb.1649:
	s_and_b32 s15, s16, 0xff
	s_cmpk_lt_i32 s15, 0x80
	s_cbranch_scc1 .LBB143_1653
; %bb.1650:
	s_and_b32 s10, 0xffff, s15
	s_cmpk_eq_i32 s10, 0x80
	s_mov_b64 s[10:11], -1
	s_cbranch_scc0 .LBB143_1652
; %bb.1651:
	s_mov_b64 s[10:11], 0
.LBB143_1652:
	s_mov_b64 s[12:13], 0
	s_branch .LBB143_1654
.LBB143_1653:
	s_mov_b64 s[12:13], -1
	s_mov_b64 s[10:11], 0
.LBB143_1654:
	s_mov_b32 s14, 0x7f800001
	s_and_b64 vcc, exec, s[12:13]
	s_cbranch_vccz .LBB143_1659
; %bb.1655:
	s_and_b32 s10, 0xffff, s15
	s_cmp_lg_u32 s10, 0
	s_mov_b32 s14, 0
	s_cselect_b64 s[10:11], -1, 0
	s_andn2_b64 vcc, exec, s[10:11]
	s_cbranch_vccz .LBB143_1660
.LBB143_1656:
	s_and_b32 s12, s14, 0x7fffffff
	s_cmp_lt_u32 s12, 0x43f00000
	s_cbranch_scc0 .LBB143_1661
.LBB143_1657:
	s_cmp_gt_u32 s12, 0x3c7fffff
	s_cbranch_scc0 .LBB143_1662
; %bb.1658:
	s_bfe_u32 s10, s14, 0x10014
	s_add_i32 s10, s14, s10
	s_add_i32 s10, s10, 0x407ffff
	s_lshr_b32 s11, s10, 20
	s_and_b32 s10, s10, 0xff00000
	s_cmp_lg_u32 s10, 0x7f00000
	s_cselect_b32 s13, s11, 0x7e
	s_mov_b64 s[10:11], 0
	s_branch .LBB143_1663
.LBB143_1659:
	s_andn2_b64 vcc, exec, s[10:11]
	s_cbranch_vccnz .LBB143_1656
.LBB143_1660:
	s_and_b32 s11, s16, 7
	s_flbit_i32_b32 s13, s11
	s_min_u32 s13, s13, 32
	s_sub_i32 s14, s13, 28
	s_lshl_b32 s14, s16, s14
	s_lshl_b32 s10, s16, 24
	s_bfe_u32 s12, s16, 0x40003
	s_sub_i32 s13, 29, s13
	s_and_b32 s14, s14, 7
	s_cmp_eq_u32 s12, 0
	s_cselect_b32 s12, s13, s12
	s_cselect_b32 s11, s14, s11
	s_lshl_b32 s12, s12, 23
	s_and_b32 s10, s10, 0x80000000
	s_add_i32 s12, s12, 0x3b800000
	s_lshl_b32 s11, s11, 20
	s_or_b32 s10, s10, s12
	s_or_b32 s14, s10, s11
	s_and_b32 s12, s14, 0x7fffffff
	s_cmp_lt_u32 s12, 0x43f00000
	s_cbranch_scc1 .LBB143_1657
.LBB143_1661:
	s_mov_b64 s[10:11], -1
                                        ; implicit-def: $vgpr0
	s_branch .LBB143_1666
.LBB143_1662:
	s_mov_b64 s[10:11], -1
                                        ; implicit-def: $sgpr13
.LBB143_1663:
	s_andn2_b64 vcc, exec, s[10:11]
	v_mov_b32_e32 v0, s13
	s_cbranch_vccnz .LBB143_1665
; %bb.1664:
	v_mov_b32_e32 v0, 0x46800000
	v_add_f32_e64 v0, |s14|, v0
.LBB143_1665:
	s_mov_b64 s[10:11], 0
.LBB143_1666:
	s_andn2_b64 vcc, exec, s[10:11]
	s_cbranch_vccnz .LBB143_1668
; %bb.1667:
	s_cmp_gt_u32 s12, 0x7f800000
	s_movk_i32 s10, 0x7f
	s_cselect_b32 s10, s10, 0x7e
	v_mov_b32_e32 v0, s10
.LBB143_1668:
	s_lshr_b32 s10, s14, 24
	s_and_b32 s10, s10, 0x80
	v_or_b32_e32 v0, s10, v0
	global_store_byte v[7:8], v0, off
.LBB143_1669:
	s_mov_b64 s[10:11], 0
.LBB143_1670:
	s_andn2_b64 vcc, exec, s[10:11]
	s_cbranch_vccnz .LBB143_1691
; %bb.1671:
	s_and_b32 s15, s16, 0xff
	s_cmpk_lt_i32 s15, 0x80
	s_cbranch_scc1 .LBB143_1675
; %bb.1672:
	s_and_b32 s10, 0xffff, s15
	s_cmpk_eq_i32 s10, 0x80
	s_mov_b64 s[10:11], -1
	s_cbranch_scc0 .LBB143_1674
; %bb.1673:
	s_mov_b64 s[10:11], 0
.LBB143_1674:
	s_mov_b64 s[12:13], 0
	s_branch .LBB143_1676
.LBB143_1675:
	s_mov_b64 s[12:13], -1
	s_mov_b64 s[10:11], 0
.LBB143_1676:
	s_mov_b32 s14, 0x7f800001
	s_and_b64 vcc, exec, s[12:13]
	s_cbranch_vccz .LBB143_1681
; %bb.1677:
	s_and_b32 s10, 0xffff, s15
	s_cmp_lg_u32 s10, 0
	s_mov_b32 s14, 0
	s_cselect_b64 s[10:11], -1, 0
	s_andn2_b64 vcc, exec, s[10:11]
	s_cbranch_vccz .LBB143_1682
.LBB143_1678:
	s_and_b32 s12, s14, 0x7fffffff
	s_cmp_lt_u32 s12, 0x47800000
	s_cbranch_scc0 .LBB143_1683
.LBB143_1679:
	s_cmp_gt_u32 s12, 0x387fffff
	s_cbranch_scc0 .LBB143_1684
; %bb.1680:
	s_bfe_u32 s10, s14, 0x10015
	s_add_i32 s10, s14, s10
	s_add_i32 s10, s10, 0x80fffff
	s_lshr_b32 s13, s10, 21
	s_mov_b64 s[10:11], 0
	s_branch .LBB143_1685
.LBB143_1681:
	s_andn2_b64 vcc, exec, s[10:11]
	s_cbranch_vccnz .LBB143_1678
.LBB143_1682:
	s_and_b32 s11, s16, 7
	s_flbit_i32_b32 s13, s11
	s_min_u32 s13, s13, 32
	s_sub_i32 s14, s13, 28
	s_lshl_b32 s14, s16, s14
	s_lshl_b32 s10, s16, 24
	s_bfe_u32 s12, s16, 0x40003
	s_sub_i32 s13, 29, s13
	s_and_b32 s14, s14, 7
	s_cmp_eq_u32 s12, 0
	s_cselect_b32 s12, s13, s12
	s_cselect_b32 s11, s14, s11
	s_lshl_b32 s12, s12, 23
	s_and_b32 s10, s10, 0x80000000
	s_add_i32 s12, s12, 0x3b800000
	s_lshl_b32 s11, s11, 20
	s_or_b32 s10, s10, s12
	s_or_b32 s14, s10, s11
	s_and_b32 s12, s14, 0x7fffffff
	s_cmp_lt_u32 s12, 0x47800000
	s_cbranch_scc1 .LBB143_1679
.LBB143_1683:
	s_mov_b64 s[10:11], -1
                                        ; implicit-def: $vgpr0
	s_branch .LBB143_1688
.LBB143_1684:
	s_mov_b64 s[10:11], -1
                                        ; implicit-def: $sgpr13
.LBB143_1685:
	s_andn2_b64 vcc, exec, s[10:11]
	v_mov_b32_e32 v0, s13
	s_cbranch_vccnz .LBB143_1687
; %bb.1686:
	v_mov_b32_e32 v0, 0x43000000
	v_add_f32_e64 v0, |s14|, v0
.LBB143_1687:
	s_mov_b64 s[10:11], 0
.LBB143_1688:
	s_andn2_b64 vcc, exec, s[10:11]
	s_cbranch_vccnz .LBB143_1690
; %bb.1689:
	s_cmp_gt_u32 s12, 0x7f800000
	s_movk_i32 s10, 0x7f
	s_cselect_b32 s10, s10, 0x7c
	v_mov_b32_e32 v0, s10
.LBB143_1690:
	s_lshr_b32 s10, s14, 24
	s_and_b32 s10, s10, 0x80
	v_or_b32_e32 v0, s10, v0
	global_store_byte v[7:8], v0, off
.LBB143_1691:
	s_mov_b64 s[10:11], 0
	s_mov_b64 s[12:13], -1
.LBB143_1692:
	s_andn2_b64 vcc, exec, s[10:11]
	s_mov_b64 s[10:11], 0
	s_cbranch_vccnz .LBB143_1707
; %bb.1693:
	s_cmp_gt_i32 s17, 14
	s_mov_b64 s[14:15], -1
	s_cbranch_scc0 .LBB143_1705
; %bb.1694:
	s_cmp_eq_u32 s17, 15
	s_mov_b64 s[8:9], -1
	s_cbranch_scc0 .LBB143_1704
; %bb.1695:
	s_and_b32 s12, s16, 0xff
	s_cmpk_lt_i32 s12, 0x80
	s_cbranch_scc1 .LBB143_1700
; %bb.1696:
	s_and_b32 s8, 0xffff, s12
	s_cmpk_eq_i32 s8, 0x80
	s_mov_b64 s[8:9], -1
	s_cbranch_scc0 .LBB143_1698
; %bb.1697:
	s_mov_b64 s[8:9], 0
	s_mov_b32 s13, 0x7f800001
	s_and_b64 vcc, exec, s[10:11]
	s_cbranch_vccz .LBB143_1701
	s_branch .LBB143_1699
.LBB143_1698:
	s_mov_b32 s13, 0x7f800001
	s_and_b64 vcc, exec, s[10:11]
	s_cbranch_vccz .LBB143_1701
.LBB143_1699:
	s_and_b32 s8, 0xffff, s12
	s_cmp_lg_u32 s8, 0
	s_mov_b32 s13, 0
	s_cselect_b64 s[8:9], -1, 0
	s_andn2_b64 vcc, exec, s[8:9]
	s_cbranch_vccz .LBB143_1702
	s_branch .LBB143_1703
.LBB143_1700:
	s_mov_b64 s[8:9], 0
	s_mov_b32 s13, 0x7f800001
	s_cbranch_execnz .LBB143_1699
.LBB143_1701:
	s_andn2_b64 vcc, exec, s[8:9]
	s_cbranch_vccnz .LBB143_1703
.LBB143_1702:
	s_and_b32 s9, s16, 7
	s_flbit_i32_b32 s11, s9
	s_min_u32 s11, s11, 32
	s_sub_i32 s12, s11, 28
	s_lshl_b32 s12, s16, s12
	s_lshl_b32 s8, s16, 24
	s_bfe_u32 s10, s16, 0x40003
	s_sub_i32 s11, 29, s11
	s_and_b32 s12, s12, 7
	s_cmp_eq_u32 s10, 0
	s_cselect_b32 s10, s11, s10
	s_cselect_b32 s9, s12, s9
	s_lshl_b32 s10, s10, 23
	s_and_b32 s8, s8, 0x80000000
	s_add_i32 s10, s10, 0x3b800000
	s_lshl_b32 s9, s9, 20
	s_or_b32 s8, s8, s10
	s_or_b32 s13, s8, s9
.LBB143_1703:
	s_bfe_u32 s8, s13, 0x10010
	s_add_i32 s8, s13, s8
	s_addk_i32 s8, 0x7fff
	s_lshr_b32 s10, s8, 16
	v_cmp_o_f32_e64 s[8:9], s13, s13
	s_and_b64 s[8:9], s[8:9], exec
	s_cselect_b32 s8, s10, 0x7fc0
	v_mov_b32_e32 v0, s8
	global_store_short v[7:8], v0, off
	s_mov_b64 s[8:9], 0
	s_mov_b64 s[12:13], -1
.LBB143_1704:
	s_mov_b64 s[14:15], 0
.LBB143_1705:
	s_mov_b64 s[10:11], 0
	s_and_b64 vcc, exec, s[14:15]
	s_cbranch_vccz .LBB143_1707
; %bb.1706:
	s_cmp_lg_u32 s17, 11
	s_mov_b64 s[10:11], -1
	s_cselect_b64 s[8:9], -1, 0
.LBB143_1707:
	s_and_b64 vcc, exec, s[8:9]
	s_cbranch_vccnz .LBB143_1719
; %bb.1708:
	s_andn2_b64 vcc, exec, s[10:11]
	s_cbranch_vccnz .LBB143_1710
.LBB143_1709:
	s_and_b32 s8, s16, 0xff
	s_cmp_lg_u32 s8, 0
	s_cselect_b64 s[8:9], -1, 0
	v_cndmask_b32_e64 v0, 0, 1, s[8:9]
	s_mov_b64 s[12:13], -1
	global_store_byte v[7:8], v0, off
.LBB143_1710:
	s_branch .LBB143_1568
.LBB143_1711:
	s_cmp_lt_i32 s17, 5
	s_mov_b64 s[8:9], -1
	s_cbranch_scc1 .LBB143_1789
; %bb.1712:
	s_cmp_lt_i32 s17, 8
	s_cbranch_scc1 .LBB143_1751
; %bb.1713:
	s_cmp_lt_i32 s17, 9
	s_cbranch_scc1 .LBB143_1739
; %bb.1714:
	s_cmp_gt_i32 s17, 9
	s_cbranch_scc0 .LBB143_1727
; %bb.1715:
	s_and_b32 s12, s16, 0xff
	s_cmpk_lt_i32 s12, 0x80
	s_cbranch_scc1 .LBB143_1720
; %bb.1716:
	s_and_b32 s8, 0xffff, s12
	s_cmpk_eq_i32 s8, 0x80
	s_mov_b64 s[8:9], -1
	s_cbranch_scc0 .LBB143_1718
; %bb.1717:
	s_mov_b64 s[8:9], 0
.LBB143_1718:
	s_mov_b64 s[10:11], 0
	s_branch .LBB143_1721
.LBB143_1719:
	s_trap 2
	s_or_b64 s[0:1], s[0:1], exec
	s_cbranch_execz .LBB143_1709
	s_branch .LBB143_1710
.LBB143_1720:
	s_mov_b64 s[10:11], -1
	s_mov_b64 s[8:9], 0
.LBB143_1721:
	s_and_b64 vcc, exec, s[10:11]
	s_cbranch_vccz .LBB143_1723
; %bb.1722:
	s_and_b32 s8, 0xffff, s12
	s_cmp_lg_u32 s8, 0
	s_mov_b64 s[10:11], 0
	s_cselect_b64 s[8:9], -1, 0
	s_branch .LBB143_1724
.LBB143_1723:
	s_mov_b32 s11, 0x7ff80000
	s_brev_b32 s10, 4
.LBB143_1724:
	v_mov_b32_e32 v0, s10
	s_andn2_b64 vcc, exec, s[8:9]
	v_mov_b32_e32 v1, s11
	s_cbranch_vccnz .LBB143_1726
; %bb.1725:
	s_and_b32 s9, s16, 7
	s_flbit_i32_b32 s11, s9
	s_min_u32 s11, s11, 32
	s_sub_i32 s12, s11, 28
	s_lshl_b32 s12, s16, s12
	s_lshl_b32 s8, s16, 24
	s_bfe_u32 s10, s16, 0x40003
	s_sub_i32 s11, 29, s11
	s_and_b32 s12, s12, 7
	s_cmp_eq_u32 s10, 0
	s_cselect_b32 s10, s11, s10
	s_cselect_b32 s9, s12, s9
	s_lshl_b32 s10, s10, 23
	s_and_b32 s8, s8, 0x80000000
	s_add_i32 s10, s10, 0x3b800000
	s_lshl_b32 s9, s9, 20
	s_or_b32 s8, s8, s10
	s_or_b32 s8, s8, s9
	v_cvt_f64_f32_e32 v[0:1], s8
.LBB143_1726:
	v_mov_b32_e32 v2, 0
	v_mov_b32_e32 v3, v2
	global_store_dwordx4 v[7:8], v[0:3], off
	s_mov_b64 s[8:9], 0
.LBB143_1727:
	s_and_b64 vcc, exec, s[8:9]
	s_cbranch_vccz .LBB143_1738
; %bb.1728:
	s_and_b32 s12, s16, 0xff
	s_cmpk_lt_i32 s12, 0x80
	s_cbranch_scc1 .LBB143_1732
; %bb.1729:
	s_and_b32 s8, 0xffff, s12
	s_cmpk_eq_i32 s8, 0x80
	s_mov_b64 s[8:9], -1
	s_cbranch_scc0 .LBB143_1731
; %bb.1730:
	s_mov_b64 s[8:9], 0
.LBB143_1731:
	s_mov_b64 s[10:11], 0
	s_branch .LBB143_1733
.LBB143_1732:
	s_mov_b64 s[10:11], -1
	s_mov_b64 s[8:9], 0
.LBB143_1733:
	s_mov_b32 s13, 0x7f800001
	s_and_b64 vcc, exec, s[10:11]
	s_cbranch_vccz .LBB143_1735
; %bb.1734:
	s_and_b32 s13, 0xffff, s12
	s_cmp_lg_u32 s13, 0
	s_cselect_b64 s[8:9], -1, 0
.LBB143_1735:
	s_andn2_b64 vcc, exec, s[8:9]
	s_cbranch_vccnz .LBB143_1737
; %bb.1736:
	s_and_b32 s9, s16, 7
	s_flbit_i32_b32 s11, s9
	s_min_u32 s11, s11, 32
	s_sub_i32 s12, s11, 28
	s_lshl_b32 s12, s16, s12
	s_lshl_b32 s8, s16, 24
	s_bfe_u32 s10, s16, 0x40003
	s_sub_i32 s11, 29, s11
	s_and_b32 s12, s12, 7
	s_cmp_eq_u32 s10, 0
	s_cselect_b32 s10, s11, s10
	s_cselect_b32 s9, s12, s9
	s_lshl_b32 s10, s10, 23
	s_and_b32 s8, s8, 0x80000000
	s_add_i32 s10, s10, 0x3b800000
	s_lshl_b32 s9, s9, 20
	s_or_b32 s8, s8, s10
	s_or_b32 s13, s8, s9
.LBB143_1737:
	v_mov_b32_e32 v0, s13
	v_mov_b32_e32 v1, 0
	global_store_dwordx2 v[7:8], v[0:1], off
.LBB143_1738:
	s_mov_b64 s[8:9], 0
.LBB143_1739:
	s_andn2_b64 vcc, exec, s[8:9]
	s_cbranch_vccnz .LBB143_1750
; %bb.1740:
	s_and_b32 s12, s16, 0xff
	s_cmpk_lt_i32 s12, 0x80
	s_cbranch_scc1 .LBB143_1744
; %bb.1741:
	s_and_b32 s8, 0xffff, s12
	s_cmpk_eq_i32 s8, 0x80
	s_mov_b64 s[8:9], -1
	s_cbranch_scc0 .LBB143_1743
; %bb.1742:
	s_mov_b64 s[8:9], 0
.LBB143_1743:
	s_mov_b64 s[10:11], 0
	s_branch .LBB143_1745
.LBB143_1744:
	s_mov_b64 s[10:11], -1
	s_mov_b64 s[8:9], 0
.LBB143_1745:
	s_movk_i32 s13, 0x7e00
	s_and_b64 vcc, exec, s[10:11]
	s_cbranch_vccz .LBB143_1747
; %bb.1746:
	s_and_b32 s13, 0xffff, s12
	s_cmp_lg_u32 s13, 0
	s_cselect_b64 s[8:9], -1, 0
.LBB143_1747:
	s_andn2_b64 vcc, exec, s[8:9]
	v_mov_b32_e32 v0, s13
	s_cbranch_vccnz .LBB143_1749
; %bb.1748:
	s_and_b32 s9, s16, 7
	s_flbit_i32_b32 s11, s9
	s_min_u32 s11, s11, 32
	s_sub_i32 s12, s11, 28
	s_lshl_b32 s12, s16, s12
	s_lshl_b32 s8, s16, 24
	s_bfe_u32 s10, s16, 0x40003
	s_sub_i32 s11, 29, s11
	s_and_b32 s12, s12, 7
	s_cmp_eq_u32 s10, 0
	s_cselect_b32 s10, s11, s10
	s_cselect_b32 s9, s12, s9
	s_lshl_b32 s10, s10, 23
	s_and_b32 s8, s8, 0x80000000
	s_add_i32 s10, s10, 0x3b800000
	s_lshl_b32 s9, s9, 20
	s_or_b32 s8, s8, s10
	s_or_b32 s8, s8, s9
	v_cvt_f16_f32_e32 v0, s8
.LBB143_1749:
	global_store_dword v[7:8], v0, off
.LBB143_1750:
	s_mov_b64 s[8:9], 0
.LBB143_1751:
	s_andn2_b64 vcc, exec, s[8:9]
	s_cbranch_vccnz .LBB143_1788
; %bb.1752:
	s_cmp_lt_i32 s17, 6
	s_mov_b64 s[8:9], -1
	s_cbranch_scc1 .LBB143_1777
; %bb.1753:
	s_cmp_gt_i32 s17, 6
	s_cbranch_scc0 .LBB143_1765
; %bb.1754:
	s_and_b32 s12, s16, 0xff
	s_cmpk_lt_i32 s12, 0x80
	s_cbranch_scc1 .LBB143_1758
; %bb.1755:
	s_and_b32 s8, 0xffff, s12
	s_cmpk_eq_i32 s8, 0x80
	s_mov_b64 s[8:9], -1
	s_cbranch_scc0 .LBB143_1757
; %bb.1756:
	s_mov_b64 s[8:9], 0
.LBB143_1757:
	s_mov_b64 s[10:11], 0
	s_branch .LBB143_1759
.LBB143_1758:
	s_mov_b64 s[10:11], -1
	s_mov_b64 s[8:9], 0
.LBB143_1759:
	s_and_b64 vcc, exec, s[10:11]
	s_cbranch_vccz .LBB143_1761
; %bb.1760:
	s_and_b32 s8, 0xffff, s12
	s_cmp_lg_u32 s8, 0
	s_mov_b64 s[10:11], 0
	s_cselect_b64 s[8:9], -1, 0
	s_branch .LBB143_1762
.LBB143_1761:
	s_mov_b32 s11, 0x7ff80000
	s_brev_b32 s10, 4
.LBB143_1762:
	v_mov_b32_e32 v0, s10
	s_andn2_b64 vcc, exec, s[8:9]
	v_mov_b32_e32 v1, s11
	s_cbranch_vccnz .LBB143_1764
; %bb.1763:
	s_and_b32 s9, s16, 7
	s_flbit_i32_b32 s11, s9
	s_min_u32 s11, s11, 32
	s_sub_i32 s12, s11, 28
	s_lshl_b32 s12, s16, s12
	s_lshl_b32 s8, s16, 24
	s_bfe_u32 s10, s16, 0x40003
	s_sub_i32 s11, 29, s11
	s_and_b32 s12, s12, 7
	s_cmp_eq_u32 s10, 0
	s_cselect_b32 s10, s11, s10
	s_cselect_b32 s9, s12, s9
	s_lshl_b32 s10, s10, 23
	s_and_b32 s8, s8, 0x80000000
	s_add_i32 s10, s10, 0x3b800000
	s_lshl_b32 s9, s9, 20
	s_or_b32 s8, s8, s10
	s_or_b32 s8, s8, s9
	v_cvt_f64_f32_e32 v[0:1], s8
.LBB143_1764:
	global_store_dwordx2 v[7:8], v[0:1], off
	s_mov_b64 s[8:9], 0
.LBB143_1765:
	s_and_b64 vcc, exec, s[8:9]
	s_cbranch_vccz .LBB143_1776
; %bb.1766:
	s_and_b32 s12, s16, 0xff
	s_cmpk_lt_i32 s12, 0x80
	s_cbranch_scc1 .LBB143_1770
; %bb.1767:
	s_and_b32 s8, 0xffff, s12
	s_cmpk_eq_i32 s8, 0x80
	s_mov_b64 s[8:9], -1
	s_cbranch_scc0 .LBB143_1769
; %bb.1768:
	s_mov_b64 s[8:9], 0
.LBB143_1769:
	s_mov_b64 s[10:11], 0
	s_branch .LBB143_1771
.LBB143_1770:
	s_mov_b64 s[10:11], -1
	s_mov_b64 s[8:9], 0
.LBB143_1771:
	s_mov_b32 s13, 0x7f800001
	s_and_b64 vcc, exec, s[10:11]
	s_cbranch_vccz .LBB143_1773
; %bb.1772:
	s_and_b32 s13, 0xffff, s12
	s_cmp_lg_u32 s13, 0
	s_cselect_b64 s[8:9], -1, 0
.LBB143_1773:
	s_andn2_b64 vcc, exec, s[8:9]
	s_cbranch_vccnz .LBB143_1775
; %bb.1774:
	s_and_b32 s9, s16, 7
	s_flbit_i32_b32 s11, s9
	s_min_u32 s11, s11, 32
	s_sub_i32 s12, s11, 28
	s_lshl_b32 s12, s16, s12
	s_lshl_b32 s8, s16, 24
	s_bfe_u32 s10, s16, 0x40003
	s_sub_i32 s11, 29, s11
	s_and_b32 s12, s12, 7
	s_cmp_eq_u32 s10, 0
	s_cselect_b32 s10, s11, s10
	s_cselect_b32 s9, s12, s9
	s_lshl_b32 s10, s10, 23
	s_and_b32 s8, s8, 0x80000000
	s_add_i32 s10, s10, 0x3b800000
	s_lshl_b32 s9, s9, 20
	s_or_b32 s8, s8, s10
	s_or_b32 s13, s8, s9
.LBB143_1775:
	v_mov_b32_e32 v0, s13
	global_store_dword v[7:8], v0, off
.LBB143_1776:
	s_mov_b64 s[8:9], 0
.LBB143_1777:
	s_andn2_b64 vcc, exec, s[8:9]
	s_cbranch_vccnz .LBB143_1788
; %bb.1778:
	s_and_b32 s12, s16, 0xff
	s_cmpk_lt_i32 s12, 0x80
	s_cbranch_scc1 .LBB143_1782
; %bb.1779:
	s_and_b32 s8, 0xffff, s12
	s_cmpk_eq_i32 s8, 0x80
	s_mov_b64 s[8:9], -1
	s_cbranch_scc0 .LBB143_1781
; %bb.1780:
	s_mov_b64 s[8:9], 0
.LBB143_1781:
	s_mov_b64 s[10:11], 0
	s_branch .LBB143_1783
.LBB143_1782:
	s_mov_b64 s[10:11], -1
	s_mov_b64 s[8:9], 0
.LBB143_1783:
	s_movk_i32 s13, 0x7e00
	s_and_b64 vcc, exec, s[10:11]
	s_cbranch_vccz .LBB143_1785
; %bb.1784:
	s_and_b32 s8, 0xffff, s12
	s_cmp_lg_u32 s8, 0
	s_cselect_b64 s[8:9], -1, 0
	s_mov_b32 s13, s12
.LBB143_1785:
	s_andn2_b64 vcc, exec, s[8:9]
	v_mov_b32_e32 v0, s13
	s_cbranch_vccnz .LBB143_1787
; %bb.1786:
	s_and_b32 s9, s16, 7
	s_flbit_i32_b32 s11, s9
	s_min_u32 s11, s11, 32
	s_sub_i32 s12, s11, 28
	s_lshl_b32 s12, s16, s12
	s_lshl_b32 s8, s16, 24
	s_bfe_u32 s10, s16, 0x40003
	s_sub_i32 s11, 29, s11
	s_and_b32 s12, s12, 7
	s_cmp_eq_u32 s10, 0
	s_cselect_b32 s10, s11, s10
	s_cselect_b32 s9, s12, s9
	s_lshl_b32 s10, s10, 23
	s_and_b32 s8, s8, 0x80000000
	s_add_i32 s10, s10, 0x3b800000
	s_lshl_b32 s9, s9, 20
	s_or_b32 s8, s8, s10
	s_or_b32 s8, s8, s9
	v_cvt_f16_f32_e32 v0, s8
.LBB143_1787:
	global_store_short v[7:8], v0, off
.LBB143_1788:
	s_mov_b64 s[8:9], 0
.LBB143_1789:
	s_andn2_b64 vcc, exec, s[8:9]
	s_cbranch_vccnz .LBB143_1840
; %bb.1790:
	s_cmp_lt_i32 s17, 2
	s_mov_b64 s[8:9], -1
	s_cbranch_scc1 .LBB143_1821
; %bb.1791:
	s_cmp_lt_i32 s17, 3
	s_cbranch_scc1 .LBB143_1811
; %bb.1792:
	s_cmp_gt_i32 s17, 3
	s_cbranch_scc0 .LBB143_1801
; %bb.1793:
	s_and_b32 s12, s16, 0xff
	s_cmpk_lt_i32 s12, 0x80
	s_cbranch_scc1 .LBB143_1795
; %bb.1794:
	s_and_b32 s8, 0xffff, s12
	s_cmpk_lg_i32 s8, 0x80
	s_mov_b64 s[10:11], 0
	s_cselect_b64 s[8:9], -1, 0
	s_branch .LBB143_1796
.LBB143_1795:
	s_mov_b64 s[10:11], -1
	s_mov_b64 s[8:9], 0
.LBB143_1796:
	s_andn2_b64 vcc, exec, s[10:11]
	s_cbranch_vccnz .LBB143_1798
; %bb.1797:
	s_and_b32 s8, 0xffff, s12
	s_cmp_lg_u32 s8, 0
	s_cselect_b64 s[8:9], -1, 0
.LBB143_1798:
	v_mov_b32_e32 v0, 0
	s_andn2_b64 vcc, exec, s[8:9]
	v_mov_b32_e32 v1, 0
	s_cbranch_vccnz .LBB143_1800
; %bb.1799:
	s_and_b32 s9, s16, 7
	s_flbit_i32_b32 s11, s9
	s_min_u32 s11, s11, 32
	s_sub_i32 s12, s11, 28
	s_lshl_b32 s12, s16, s12
	s_lshl_b32 s8, s16, 24
	s_bfe_u32 s10, s16, 0x40003
	s_sub_i32 s11, 29, s11
	s_and_b32 s12, s12, 7
	s_cmp_eq_u32 s10, 0
	s_cselect_b32 s10, s11, s10
	s_cselect_b32 s9, s12, s9
	s_lshl_b32 s10, s10, 23
	s_and_b32 s8, s8, 0x80000000
	s_add_i32 s10, s10, 0x3b800000
	s_lshl_b32 s9, s9, 20
	s_or_b32 s8, s8, s10
	s_or_b32 s8, s8, s9
	v_trunc_f32_e32 v0, s8
	s_mov_b32 s8, 0x2f800000
	v_mul_f32_e64 v1, |v0|, s8
	v_floor_f32_e32 v1, v1
	s_mov_b32 s8, 0xcf800000
	v_fma_f32 v2, v1, s8, |v0|
	v_cvt_u32_f32_e32 v2, v2
	v_cvt_u32_f32_e32 v1, v1
	v_ashrrev_i32_e32 v3, 31, v0
	v_xor_b32_e32 v0, v2, v3
	v_xor_b32_e32 v1, v1, v3
	v_sub_co_u32_e32 v0, vcc, v0, v3
	v_subb_co_u32_e32 v1, vcc, v1, v3, vcc
.LBB143_1800:
	global_store_dwordx2 v[7:8], v[0:1], off
	s_mov_b64 s[8:9], 0
.LBB143_1801:
	s_and_b64 vcc, exec, s[8:9]
	s_cbranch_vccz .LBB143_1810
; %bb.1802:
	s_and_b32 s12, s16, 0xff
	s_cmpk_lt_i32 s12, 0x80
	s_cbranch_scc1 .LBB143_1804
; %bb.1803:
	s_and_b32 s8, 0xffff, s12
	s_cmpk_lg_i32 s8, 0x80
	s_mov_b64 s[10:11], 0
	s_cselect_b64 s[8:9], -1, 0
	s_branch .LBB143_1805
.LBB143_1804:
	s_mov_b64 s[10:11], -1
	s_mov_b64 s[8:9], 0
.LBB143_1805:
	s_andn2_b64 vcc, exec, s[10:11]
	s_cbranch_vccnz .LBB143_1807
; %bb.1806:
	s_and_b32 s8, 0xffff, s12
	s_cmp_lg_u32 s8, 0
	s_cselect_b64 s[8:9], -1, 0
.LBB143_1807:
	s_andn2_b64 vcc, exec, s[8:9]
	v_mov_b32_e32 v0, 0
	s_cbranch_vccnz .LBB143_1809
; %bb.1808:
	s_and_b32 s9, s16, 7
	s_flbit_i32_b32 s11, s9
	s_min_u32 s11, s11, 32
	s_sub_i32 s12, s11, 28
	s_lshl_b32 s12, s16, s12
	s_lshl_b32 s8, s16, 24
	s_bfe_u32 s10, s16, 0x40003
	s_sub_i32 s11, 29, s11
	s_and_b32 s12, s12, 7
	s_cmp_eq_u32 s10, 0
	s_cselect_b32 s10, s11, s10
	s_cselect_b32 s9, s12, s9
	s_lshl_b32 s10, s10, 23
	s_and_b32 s8, s8, 0x80000000
	s_add_i32 s10, s10, 0x3b800000
	s_lshl_b32 s9, s9, 20
	s_or_b32 s8, s8, s10
	s_or_b32 s8, s8, s9
	v_cvt_i32_f32_e32 v0, s8
.LBB143_1809:
	global_store_dword v[7:8], v0, off
.LBB143_1810:
	s_mov_b64 s[8:9], 0
.LBB143_1811:
	s_andn2_b64 vcc, exec, s[8:9]
	s_cbranch_vccnz .LBB143_1820
; %bb.1812:
	s_and_b32 s12, s16, 0xff
	s_cmpk_lt_i32 s12, 0x80
	s_cbranch_scc1 .LBB143_1814
; %bb.1813:
	s_and_b32 s8, 0xffff, s12
	s_cmpk_lg_i32 s8, 0x80
	s_mov_b64 s[10:11], 0
	s_cselect_b64 s[8:9], -1, 0
	s_branch .LBB143_1815
.LBB143_1814:
	s_mov_b64 s[10:11], -1
	s_mov_b64 s[8:9], 0
.LBB143_1815:
	s_andn2_b64 vcc, exec, s[10:11]
	s_cbranch_vccnz .LBB143_1817
; %bb.1816:
	s_and_b32 s8, 0xffff, s12
	s_cmp_lg_u32 s8, 0
	s_cselect_b64 s[8:9], -1, 0
.LBB143_1817:
	s_andn2_b64 vcc, exec, s[8:9]
	v_mov_b32_e32 v0, 0
	s_cbranch_vccnz .LBB143_1819
; %bb.1818:
	s_and_b32 s9, s16, 7
	s_flbit_i32_b32 s11, s9
	s_min_u32 s11, s11, 32
	s_sub_i32 s12, s11, 28
	s_lshl_b32 s12, s16, s12
	s_lshl_b32 s8, s16, 24
	s_bfe_u32 s10, s16, 0x40003
	s_sub_i32 s11, 29, s11
	s_and_b32 s12, s12, 7
	s_cmp_eq_u32 s10, 0
	s_cselect_b32 s10, s11, s10
	s_cselect_b32 s9, s12, s9
	s_lshl_b32 s10, s10, 23
	s_and_b32 s8, s8, 0x80000000
	s_add_i32 s10, s10, 0x3b800000
	s_lshl_b32 s9, s9, 20
	s_or_b32 s8, s8, s10
	s_or_b32 s8, s8, s9
	v_cvt_i32_f32_e32 v0, s8
.LBB143_1819:
	global_store_short v[7:8], v0, off
.LBB143_1820:
	s_mov_b64 s[8:9], 0
.LBB143_1821:
	s_andn2_b64 vcc, exec, s[8:9]
	s_cbranch_vccnz .LBB143_1840
; %bb.1822:
	s_cmp_gt_i32 s17, 0
	s_mov_b64 s[8:9], -1
	s_cbranch_scc0 .LBB143_1831
; %bb.1823:
	s_and_b32 s12, s16, 0xff
	s_cmpk_lt_i32 s12, 0x80
	s_cbranch_scc1 .LBB143_1825
; %bb.1824:
	s_and_b32 s8, 0xffff, s12
	s_cmpk_lg_i32 s8, 0x80
	s_mov_b64 s[10:11], 0
	s_cselect_b64 s[8:9], -1, 0
	s_branch .LBB143_1826
.LBB143_1825:
	s_mov_b64 s[10:11], -1
	s_mov_b64 s[8:9], 0
.LBB143_1826:
	s_andn2_b64 vcc, exec, s[10:11]
	s_cbranch_vccnz .LBB143_1828
; %bb.1827:
	s_and_b32 s8, 0xffff, s12
	s_cmp_lg_u32 s8, 0
	s_cselect_b64 s[8:9], -1, 0
.LBB143_1828:
	s_andn2_b64 vcc, exec, s[8:9]
	v_mov_b32_e32 v0, 0
	s_cbranch_vccnz .LBB143_1830
; %bb.1829:
	s_and_b32 s9, s16, 7
	s_flbit_i32_b32 s11, s9
	s_min_u32 s11, s11, 32
	s_sub_i32 s12, s11, 28
	s_lshl_b32 s12, s16, s12
	s_lshl_b32 s8, s16, 24
	s_bfe_u32 s10, s16, 0x40003
	s_sub_i32 s11, 29, s11
	s_and_b32 s12, s12, 7
	s_cmp_eq_u32 s10, 0
	s_cselect_b32 s10, s11, s10
	s_cselect_b32 s9, s12, s9
	s_lshl_b32 s10, s10, 23
	s_and_b32 s8, s8, 0x80000000
	s_add_i32 s10, s10, 0x3b800000
	s_lshl_b32 s9, s9, 20
	s_or_b32 s8, s8, s10
	s_or_b32 s8, s8, s9
	v_cvt_i32_f32_e32 v0, s8
.LBB143_1830:
	global_store_byte v[7:8], v0, off
	s_mov_b64 s[8:9], 0
.LBB143_1831:
	s_and_b64 vcc, exec, s[8:9]
	s_cbranch_vccz .LBB143_1840
; %bb.1832:
	s_and_b32 s12, s16, 0xff
	s_cmpk_lt_i32 s12, 0x80
	s_cbranch_scc1 .LBB143_1834
; %bb.1833:
	s_and_b32 s8, 0xffff, s12
	s_cmpk_lg_i32 s8, 0x80
	s_mov_b64 s[10:11], 0
	s_cselect_b64 s[8:9], -1, 0
	s_branch .LBB143_1835
.LBB143_1834:
	s_mov_b64 s[10:11], -1
	s_mov_b64 s[8:9], 0
.LBB143_1835:
	s_andn2_b64 vcc, exec, s[10:11]
	s_cbranch_vccnz .LBB143_1837
; %bb.1836:
	s_and_b32 s8, 0xffff, s12
	s_cmp_lg_u32 s8, 0
	s_cselect_b64 s[8:9], -1, 0
.LBB143_1837:
	s_andn2_b64 vcc, exec, s[8:9]
	v_mov_b32_e32 v0, 0
	s_cbranch_vccnz .LBB143_1839
; %bb.1838:
	s_and_b32 s9, s16, 7
	s_flbit_i32_b32 s11, s9
	s_min_u32 s11, s11, 32
	s_sub_i32 s12, s11, 28
	s_lshl_b32 s12, s16, s12
	s_lshl_b32 s8, s16, 24
	s_bfe_u32 s10, s16, 0x40003
	s_sub_i32 s11, 29, s11
	s_and_b32 s12, s12, 7
	s_cmp_eq_u32 s10, 0
	s_cselect_b32 s10, s11, s10
	s_cselect_b32 s9, s12, s9
	s_lshl_b32 s10, s10, 23
	s_and_b32 s8, s8, 0x80000000
	s_add_i32 s10, s10, 0x3b800000
	s_lshl_b32 s9, s9, 20
	s_or_b32 s8, s8, s10
	s_or_b32 s8, s8, s9
	v_trunc_f32_e32 v0, s8
	s_mov_b32 s8, 0x2f800000
	v_mul_f32_e64 v1, |v0|, s8
	v_floor_f32_e32 v1, v1
	s_mov_b32 s8, 0xcf800000
	v_fma_f32 v1, v1, s8, |v0|
	v_cvt_u32_f32_e32 v1, v1
	v_ashrrev_i32_e32 v0, 31, v0
	v_xor_b32_e32 v1, v1, v0
	v_sub_u32_e32 v0, v1, v0
.LBB143_1839:
	global_store_byte v[7:8], v0, off
.LBB143_1840:
.LBB143_1841:
	v_mov_b32_e32 v0, s3
	v_add_co_u32_e32 v5, vcc, s2, v6
	s_cmp_lt_i32 s17, 11
	v_addc_co_u32_e32 v6, vcc, 0, v0, vcc
	s_cbranch_scc1 .LBB143_1850
; %bb.1842:
	s_mov_b64 s[14:15], -1
	s_mov_b64 s[10:11], 0
	s_cmp_gt_i32 s17, 25
	s_mov_b64 s[12:13], 0
	s_mov_b64 s[8:9], 0
	s_cbranch_scc0 .LBB143_1920
; %bb.1843:
	s_cmp_gt_i32 s17, 28
	s_cbranch_scc0 .LBB143_1895
; %bb.1844:
	s_cmp_gt_i32 s17, 43
	;; [unrolled: 3-line block ×3, first 2 shown]
	s_cbranch_scc0 .LBB143_1869
; %bb.1846:
	s_mov_b64 s[8:9], -1
	s_mov_b64 s[14:15], 0
	s_cmp_eq_u32 s17, 46
	s_cbranch_scc0 .LBB143_1869
; %bb.1847:
	s_and_b32 s18, s16, 0xff
	s_cmpk_lt_i32 s18, 0x80
	s_cbranch_scc1 .LBB143_1865
; %bb.1848:
	s_and_b32 s8, 0xffff, s18
	s_cmpk_eq_i32 s8, 0x80
	s_mov_b64 s[8:9], -1
	s_cbranch_scc0 .LBB143_1863
; %bb.1849:
	s_mov_b64 s[8:9], 0
	s_mov_b32 s19, 0x7f800001
	s_and_b64 vcc, exec, s[12:13]
	s_cbranch_vccz .LBB143_1866
	s_branch .LBB143_1864
.LBB143_1850:
	s_mov_b64 s[12:13], 0
	s_cbranch_execnz .LBB143_2005
.LBB143_1851:
	s_andn2_b64 vcc, exec, s[12:13]
	s_cbranch_vccnz .LBB143_2135
.LBB143_1852:
	s_load_dword s4, s[4:5], 0x118
	v_mov_b32_e32 v0, s3
	v_add_co_u32_e32 v4, vcc, s2, v4
	v_addc_co_u32_e32 v5, vcc, 0, v0, vcc
	s_waitcnt lgkmcnt(0)
	s_bfe_u32 s12, s4, 0x80008
	s_cmp_lt_i32 s12, 11
	s_cbranch_scc1 .LBB143_1862
; %bb.1853:
	s_and_b32 s13, 0xffff, s12
	s_mov_b64 s[8:9], -1
	s_mov_b64 s[4:5], 0
	s_cmp_gt_i32 s13, 25
	s_mov_b64 s[2:3], 0
	s_cbranch_scc0 .LBB143_2328
; %bb.1854:
	s_cmp_gt_i32 s13, 28
	s_cbranch_scc0 .LBB143_2304
; %bb.1855:
	s_cmp_gt_i32 s13, 43
	;; [unrolled: 3-line block ×3, first 2 shown]
	s_cbranch_scc0 .LBB143_2278
; %bb.1857:
	s_cmp_eq_u32 s13, 46
	s_mov_b64 s[2:3], -1
	s_cbranch_scc0 .LBB143_2277
; %bb.1858:
	s_and_b32 s10, s16, 0xff
	s_cmpk_lt_i32 s10, 0x80
	s_cbranch_scc1 .LBB143_2271
; %bb.1859:
	s_and_b32 s2, 0xffff, s10
	s_cmpk_eq_i32 s2, 0x80
	s_mov_b64 s[2:3], -1
	s_cbranch_scc0 .LBB143_1861
; %bb.1860:
	s_mov_b64 s[2:3], 0
.LBB143_1861:
	s_mov_b64 s[8:9], 0
	s_branch .LBB143_2272
.LBB143_1862:
	s_mov_b64 s[4:5], 0
	s_mov_b64 s[2:3], -1
	s_branch .LBB143_2136
.LBB143_1863:
	s_mov_b32 s19, 0x7f800001
	s_and_b64 vcc, exec, s[12:13]
	s_cbranch_vccz .LBB143_1866
.LBB143_1864:
	s_and_b32 s8, 0xffff, s18
	s_cmp_lg_u32 s8, 0
	s_mov_b32 s19, 0
	s_cselect_b64 s[8:9], -1, 0
	s_andn2_b64 vcc, exec, s[8:9]
	s_cbranch_vccz .LBB143_1867
	s_branch .LBB143_1868
.LBB143_1865:
	s_mov_b64 s[8:9], 0
	s_mov_b32 s19, 0x7f800001
	s_cbranch_execnz .LBB143_1864
.LBB143_1866:
	s_andn2_b64 vcc, exec, s[8:9]
	s_cbranch_vccnz .LBB143_1868
.LBB143_1867:
	s_and_b32 s9, s16, 7
	s_flbit_i32_b32 s13, s9
	s_min_u32 s13, s13, 32
	s_sub_i32 s18, s13, 28
	s_lshl_b32 s18, s16, s18
	s_lshl_b32 s8, s16, 24
	s_bfe_u32 s12, s16, 0x40003
	s_sub_i32 s13, 29, s13
	s_and_b32 s18, s18, 7
	s_cmp_eq_u32 s12, 0
	s_cselect_b32 s12, s13, s12
	s_cselect_b32 s9, s18, s9
	s_lshl_b32 s12, s12, 23
	s_and_b32 s8, s8, 0x80000000
	s_add_i32 s12, s12, 0x3b800000
	s_lshl_b32 s9, s9, 20
	s_or_b32 s8, s8, s12
	s_or_b32 s19, s8, s9
.LBB143_1868:
	s_bfe_u32 s8, s19, 0x10010
	s_add_i32 s8, s19, s8
	s_addk_i32 s8, 0x7fff
	s_lshr_b32 s12, s8, 16
	v_cmp_o_f32_e64 s[8:9], s19, s19
	s_and_b64 s[8:9], s[8:9], exec
	s_cselect_b32 s8, s12, 0x7fc0
	v_mov_b32_e32 v0, s8
	s_mov_b64 s[8:9], 0
	s_mov_b64 s[12:13], -1
	global_store_dword v[5:6], v0, off
.LBB143_1869:
	s_and_b64 vcc, exec, s[14:15]
	s_cbranch_vccz .LBB143_1881
; %bb.1870:
	s_cmp_eq_u32 s17, 44
	s_mov_b64 s[8:9], -1
	s_cbranch_scc0 .LBB143_1881
; %bb.1871:
	s_and_b32 s14, s16, 0xff
	s_cmpk_lt_i32 s14, 0x80
	s_cbranch_scc1 .LBB143_1875
; %bb.1872:
	s_and_b32 s8, 0xffff, s14
	s_cmpk_eq_i32 s8, 0x80
	s_mov_b64 s[8:9], -1
	s_cbranch_scc0 .LBB143_1874
; %bb.1873:
	s_mov_b64 s[8:9], 0
.LBB143_1874:
	s_mov_b64 s[12:13], 0
	s_branch .LBB143_1876
.LBB143_1875:
	s_mov_b64 s[12:13], -1
	s_mov_b64 s[8:9], 0
.LBB143_1876:
	s_mov_b32 s15, 0x7f800001
	s_and_b64 vcc, exec, s[12:13]
	s_cbranch_vccz .LBB143_1886
; %bb.1877:
	s_and_b32 s15, 0xffff, s14
	s_cmp_lg_u32 s15, 0
	s_cselect_b64 s[8:9], -1, 0
	s_andn2_b64 vcc, exec, s[8:9]
	s_cbranch_vccz .LBB143_1887
.LBB143_1878:
	s_lshr_b32 s8, s15, 23
	s_cmpk_eq_i32 s8, 0xff
	v_mov_b32_e32 v0, 0xff
	s_cbranch_scc1 .LBB143_1880
.LBB143_1879:
	s_bitcmp1_b32 s15, 22
	s_cselect_b64 s[12:13], -1, 0
	s_and_b32 s9, s15, 0x3fffff
	s_or_b32 s9, s8, s9
	s_cmp_lg_u32 s9, 0
	s_cselect_b64 s[14:15], -1, 0
	s_and_b64 s[12:13], s[12:13], s[14:15]
	v_cndmask_b32_e64 v0, 0, 1, s[12:13]
	v_add_u32_e32 v0, s8, v0
.LBB143_1880:
	s_mov_b64 s[8:9], 0
	s_mov_b64 s[12:13], -1
	global_store_byte v[5:6], v0, off
.LBB143_1881:
	s_mov_b64 s[14:15], 0
.LBB143_1882:
	s_and_b64 vcc, exec, s[14:15]
	s_cbranch_vccz .LBB143_1894
; %bb.1883:
	s_cmp_eq_u32 s17, 29
	s_mov_b64 s[8:9], -1
	s_cbranch_scc0 .LBB143_1894
; %bb.1884:
	s_and_b32 s14, s16, 0xff
	s_cmpk_lt_i32 s14, 0x80
	s_cbranch_scc1 .LBB143_1888
; %bb.1885:
	s_and_b32 s8, 0xffff, s14
	s_cmpk_lg_i32 s8, 0x80
	s_mov_b64 s[12:13], 0
	s_cselect_b64 s[8:9], -1, 0
	s_branch .LBB143_1889
.LBB143_1886:
	s_andn2_b64 vcc, exec, s[8:9]
	s_cbranch_vccnz .LBB143_1878
.LBB143_1887:
	s_and_b32 s8, s16, 7
	s_flbit_i32_b32 s12, s8
	s_min_u32 s12, s12, 32
	s_sub_i32 s13, s12, 28
	s_lshl_b32 s13, s16, s13
	s_bfe_u32 s9, s16, 0x40003
	s_sub_i32 s12, 29, s12
	s_and_b32 s13, s13, 7
	s_cmp_eq_u32 s9, 0
	s_cselect_b32 s9, s12, s9
	s_cselect_b32 s8, s13, s8
	s_lshl_b32 s8, s8, 20
	s_lshl_b32 s9, s9, 23
	s_or_b32 s8, s9, s8
	s_add_i32 s15, s8, 0x3b800000
	s_lshr_b32 s8, s15, 23
	s_cmpk_eq_i32 s8, 0xff
	v_mov_b32_e32 v0, 0xff
	s_cbranch_scc0 .LBB143_1879
	s_branch .LBB143_1880
.LBB143_1888:
	s_mov_b64 s[12:13], -1
	s_mov_b64 s[8:9], 0
.LBB143_1889:
	s_andn2_b64 vcc, exec, s[12:13]
	s_cbranch_vccnz .LBB143_1891
; %bb.1890:
	s_and_b32 s8, 0xffff, s14
	s_cmp_lg_u32 s8, 0
	s_cselect_b64 s[8:9], -1, 0
.LBB143_1891:
	v_mov_b32_e32 v0, 0
	s_andn2_b64 vcc, exec, s[8:9]
	v_mov_b32_e32 v1, 0
	s_cbranch_vccnz .LBB143_1893
; %bb.1892:
	s_and_b32 s9, s16, 7
	s_flbit_i32_b32 s13, s9
	s_min_u32 s13, s13, 32
	s_sub_i32 s14, s13, 28
	s_lshl_b32 s14, s16, s14
	s_lshl_b32 s8, s16, 24
	s_bfe_u32 s12, s16, 0x40003
	s_sub_i32 s13, 29, s13
	s_and_b32 s14, s14, 7
	s_cmp_eq_u32 s12, 0
	s_cselect_b32 s12, s13, s12
	s_cselect_b32 s9, s14, s9
	s_lshl_b32 s12, s12, 23
	s_and_b32 s8, s8, 0x80000000
	s_add_i32 s12, s12, 0x3b800000
	s_lshl_b32 s9, s9, 20
	s_or_b32 s8, s8, s12
	s_or_b32 s8, s8, s9
	v_trunc_f32_e32 v0, s8
	v_mul_f32_e32 v1, 0x2f800000, v0
	v_floor_f32_e32 v1, v1
	v_fmac_f32_e32 v0, 0xcf800000, v1
	v_cvt_u32_f32_e32 v0, v0
	v_cvt_u32_f32_e32 v1, v1
.LBB143_1893:
	global_store_dwordx2 v[5:6], v[0:1], off
	s_mov_b64 s[8:9], 0
	s_mov_b64 s[12:13], -1
.LBB143_1894:
	s_mov_b64 s[14:15], 0
.LBB143_1895:
	s_and_b64 vcc, exec, s[14:15]
	s_cbranch_vccz .LBB143_1919
; %bb.1896:
	s_cmp_lt_i32 s17, 27
	s_mov_b64 s[12:13], -1
	s_cbranch_scc1 .LBB143_1916
; %bb.1897:
	s_cmp_gt_i32 s17, 27
	s_cbranch_scc0 .LBB143_1906
; %bb.1898:
	s_and_b32 s18, s16, 0xff
	s_cmpk_lt_i32 s18, 0x80
	s_cbranch_scc1 .LBB143_1900
; %bb.1899:
	s_and_b32 s12, 0xffff, s18
	s_cmpk_lg_i32 s12, 0x80
	s_mov_b64 s[14:15], 0
	s_cselect_b64 s[12:13], -1, 0
	s_branch .LBB143_1901
.LBB143_1900:
	s_mov_b64 s[14:15], -1
	s_mov_b64 s[12:13], 0
.LBB143_1901:
	s_andn2_b64 vcc, exec, s[14:15]
	s_cbranch_vccnz .LBB143_1903
; %bb.1902:
	s_and_b32 s12, 0xffff, s18
	s_cmp_lg_u32 s12, 0
	s_cselect_b64 s[12:13], -1, 0
.LBB143_1903:
	s_andn2_b64 vcc, exec, s[12:13]
	v_mov_b32_e32 v0, 0
	s_cbranch_vccnz .LBB143_1905
; %bb.1904:
	s_and_b32 s13, s16, 7
	s_flbit_i32_b32 s15, s13
	s_min_u32 s15, s15, 32
	s_sub_i32 s18, s15, 28
	s_lshl_b32 s18, s16, s18
	s_lshl_b32 s12, s16, 24
	s_bfe_u32 s14, s16, 0x40003
	s_sub_i32 s15, 29, s15
	s_and_b32 s18, s18, 7
	s_cmp_eq_u32 s14, 0
	s_cselect_b32 s14, s15, s14
	s_cselect_b32 s13, s18, s13
	s_lshl_b32 s14, s14, 23
	s_and_b32 s12, s12, 0x80000000
	s_add_i32 s14, s14, 0x3b800000
	s_lshl_b32 s13, s13, 20
	s_or_b32 s12, s12, s14
	s_or_b32 s12, s12, s13
	v_cvt_u32_f32_e32 v0, s12
.LBB143_1905:
	global_store_dword v[5:6], v0, off
	s_mov_b64 s[12:13], 0
.LBB143_1906:
	s_and_b64 vcc, exec, s[12:13]
	s_cbranch_vccz .LBB143_1915
; %bb.1907:
	s_and_b32 s18, s16, 0xff
	s_cmpk_lt_i32 s18, 0x80
	s_cbranch_scc1 .LBB143_1909
; %bb.1908:
	s_and_b32 s12, 0xffff, s18
	s_cmpk_lg_i32 s12, 0x80
	s_mov_b64 s[14:15], 0
	s_cselect_b64 s[12:13], -1, 0
	s_branch .LBB143_1910
.LBB143_1909:
	s_mov_b64 s[14:15], -1
	s_mov_b64 s[12:13], 0
.LBB143_1910:
	s_andn2_b64 vcc, exec, s[14:15]
	s_cbranch_vccnz .LBB143_1912
; %bb.1911:
	s_and_b32 s12, 0xffff, s18
	s_cmp_lg_u32 s12, 0
	s_cselect_b64 s[12:13], -1, 0
.LBB143_1912:
	s_andn2_b64 vcc, exec, s[12:13]
	v_mov_b32_e32 v0, 0
	s_cbranch_vccnz .LBB143_1914
; %bb.1913:
	s_and_b32 s13, s16, 7
	s_flbit_i32_b32 s15, s13
	s_min_u32 s15, s15, 32
	s_sub_i32 s18, s15, 28
	s_lshl_b32 s18, s16, s18
	s_lshl_b32 s12, s16, 24
	s_bfe_u32 s14, s16, 0x40003
	s_sub_i32 s15, 29, s15
	s_and_b32 s18, s18, 7
	s_cmp_eq_u32 s14, 0
	s_cselect_b32 s14, s15, s14
	s_cselect_b32 s13, s18, s13
	s_lshl_b32 s14, s14, 23
	s_and_b32 s12, s12, 0x80000000
	s_add_i32 s14, s14, 0x3b800000
	s_lshl_b32 s13, s13, 20
	s_or_b32 s12, s12, s14
	s_or_b32 s12, s12, s13
	v_cvt_u32_f32_e32 v0, s12
.LBB143_1914:
	global_store_short v[5:6], v0, off
.LBB143_1915:
	s_mov_b64 s[12:13], 0
.LBB143_1916:
	s_andn2_b64 vcc, exec, s[12:13]
	s_cbranch_vccnz .LBB143_1918
; %bb.1917:
	v_mov_b32_e32 v0, s16
	global_store_byte v[5:6], v0, off
.LBB143_1918:
	s_mov_b64 s[12:13], -1
.LBB143_1919:
	s_mov_b64 s[14:15], 0
.LBB143_1920:
	s_and_b64 vcc, exec, s[14:15]
	s_cbranch_vccz .LBB143_2001
; %bb.1921:
	s_cmp_gt_i32 s17, 22
	s_mov_b64 s[10:11], -1
	s_cbranch_scc0 .LBB143_1986
; %bb.1922:
	s_cmp_lt_i32 s17, 24
	s_cbranch_scc1 .LBB143_1964
; %bb.1923:
	s_cmp_gt_i32 s17, 24
	s_cbranch_scc0 .LBB143_1942
; %bb.1924:
	s_and_b32 s15, s16, 0xff
	s_cmpk_lt_i32 s15, 0x80
	s_cbranch_scc1 .LBB143_1928
; %bb.1925:
	s_and_b32 s10, 0xffff, s15
	s_cmpk_eq_i32 s10, 0x80
	s_mov_b64 s[10:11], -1
	s_cbranch_scc0 .LBB143_1927
; %bb.1926:
	s_mov_b64 s[10:11], 0
.LBB143_1927:
	s_mov_b64 s[12:13], 0
	s_branch .LBB143_1929
.LBB143_1928:
	s_mov_b64 s[12:13], -1
	s_mov_b64 s[10:11], 0
.LBB143_1929:
	s_mov_b32 s14, 0x7f800001
	s_and_b64 vcc, exec, s[12:13]
	s_cbranch_vccz .LBB143_1932
; %bb.1930:
	s_and_b32 s10, 0xffff, s15
	s_cmp_lg_u32 s10, 0
	s_mov_b32 s14, 0
	s_cselect_b64 s[10:11], -1, 0
	s_andn2_b64 vcc, exec, s[10:11]
	s_cbranch_vccz .LBB143_1933
.LBB143_1931:
	s_and_b32 s10, s14, 0x7fffffff
	s_cmp_gt_u32 s10, 0x477fffff
	v_mov_b32_e32 v1, 0x80
	s_cbranch_scc0 .LBB143_1934
	s_branch .LBB143_1941
.LBB143_1932:
	s_andn2_b64 vcc, exec, s[10:11]
	s_cbranch_vccnz .LBB143_1931
.LBB143_1933:
	s_and_b32 s11, s16, 7
	s_flbit_i32_b32 s13, s11
	s_min_u32 s13, s13, 32
	s_sub_i32 s14, s13, 28
	s_lshl_b32 s14, s16, s14
	s_lshl_b32 s10, s16, 24
	s_bfe_u32 s12, s16, 0x40003
	s_sub_i32 s13, 29, s13
	s_and_b32 s14, s14, 7
	s_cmp_eq_u32 s12, 0
	s_cselect_b32 s12, s13, s12
	s_cselect_b32 s11, s14, s11
	s_lshl_b32 s12, s12, 23
	s_and_b32 s10, s10, 0x80000000
	s_add_i32 s12, s12, 0x3b800000
	s_lshl_b32 s11, s11, 20
	s_or_b32 s10, s10, s12
	s_or_b32 s14, s10, s11
	s_and_b32 s10, s14, 0x7fffffff
	s_cmp_gt_u32 s10, 0x477fffff
	v_mov_b32_e32 v1, 0x80
	s_cbranch_scc1 .LBB143_1941
.LBB143_1934:
	s_cmp_gt_u32 s10, 0x37ffffff
	s_cbranch_scc0 .LBB143_1936
; %bb.1935:
	s_bfe_u32 s10, s14, 0x10015
	s_add_i32 s10, s14, s10
	s_add_i32 s10, s10, 0x88fffff
	s_lshr_b32 s15, s10, 21
	s_mov_b64 s[12:13], 0
	s_mov_b64 s[10:11], -1
	s_branch .LBB143_1937
.LBB143_1936:
	s_mov_b64 s[12:13], -1
	s_mov_b64 s[10:11], 0
                                        ; implicit-def: $sgpr15
.LBB143_1937:
	s_andn2_b64 vcc, exec, s[12:13]
	v_mov_b32_e32 v0, s15
	s_cbranch_vccnz .LBB143_1939
; %bb.1938:
	v_mov_b32_e32 v0, 0x42800000
	v_add_f32_e64 v0, |s14|, v0
	v_and_b32_e32 v0, 0xff, v0
	v_cmp_ne_u32_e64 s[10:11], 0, v0
.LBB143_1939:
	s_andn2_b64 vcc, exec, s[10:11]
	v_mov_b32_e32 v1, 0
	s_cbranch_vccnz .LBB143_1941
; %bb.1940:
	s_lshr_b32 s10, s14, 24
	s_and_b32 s10, s10, 0x80
	v_or_b32_e32 v1, s10, v0
.LBB143_1941:
	global_store_byte v[5:6], v1, off
	s_mov_b64 s[10:11], 0
.LBB143_1942:
	s_and_b64 vcc, exec, s[10:11]
	s_cbranch_vccz .LBB143_1963
; %bb.1943:
	s_and_b32 s15, s16, 0xff
	s_cmpk_lt_i32 s15, 0x80
	s_cbranch_scc1 .LBB143_1947
; %bb.1944:
	s_and_b32 s10, 0xffff, s15
	s_cmpk_eq_i32 s10, 0x80
	s_mov_b64 s[10:11], -1
	s_cbranch_scc0 .LBB143_1946
; %bb.1945:
	s_mov_b64 s[10:11], 0
.LBB143_1946:
	s_mov_b64 s[12:13], 0
	s_branch .LBB143_1948
.LBB143_1947:
	s_mov_b64 s[12:13], -1
	s_mov_b64 s[10:11], 0
.LBB143_1948:
	s_mov_b32 s14, 0x7f800001
	s_and_b64 vcc, exec, s[12:13]
	s_cbranch_vccz .LBB143_1953
; %bb.1949:
	s_and_b32 s10, 0xffff, s15
	s_cmp_lg_u32 s10, 0
	s_mov_b32 s14, 0
	s_cselect_b64 s[10:11], -1, 0
	s_andn2_b64 vcc, exec, s[10:11]
	s_cbranch_vccz .LBB143_1954
.LBB143_1950:
	s_and_b32 s12, s14, 0x7fffffff
	s_cmp_lt_u32 s12, 0x43f00000
	s_cbranch_scc0 .LBB143_1955
.LBB143_1951:
	s_cmp_gt_u32 s12, 0x3c7fffff
	s_cbranch_scc0 .LBB143_1956
; %bb.1952:
	s_bfe_u32 s10, s14, 0x10014
	s_add_i32 s10, s14, s10
	s_add_i32 s10, s10, 0x407ffff
	s_lshr_b32 s11, s10, 20
	s_and_b32 s10, s10, 0xff00000
	s_cmp_lg_u32 s10, 0x7f00000
	s_cselect_b32 s13, s11, 0x7e
	s_mov_b64 s[10:11], 0
	s_branch .LBB143_1957
.LBB143_1953:
	s_andn2_b64 vcc, exec, s[10:11]
	s_cbranch_vccnz .LBB143_1950
.LBB143_1954:
	s_and_b32 s11, s16, 7
	s_flbit_i32_b32 s13, s11
	s_min_u32 s13, s13, 32
	s_sub_i32 s14, s13, 28
	s_lshl_b32 s14, s16, s14
	s_lshl_b32 s10, s16, 24
	s_bfe_u32 s12, s16, 0x40003
	s_sub_i32 s13, 29, s13
	s_and_b32 s14, s14, 7
	s_cmp_eq_u32 s12, 0
	s_cselect_b32 s12, s13, s12
	s_cselect_b32 s11, s14, s11
	s_lshl_b32 s12, s12, 23
	s_and_b32 s10, s10, 0x80000000
	s_add_i32 s12, s12, 0x3b800000
	s_lshl_b32 s11, s11, 20
	s_or_b32 s10, s10, s12
	s_or_b32 s14, s10, s11
	s_and_b32 s12, s14, 0x7fffffff
	s_cmp_lt_u32 s12, 0x43f00000
	s_cbranch_scc1 .LBB143_1951
.LBB143_1955:
	s_mov_b64 s[10:11], -1
                                        ; implicit-def: $vgpr0
	s_branch .LBB143_1960
.LBB143_1956:
	s_mov_b64 s[10:11], -1
                                        ; implicit-def: $sgpr13
.LBB143_1957:
	s_andn2_b64 vcc, exec, s[10:11]
	v_mov_b32_e32 v0, s13
	s_cbranch_vccnz .LBB143_1959
; %bb.1958:
	v_mov_b32_e32 v0, 0x46800000
	v_add_f32_e64 v0, |s14|, v0
.LBB143_1959:
	s_mov_b64 s[10:11], 0
.LBB143_1960:
	s_andn2_b64 vcc, exec, s[10:11]
	s_cbranch_vccnz .LBB143_1962
; %bb.1961:
	s_cmp_gt_u32 s12, 0x7f800000
	s_movk_i32 s10, 0x7f
	s_cselect_b32 s10, s10, 0x7e
	v_mov_b32_e32 v0, s10
.LBB143_1962:
	s_lshr_b32 s10, s14, 24
	s_and_b32 s10, s10, 0x80
	v_or_b32_e32 v0, s10, v0
	global_store_byte v[5:6], v0, off
.LBB143_1963:
	s_mov_b64 s[10:11], 0
.LBB143_1964:
	s_andn2_b64 vcc, exec, s[10:11]
	s_cbranch_vccnz .LBB143_1985
; %bb.1965:
	s_and_b32 s15, s16, 0xff
	s_cmpk_lt_i32 s15, 0x80
	s_cbranch_scc1 .LBB143_1969
; %bb.1966:
	s_and_b32 s10, 0xffff, s15
	s_cmpk_eq_i32 s10, 0x80
	s_mov_b64 s[10:11], -1
	s_cbranch_scc0 .LBB143_1968
; %bb.1967:
	s_mov_b64 s[10:11], 0
.LBB143_1968:
	s_mov_b64 s[12:13], 0
	s_branch .LBB143_1970
.LBB143_1969:
	s_mov_b64 s[12:13], -1
	s_mov_b64 s[10:11], 0
.LBB143_1970:
	s_mov_b32 s14, 0x7f800001
	s_and_b64 vcc, exec, s[12:13]
	s_cbranch_vccz .LBB143_1975
; %bb.1971:
	s_and_b32 s10, 0xffff, s15
	s_cmp_lg_u32 s10, 0
	s_mov_b32 s14, 0
	s_cselect_b64 s[10:11], -1, 0
	s_andn2_b64 vcc, exec, s[10:11]
	s_cbranch_vccz .LBB143_1976
.LBB143_1972:
	s_and_b32 s12, s14, 0x7fffffff
	s_cmp_lt_u32 s12, 0x47800000
	s_cbranch_scc0 .LBB143_1977
.LBB143_1973:
	s_cmp_gt_u32 s12, 0x387fffff
	s_cbranch_scc0 .LBB143_1978
; %bb.1974:
	s_bfe_u32 s10, s14, 0x10015
	s_add_i32 s10, s14, s10
	s_add_i32 s10, s10, 0x80fffff
	s_lshr_b32 s13, s10, 21
	s_mov_b64 s[10:11], 0
	s_branch .LBB143_1979
.LBB143_1975:
	s_andn2_b64 vcc, exec, s[10:11]
	s_cbranch_vccnz .LBB143_1972
.LBB143_1976:
	s_and_b32 s11, s16, 7
	s_flbit_i32_b32 s13, s11
	s_min_u32 s13, s13, 32
	s_sub_i32 s14, s13, 28
	s_lshl_b32 s14, s16, s14
	s_lshl_b32 s10, s16, 24
	s_bfe_u32 s12, s16, 0x40003
	s_sub_i32 s13, 29, s13
	s_and_b32 s14, s14, 7
	s_cmp_eq_u32 s12, 0
	s_cselect_b32 s12, s13, s12
	s_cselect_b32 s11, s14, s11
	s_lshl_b32 s12, s12, 23
	s_and_b32 s10, s10, 0x80000000
	s_add_i32 s12, s12, 0x3b800000
	s_lshl_b32 s11, s11, 20
	s_or_b32 s10, s10, s12
	s_or_b32 s14, s10, s11
	s_and_b32 s12, s14, 0x7fffffff
	s_cmp_lt_u32 s12, 0x47800000
	s_cbranch_scc1 .LBB143_1973
.LBB143_1977:
	s_mov_b64 s[10:11], -1
                                        ; implicit-def: $vgpr0
	s_branch .LBB143_1982
.LBB143_1978:
	s_mov_b64 s[10:11], -1
                                        ; implicit-def: $sgpr13
.LBB143_1979:
	s_andn2_b64 vcc, exec, s[10:11]
	v_mov_b32_e32 v0, s13
	s_cbranch_vccnz .LBB143_1981
; %bb.1980:
	v_mov_b32_e32 v0, 0x43000000
	v_add_f32_e64 v0, |s14|, v0
.LBB143_1981:
	s_mov_b64 s[10:11], 0
.LBB143_1982:
	s_andn2_b64 vcc, exec, s[10:11]
	s_cbranch_vccnz .LBB143_1984
; %bb.1983:
	s_cmp_gt_u32 s12, 0x7f800000
	s_movk_i32 s10, 0x7f
	s_cselect_b32 s10, s10, 0x7c
	v_mov_b32_e32 v0, s10
.LBB143_1984:
	s_lshr_b32 s10, s14, 24
	s_and_b32 s10, s10, 0x80
	v_or_b32_e32 v0, s10, v0
	global_store_byte v[5:6], v0, off
.LBB143_1985:
	s_mov_b64 s[10:11], 0
	s_mov_b64 s[12:13], -1
.LBB143_1986:
	s_andn2_b64 vcc, exec, s[10:11]
	s_mov_b64 s[10:11], 0
	s_cbranch_vccnz .LBB143_2001
; %bb.1987:
	s_cmp_gt_i32 s17, 14
	s_mov_b64 s[14:15], -1
	s_cbranch_scc0 .LBB143_1999
; %bb.1988:
	s_cmp_eq_u32 s17, 15
	s_mov_b64 s[8:9], -1
	s_cbranch_scc0 .LBB143_1998
; %bb.1989:
	s_and_b32 s12, s16, 0xff
	s_cmpk_lt_i32 s12, 0x80
	s_cbranch_scc1 .LBB143_1994
; %bb.1990:
	s_and_b32 s8, 0xffff, s12
	s_cmpk_eq_i32 s8, 0x80
	s_mov_b64 s[8:9], -1
	s_cbranch_scc0 .LBB143_1992
; %bb.1991:
	s_mov_b64 s[8:9], 0
	s_mov_b32 s13, 0x7f800001
	s_and_b64 vcc, exec, s[10:11]
	s_cbranch_vccz .LBB143_1995
	s_branch .LBB143_1993
.LBB143_1992:
	s_mov_b32 s13, 0x7f800001
	s_and_b64 vcc, exec, s[10:11]
	s_cbranch_vccz .LBB143_1995
.LBB143_1993:
	s_and_b32 s8, 0xffff, s12
	s_cmp_lg_u32 s8, 0
	s_mov_b32 s13, 0
	s_cselect_b64 s[8:9], -1, 0
	s_andn2_b64 vcc, exec, s[8:9]
	s_cbranch_vccz .LBB143_1996
	s_branch .LBB143_1997
.LBB143_1994:
	s_mov_b64 s[8:9], 0
	s_mov_b32 s13, 0x7f800001
	s_cbranch_execnz .LBB143_1993
.LBB143_1995:
	s_andn2_b64 vcc, exec, s[8:9]
	s_cbranch_vccnz .LBB143_1997
.LBB143_1996:
	s_and_b32 s9, s16, 7
	s_flbit_i32_b32 s11, s9
	s_min_u32 s11, s11, 32
	s_sub_i32 s12, s11, 28
	s_lshl_b32 s12, s16, s12
	s_lshl_b32 s8, s16, 24
	s_bfe_u32 s10, s16, 0x40003
	s_sub_i32 s11, 29, s11
	s_and_b32 s12, s12, 7
	s_cmp_eq_u32 s10, 0
	s_cselect_b32 s10, s11, s10
	s_cselect_b32 s9, s12, s9
	s_lshl_b32 s10, s10, 23
	s_and_b32 s8, s8, 0x80000000
	s_add_i32 s10, s10, 0x3b800000
	s_lshl_b32 s9, s9, 20
	s_or_b32 s8, s8, s10
	s_or_b32 s13, s8, s9
.LBB143_1997:
	s_bfe_u32 s8, s13, 0x10010
	s_add_i32 s8, s13, s8
	s_addk_i32 s8, 0x7fff
	s_lshr_b32 s10, s8, 16
	v_cmp_o_f32_e64 s[8:9], s13, s13
	s_and_b64 s[8:9], s[8:9], exec
	s_cselect_b32 s8, s10, 0x7fc0
	v_mov_b32_e32 v0, s8
	global_store_short v[5:6], v0, off
	s_mov_b64 s[8:9], 0
	s_mov_b64 s[12:13], -1
.LBB143_1998:
	s_mov_b64 s[14:15], 0
.LBB143_1999:
	s_mov_b64 s[10:11], 0
	s_and_b64 vcc, exec, s[14:15]
	s_cbranch_vccz .LBB143_2001
; %bb.2000:
	s_cmp_lg_u32 s17, 11
	s_mov_b64 s[10:11], -1
	s_cselect_b64 s[8:9], -1, 0
.LBB143_2001:
	s_and_b64 vcc, exec, s[8:9]
	s_cbranch_vccnz .LBB143_2013
; %bb.2002:
	s_andn2_b64 vcc, exec, s[10:11]
	s_cbranch_vccnz .LBB143_2004
.LBB143_2003:
	s_and_b32 s8, s16, 0xff
	s_cmp_lg_u32 s8, 0
	s_cselect_b64 s[8:9], -1, 0
	v_cndmask_b32_e64 v0, 0, 1, s[8:9]
	s_mov_b64 s[12:13], -1
	global_store_byte v[5:6], v0, off
.LBB143_2004:
	s_branch .LBB143_1851
.LBB143_2005:
	s_cmp_lt_i32 s17, 5
	s_mov_b64 s[8:9], -1
	s_cbranch_scc1 .LBB143_2083
; %bb.2006:
	s_cmp_lt_i32 s17, 8
	s_cbranch_scc1 .LBB143_2045
; %bb.2007:
	s_cmp_lt_i32 s17, 9
	s_cbranch_scc1 .LBB143_2033
; %bb.2008:
	s_cmp_gt_i32 s17, 9
	s_cbranch_scc0 .LBB143_2021
; %bb.2009:
	s_and_b32 s12, s16, 0xff
	s_cmpk_lt_i32 s12, 0x80
	s_cbranch_scc1 .LBB143_2014
; %bb.2010:
	s_and_b32 s8, 0xffff, s12
	s_cmpk_eq_i32 s8, 0x80
	s_mov_b64 s[8:9], -1
	s_cbranch_scc0 .LBB143_2012
; %bb.2011:
	s_mov_b64 s[8:9], 0
.LBB143_2012:
	s_mov_b64 s[10:11], 0
	s_branch .LBB143_2015
.LBB143_2013:
	s_trap 2
	s_or_b64 s[0:1], s[0:1], exec
	s_cbranch_execz .LBB143_2003
	s_branch .LBB143_2004
.LBB143_2014:
	s_mov_b64 s[10:11], -1
	s_mov_b64 s[8:9], 0
.LBB143_2015:
	s_and_b64 vcc, exec, s[10:11]
	s_cbranch_vccz .LBB143_2017
; %bb.2016:
	s_and_b32 s8, 0xffff, s12
	s_cmp_lg_u32 s8, 0
	s_mov_b64 s[10:11], 0
	s_cselect_b64 s[8:9], -1, 0
	s_branch .LBB143_2018
.LBB143_2017:
	s_mov_b32 s11, 0x7ff80000
	s_brev_b32 s10, 4
.LBB143_2018:
	v_mov_b32_e32 v0, s10
	s_andn2_b64 vcc, exec, s[8:9]
	v_mov_b32_e32 v1, s11
	s_cbranch_vccnz .LBB143_2020
; %bb.2019:
	s_and_b32 s9, s16, 7
	s_flbit_i32_b32 s11, s9
	s_min_u32 s11, s11, 32
	s_sub_i32 s12, s11, 28
	s_lshl_b32 s12, s16, s12
	s_lshl_b32 s8, s16, 24
	s_bfe_u32 s10, s16, 0x40003
	s_sub_i32 s11, 29, s11
	s_and_b32 s12, s12, 7
	s_cmp_eq_u32 s10, 0
	s_cselect_b32 s10, s11, s10
	s_cselect_b32 s9, s12, s9
	s_lshl_b32 s10, s10, 23
	s_and_b32 s8, s8, 0x80000000
	s_add_i32 s10, s10, 0x3b800000
	s_lshl_b32 s9, s9, 20
	s_or_b32 s8, s8, s10
	s_or_b32 s8, s8, s9
	v_cvt_f64_f32_e32 v[0:1], s8
.LBB143_2020:
	v_mov_b32_e32 v2, 0
	v_mov_b32_e32 v3, v2
	global_store_dwordx4 v[5:6], v[0:3], off
	s_mov_b64 s[8:9], 0
.LBB143_2021:
	s_and_b64 vcc, exec, s[8:9]
	s_cbranch_vccz .LBB143_2032
; %bb.2022:
	s_and_b32 s12, s16, 0xff
	s_cmpk_lt_i32 s12, 0x80
	s_cbranch_scc1 .LBB143_2026
; %bb.2023:
	s_and_b32 s8, 0xffff, s12
	s_cmpk_eq_i32 s8, 0x80
	s_mov_b64 s[8:9], -1
	s_cbranch_scc0 .LBB143_2025
; %bb.2024:
	s_mov_b64 s[8:9], 0
.LBB143_2025:
	s_mov_b64 s[10:11], 0
	s_branch .LBB143_2027
.LBB143_2026:
	s_mov_b64 s[10:11], -1
	s_mov_b64 s[8:9], 0
.LBB143_2027:
	s_mov_b32 s13, 0x7f800001
	s_and_b64 vcc, exec, s[10:11]
	s_cbranch_vccz .LBB143_2029
; %bb.2028:
	s_and_b32 s13, 0xffff, s12
	s_cmp_lg_u32 s13, 0
	s_cselect_b64 s[8:9], -1, 0
.LBB143_2029:
	s_andn2_b64 vcc, exec, s[8:9]
	s_cbranch_vccnz .LBB143_2031
; %bb.2030:
	s_and_b32 s9, s16, 7
	s_flbit_i32_b32 s11, s9
	s_min_u32 s11, s11, 32
	s_sub_i32 s12, s11, 28
	s_lshl_b32 s12, s16, s12
	s_lshl_b32 s8, s16, 24
	s_bfe_u32 s10, s16, 0x40003
	s_sub_i32 s11, 29, s11
	s_and_b32 s12, s12, 7
	s_cmp_eq_u32 s10, 0
	s_cselect_b32 s10, s11, s10
	s_cselect_b32 s9, s12, s9
	s_lshl_b32 s10, s10, 23
	s_and_b32 s8, s8, 0x80000000
	s_add_i32 s10, s10, 0x3b800000
	s_lshl_b32 s9, s9, 20
	s_or_b32 s8, s8, s10
	s_or_b32 s13, s8, s9
.LBB143_2031:
	v_mov_b32_e32 v0, s13
	v_mov_b32_e32 v1, 0
	global_store_dwordx2 v[5:6], v[0:1], off
.LBB143_2032:
	s_mov_b64 s[8:9], 0
.LBB143_2033:
	s_andn2_b64 vcc, exec, s[8:9]
	s_cbranch_vccnz .LBB143_2044
; %bb.2034:
	s_and_b32 s12, s16, 0xff
	s_cmpk_lt_i32 s12, 0x80
	s_cbranch_scc1 .LBB143_2038
; %bb.2035:
	s_and_b32 s8, 0xffff, s12
	s_cmpk_eq_i32 s8, 0x80
	s_mov_b64 s[8:9], -1
	s_cbranch_scc0 .LBB143_2037
; %bb.2036:
	s_mov_b64 s[8:9], 0
.LBB143_2037:
	s_mov_b64 s[10:11], 0
	s_branch .LBB143_2039
.LBB143_2038:
	s_mov_b64 s[10:11], -1
	s_mov_b64 s[8:9], 0
.LBB143_2039:
	s_movk_i32 s13, 0x7e00
	s_and_b64 vcc, exec, s[10:11]
	s_cbranch_vccz .LBB143_2041
; %bb.2040:
	s_and_b32 s13, 0xffff, s12
	s_cmp_lg_u32 s13, 0
	s_cselect_b64 s[8:9], -1, 0
.LBB143_2041:
	s_andn2_b64 vcc, exec, s[8:9]
	v_mov_b32_e32 v0, s13
	s_cbranch_vccnz .LBB143_2043
; %bb.2042:
	s_and_b32 s9, s16, 7
	s_flbit_i32_b32 s11, s9
	s_min_u32 s11, s11, 32
	s_sub_i32 s12, s11, 28
	s_lshl_b32 s12, s16, s12
	s_lshl_b32 s8, s16, 24
	s_bfe_u32 s10, s16, 0x40003
	s_sub_i32 s11, 29, s11
	s_and_b32 s12, s12, 7
	s_cmp_eq_u32 s10, 0
	s_cselect_b32 s10, s11, s10
	s_cselect_b32 s9, s12, s9
	s_lshl_b32 s10, s10, 23
	s_and_b32 s8, s8, 0x80000000
	s_add_i32 s10, s10, 0x3b800000
	s_lshl_b32 s9, s9, 20
	s_or_b32 s8, s8, s10
	s_or_b32 s8, s8, s9
	v_cvt_f16_f32_e32 v0, s8
.LBB143_2043:
	global_store_dword v[5:6], v0, off
.LBB143_2044:
	s_mov_b64 s[8:9], 0
.LBB143_2045:
	s_andn2_b64 vcc, exec, s[8:9]
	s_cbranch_vccnz .LBB143_2082
; %bb.2046:
	s_cmp_lt_i32 s17, 6
	s_mov_b64 s[8:9], -1
	s_cbranch_scc1 .LBB143_2071
; %bb.2047:
	s_cmp_gt_i32 s17, 6
	s_cbranch_scc0 .LBB143_2059
; %bb.2048:
	s_and_b32 s12, s16, 0xff
	s_cmpk_lt_i32 s12, 0x80
	s_cbranch_scc1 .LBB143_2052
; %bb.2049:
	s_and_b32 s8, 0xffff, s12
	s_cmpk_eq_i32 s8, 0x80
	s_mov_b64 s[8:9], -1
	s_cbranch_scc0 .LBB143_2051
; %bb.2050:
	s_mov_b64 s[8:9], 0
.LBB143_2051:
	s_mov_b64 s[10:11], 0
	s_branch .LBB143_2053
.LBB143_2052:
	s_mov_b64 s[10:11], -1
	s_mov_b64 s[8:9], 0
.LBB143_2053:
	s_and_b64 vcc, exec, s[10:11]
	s_cbranch_vccz .LBB143_2055
; %bb.2054:
	s_and_b32 s8, 0xffff, s12
	s_cmp_lg_u32 s8, 0
	s_mov_b64 s[10:11], 0
	s_cselect_b64 s[8:9], -1, 0
	s_branch .LBB143_2056
.LBB143_2055:
	s_mov_b32 s11, 0x7ff80000
	s_brev_b32 s10, 4
.LBB143_2056:
	v_mov_b32_e32 v0, s10
	s_andn2_b64 vcc, exec, s[8:9]
	v_mov_b32_e32 v1, s11
	s_cbranch_vccnz .LBB143_2058
; %bb.2057:
	s_and_b32 s9, s16, 7
	s_flbit_i32_b32 s11, s9
	s_min_u32 s11, s11, 32
	s_sub_i32 s12, s11, 28
	s_lshl_b32 s12, s16, s12
	s_lshl_b32 s8, s16, 24
	s_bfe_u32 s10, s16, 0x40003
	s_sub_i32 s11, 29, s11
	s_and_b32 s12, s12, 7
	s_cmp_eq_u32 s10, 0
	s_cselect_b32 s10, s11, s10
	s_cselect_b32 s9, s12, s9
	s_lshl_b32 s10, s10, 23
	s_and_b32 s8, s8, 0x80000000
	s_add_i32 s10, s10, 0x3b800000
	s_lshl_b32 s9, s9, 20
	s_or_b32 s8, s8, s10
	s_or_b32 s8, s8, s9
	v_cvt_f64_f32_e32 v[0:1], s8
.LBB143_2058:
	global_store_dwordx2 v[5:6], v[0:1], off
	s_mov_b64 s[8:9], 0
.LBB143_2059:
	s_and_b64 vcc, exec, s[8:9]
	s_cbranch_vccz .LBB143_2070
; %bb.2060:
	s_and_b32 s12, s16, 0xff
	s_cmpk_lt_i32 s12, 0x80
	s_cbranch_scc1 .LBB143_2064
; %bb.2061:
	s_and_b32 s8, 0xffff, s12
	s_cmpk_eq_i32 s8, 0x80
	s_mov_b64 s[8:9], -1
	s_cbranch_scc0 .LBB143_2063
; %bb.2062:
	s_mov_b64 s[8:9], 0
.LBB143_2063:
	s_mov_b64 s[10:11], 0
	s_branch .LBB143_2065
.LBB143_2064:
	s_mov_b64 s[10:11], -1
	s_mov_b64 s[8:9], 0
.LBB143_2065:
	s_mov_b32 s13, 0x7f800001
	s_and_b64 vcc, exec, s[10:11]
	s_cbranch_vccz .LBB143_2067
; %bb.2066:
	s_and_b32 s13, 0xffff, s12
	s_cmp_lg_u32 s13, 0
	s_cselect_b64 s[8:9], -1, 0
.LBB143_2067:
	s_andn2_b64 vcc, exec, s[8:9]
	s_cbranch_vccnz .LBB143_2069
; %bb.2068:
	s_and_b32 s9, s16, 7
	s_flbit_i32_b32 s11, s9
	s_min_u32 s11, s11, 32
	s_sub_i32 s12, s11, 28
	s_lshl_b32 s12, s16, s12
	s_lshl_b32 s8, s16, 24
	s_bfe_u32 s10, s16, 0x40003
	s_sub_i32 s11, 29, s11
	s_and_b32 s12, s12, 7
	s_cmp_eq_u32 s10, 0
	s_cselect_b32 s10, s11, s10
	s_cselect_b32 s9, s12, s9
	s_lshl_b32 s10, s10, 23
	s_and_b32 s8, s8, 0x80000000
	s_add_i32 s10, s10, 0x3b800000
	s_lshl_b32 s9, s9, 20
	s_or_b32 s8, s8, s10
	s_or_b32 s13, s8, s9
.LBB143_2069:
	v_mov_b32_e32 v0, s13
	global_store_dword v[5:6], v0, off
.LBB143_2070:
	s_mov_b64 s[8:9], 0
.LBB143_2071:
	s_andn2_b64 vcc, exec, s[8:9]
	s_cbranch_vccnz .LBB143_2082
; %bb.2072:
	s_and_b32 s12, s16, 0xff
	s_cmpk_lt_i32 s12, 0x80
	s_cbranch_scc1 .LBB143_2076
; %bb.2073:
	s_and_b32 s8, 0xffff, s12
	s_cmpk_eq_i32 s8, 0x80
	s_mov_b64 s[8:9], -1
	s_cbranch_scc0 .LBB143_2075
; %bb.2074:
	s_mov_b64 s[8:9], 0
.LBB143_2075:
	s_mov_b64 s[10:11], 0
	s_branch .LBB143_2077
.LBB143_2076:
	s_mov_b64 s[10:11], -1
	s_mov_b64 s[8:9], 0
.LBB143_2077:
	s_movk_i32 s13, 0x7e00
	s_and_b64 vcc, exec, s[10:11]
	s_cbranch_vccz .LBB143_2079
; %bb.2078:
	s_and_b32 s8, 0xffff, s12
	s_cmp_lg_u32 s8, 0
	s_cselect_b64 s[8:9], -1, 0
	s_mov_b32 s13, s12
.LBB143_2079:
	s_andn2_b64 vcc, exec, s[8:9]
	v_mov_b32_e32 v0, s13
	s_cbranch_vccnz .LBB143_2081
; %bb.2080:
	s_and_b32 s9, s16, 7
	s_flbit_i32_b32 s11, s9
	s_min_u32 s11, s11, 32
	s_sub_i32 s12, s11, 28
	s_lshl_b32 s12, s16, s12
	s_lshl_b32 s8, s16, 24
	s_bfe_u32 s10, s16, 0x40003
	s_sub_i32 s11, 29, s11
	s_and_b32 s12, s12, 7
	s_cmp_eq_u32 s10, 0
	s_cselect_b32 s10, s11, s10
	s_cselect_b32 s9, s12, s9
	s_lshl_b32 s10, s10, 23
	s_and_b32 s8, s8, 0x80000000
	s_add_i32 s10, s10, 0x3b800000
	s_lshl_b32 s9, s9, 20
	s_or_b32 s8, s8, s10
	s_or_b32 s8, s8, s9
	v_cvt_f16_f32_e32 v0, s8
.LBB143_2081:
	global_store_short v[5:6], v0, off
.LBB143_2082:
	s_mov_b64 s[8:9], 0
.LBB143_2083:
	s_andn2_b64 vcc, exec, s[8:9]
	s_cbranch_vccnz .LBB143_2134
; %bb.2084:
	s_cmp_lt_i32 s17, 2
	s_mov_b64 s[8:9], -1
	s_cbranch_scc1 .LBB143_2115
; %bb.2085:
	s_cmp_lt_i32 s17, 3
	s_cbranch_scc1 .LBB143_2105
; %bb.2086:
	s_cmp_gt_i32 s17, 3
	s_cbranch_scc0 .LBB143_2095
; %bb.2087:
	s_and_b32 s12, s16, 0xff
	s_cmpk_lt_i32 s12, 0x80
	s_cbranch_scc1 .LBB143_2089
; %bb.2088:
	s_and_b32 s8, 0xffff, s12
	s_cmpk_lg_i32 s8, 0x80
	s_mov_b64 s[10:11], 0
	s_cselect_b64 s[8:9], -1, 0
	s_branch .LBB143_2090
.LBB143_2089:
	s_mov_b64 s[10:11], -1
	s_mov_b64 s[8:9], 0
.LBB143_2090:
	s_andn2_b64 vcc, exec, s[10:11]
	s_cbranch_vccnz .LBB143_2092
; %bb.2091:
	s_and_b32 s8, 0xffff, s12
	s_cmp_lg_u32 s8, 0
	s_cselect_b64 s[8:9], -1, 0
.LBB143_2092:
	v_mov_b32_e32 v0, 0
	s_andn2_b64 vcc, exec, s[8:9]
	v_mov_b32_e32 v1, 0
	s_cbranch_vccnz .LBB143_2094
; %bb.2093:
	s_and_b32 s9, s16, 7
	s_flbit_i32_b32 s11, s9
	s_min_u32 s11, s11, 32
	s_sub_i32 s12, s11, 28
	s_lshl_b32 s12, s16, s12
	s_lshl_b32 s8, s16, 24
	s_bfe_u32 s10, s16, 0x40003
	s_sub_i32 s11, 29, s11
	s_and_b32 s12, s12, 7
	s_cmp_eq_u32 s10, 0
	s_cselect_b32 s10, s11, s10
	s_cselect_b32 s9, s12, s9
	s_lshl_b32 s10, s10, 23
	s_and_b32 s8, s8, 0x80000000
	s_add_i32 s10, s10, 0x3b800000
	s_lshl_b32 s9, s9, 20
	s_or_b32 s8, s8, s10
	s_or_b32 s8, s8, s9
	v_trunc_f32_e32 v0, s8
	s_mov_b32 s8, 0x2f800000
	v_mul_f32_e64 v1, |v0|, s8
	v_floor_f32_e32 v1, v1
	s_mov_b32 s8, 0xcf800000
	v_fma_f32 v2, v1, s8, |v0|
	v_cvt_u32_f32_e32 v2, v2
	v_cvt_u32_f32_e32 v1, v1
	v_ashrrev_i32_e32 v3, 31, v0
	v_xor_b32_e32 v0, v2, v3
	v_xor_b32_e32 v1, v1, v3
	v_sub_co_u32_e32 v0, vcc, v0, v3
	v_subb_co_u32_e32 v1, vcc, v1, v3, vcc
.LBB143_2094:
	global_store_dwordx2 v[5:6], v[0:1], off
	s_mov_b64 s[8:9], 0
.LBB143_2095:
	s_and_b64 vcc, exec, s[8:9]
	s_cbranch_vccz .LBB143_2104
; %bb.2096:
	s_and_b32 s12, s16, 0xff
	s_cmpk_lt_i32 s12, 0x80
	s_cbranch_scc1 .LBB143_2098
; %bb.2097:
	s_and_b32 s8, 0xffff, s12
	s_cmpk_lg_i32 s8, 0x80
	s_mov_b64 s[10:11], 0
	s_cselect_b64 s[8:9], -1, 0
	s_branch .LBB143_2099
.LBB143_2098:
	s_mov_b64 s[10:11], -1
	s_mov_b64 s[8:9], 0
.LBB143_2099:
	s_andn2_b64 vcc, exec, s[10:11]
	s_cbranch_vccnz .LBB143_2101
; %bb.2100:
	s_and_b32 s8, 0xffff, s12
	s_cmp_lg_u32 s8, 0
	s_cselect_b64 s[8:9], -1, 0
.LBB143_2101:
	s_andn2_b64 vcc, exec, s[8:9]
	v_mov_b32_e32 v0, 0
	s_cbranch_vccnz .LBB143_2103
; %bb.2102:
	s_and_b32 s9, s16, 7
	s_flbit_i32_b32 s11, s9
	s_min_u32 s11, s11, 32
	s_sub_i32 s12, s11, 28
	s_lshl_b32 s12, s16, s12
	s_lshl_b32 s8, s16, 24
	s_bfe_u32 s10, s16, 0x40003
	s_sub_i32 s11, 29, s11
	s_and_b32 s12, s12, 7
	s_cmp_eq_u32 s10, 0
	s_cselect_b32 s10, s11, s10
	s_cselect_b32 s9, s12, s9
	s_lshl_b32 s10, s10, 23
	s_and_b32 s8, s8, 0x80000000
	s_add_i32 s10, s10, 0x3b800000
	s_lshl_b32 s9, s9, 20
	s_or_b32 s8, s8, s10
	s_or_b32 s8, s8, s9
	v_cvt_i32_f32_e32 v0, s8
.LBB143_2103:
	global_store_dword v[5:6], v0, off
.LBB143_2104:
	s_mov_b64 s[8:9], 0
.LBB143_2105:
	s_andn2_b64 vcc, exec, s[8:9]
	s_cbranch_vccnz .LBB143_2114
; %bb.2106:
	s_and_b32 s12, s16, 0xff
	s_cmpk_lt_i32 s12, 0x80
	s_cbranch_scc1 .LBB143_2108
; %bb.2107:
	s_and_b32 s8, 0xffff, s12
	s_cmpk_lg_i32 s8, 0x80
	s_mov_b64 s[10:11], 0
	s_cselect_b64 s[8:9], -1, 0
	s_branch .LBB143_2109
.LBB143_2108:
	s_mov_b64 s[10:11], -1
	s_mov_b64 s[8:9], 0
.LBB143_2109:
	s_andn2_b64 vcc, exec, s[10:11]
	s_cbranch_vccnz .LBB143_2111
; %bb.2110:
	s_and_b32 s8, 0xffff, s12
	s_cmp_lg_u32 s8, 0
	s_cselect_b64 s[8:9], -1, 0
.LBB143_2111:
	s_andn2_b64 vcc, exec, s[8:9]
	v_mov_b32_e32 v0, 0
	s_cbranch_vccnz .LBB143_2113
; %bb.2112:
	s_and_b32 s9, s16, 7
	s_flbit_i32_b32 s11, s9
	s_min_u32 s11, s11, 32
	s_sub_i32 s12, s11, 28
	s_lshl_b32 s12, s16, s12
	s_lshl_b32 s8, s16, 24
	s_bfe_u32 s10, s16, 0x40003
	s_sub_i32 s11, 29, s11
	s_and_b32 s12, s12, 7
	s_cmp_eq_u32 s10, 0
	s_cselect_b32 s10, s11, s10
	s_cselect_b32 s9, s12, s9
	s_lshl_b32 s10, s10, 23
	s_and_b32 s8, s8, 0x80000000
	s_add_i32 s10, s10, 0x3b800000
	s_lshl_b32 s9, s9, 20
	s_or_b32 s8, s8, s10
	s_or_b32 s8, s8, s9
	v_cvt_i32_f32_e32 v0, s8
.LBB143_2113:
	global_store_short v[5:6], v0, off
.LBB143_2114:
	s_mov_b64 s[8:9], 0
.LBB143_2115:
	s_andn2_b64 vcc, exec, s[8:9]
	s_cbranch_vccnz .LBB143_2134
; %bb.2116:
	s_cmp_gt_i32 s17, 0
	s_mov_b64 s[8:9], -1
	s_cbranch_scc0 .LBB143_2125
; %bb.2117:
	s_and_b32 s12, s16, 0xff
	s_cmpk_lt_i32 s12, 0x80
	s_cbranch_scc1 .LBB143_2119
; %bb.2118:
	s_and_b32 s8, 0xffff, s12
	s_cmpk_lg_i32 s8, 0x80
	s_mov_b64 s[10:11], 0
	s_cselect_b64 s[8:9], -1, 0
	s_branch .LBB143_2120
.LBB143_2119:
	s_mov_b64 s[10:11], -1
	s_mov_b64 s[8:9], 0
.LBB143_2120:
	s_andn2_b64 vcc, exec, s[10:11]
	s_cbranch_vccnz .LBB143_2122
; %bb.2121:
	s_and_b32 s8, 0xffff, s12
	s_cmp_lg_u32 s8, 0
	s_cselect_b64 s[8:9], -1, 0
.LBB143_2122:
	s_andn2_b64 vcc, exec, s[8:9]
	v_mov_b32_e32 v0, 0
	s_cbranch_vccnz .LBB143_2124
; %bb.2123:
	s_and_b32 s9, s16, 7
	s_flbit_i32_b32 s11, s9
	s_min_u32 s11, s11, 32
	s_sub_i32 s12, s11, 28
	s_lshl_b32 s12, s16, s12
	s_lshl_b32 s8, s16, 24
	s_bfe_u32 s10, s16, 0x40003
	s_sub_i32 s11, 29, s11
	s_and_b32 s12, s12, 7
	s_cmp_eq_u32 s10, 0
	s_cselect_b32 s10, s11, s10
	s_cselect_b32 s9, s12, s9
	s_lshl_b32 s10, s10, 23
	s_and_b32 s8, s8, 0x80000000
	s_add_i32 s10, s10, 0x3b800000
	s_lshl_b32 s9, s9, 20
	s_or_b32 s8, s8, s10
	s_or_b32 s8, s8, s9
	v_cvt_i32_f32_e32 v0, s8
.LBB143_2124:
	global_store_byte v[5:6], v0, off
	s_mov_b64 s[8:9], 0
.LBB143_2125:
	s_and_b64 vcc, exec, s[8:9]
	s_cbranch_vccz .LBB143_2134
; %bb.2126:
	s_and_b32 s12, s16, 0xff
	s_cmpk_lt_i32 s12, 0x80
	s_cbranch_scc1 .LBB143_2128
; %bb.2127:
	s_and_b32 s8, 0xffff, s12
	s_cmpk_lg_i32 s8, 0x80
	s_mov_b64 s[10:11], 0
	s_cselect_b64 s[8:9], -1, 0
	s_branch .LBB143_2129
.LBB143_2128:
	s_mov_b64 s[10:11], -1
	s_mov_b64 s[8:9], 0
.LBB143_2129:
	s_andn2_b64 vcc, exec, s[10:11]
	s_cbranch_vccnz .LBB143_2131
; %bb.2130:
	s_and_b32 s8, 0xffff, s12
	s_cmp_lg_u32 s8, 0
	s_cselect_b64 s[8:9], -1, 0
.LBB143_2131:
	s_andn2_b64 vcc, exec, s[8:9]
	v_mov_b32_e32 v0, 0
	s_cbranch_vccnz .LBB143_2133
; %bb.2132:
	s_and_b32 s9, s16, 7
	s_flbit_i32_b32 s11, s9
	s_min_u32 s11, s11, 32
	s_sub_i32 s12, s11, 28
	s_lshl_b32 s12, s16, s12
	s_lshl_b32 s8, s16, 24
	s_bfe_u32 s10, s16, 0x40003
	s_sub_i32 s11, 29, s11
	s_and_b32 s12, s12, 7
	s_cmp_eq_u32 s10, 0
	s_cselect_b32 s10, s11, s10
	s_cselect_b32 s9, s12, s9
	s_lshl_b32 s10, s10, 23
	s_and_b32 s8, s8, 0x80000000
	s_add_i32 s10, s10, 0x3b800000
	s_lshl_b32 s9, s9, 20
	s_or_b32 s8, s8, s10
	s_or_b32 s8, s8, s9
	v_trunc_f32_e32 v0, s8
	s_mov_b32 s8, 0x2f800000
	v_mul_f32_e64 v1, |v0|, s8
	v_floor_f32_e32 v1, v1
	s_mov_b32 s8, 0xcf800000
	v_fma_f32 v1, v1, s8, |v0|
	v_cvt_u32_f32_e32 v1, v1
	v_ashrrev_i32_e32 v0, 31, v0
	v_xor_b32_e32 v1, v1, v0
	v_sub_u32_e32 v0, v1, v0
.LBB143_2133:
	global_store_byte v[5:6], v0, off
.LBB143_2134:
	s_branch .LBB143_1852
.LBB143_2135:
	s_mov_b64 s[2:3], 0
	s_mov_b64 s[4:5], 0
                                        ; implicit-def: $vgpr4_vgpr5
                                        ; implicit-def: $sgpr12
.LBB143_2136:
	s_and_b64 s[28:29], s[4:5], exec
	s_andn2_b64 s[4:5], s[6:7], exec
	s_and_b64 s[0:1], s[0:1], exec
	s_and_b64 s[2:3], s[2:3], exec
	s_or_b64 s[6:7], s[4:5], s[0:1]
.LBB143_2137:
	s_or_b64 exec, exec, s[26:27]
	s_and_saveexec_b64 s[0:1], s[6:7]
	s_cbranch_execz .LBB143_2140
; %bb.2138:
	; divergent unreachable
	s_or_b64 exec, exec, s[0:1]
	s_and_saveexec_b64 s[0:1], s[28:29]
	s_xor_b64 s[0:1], exec, s[0:1]
	s_cbranch_execnz .LBB143_2141
.LBB143_2139:
	s_or_b64 exec, exec, s[0:1]
	s_and_saveexec_b64 s[0:1], s[2:3]
	s_cbranch_execnz .LBB143_2142
	s_branch .LBB143_2264
.LBB143_2140:
	s_or_b64 exec, exec, s[0:1]
	s_and_saveexec_b64 s[0:1], s[28:29]
	s_xor_b64 s[0:1], exec, s[0:1]
	s_cbranch_execz .LBB143_2139
.LBB143_2141:
	s_and_b32 s4, s16, 0xff
	s_cmp_lg_u32 s4, 0
	s_cselect_b64 s[4:5], -1, 0
	v_cndmask_b32_e64 v0, 0, 1, s[4:5]
	global_store_byte v[4:5], v0, off
	s_or_b64 exec, exec, s[0:1]
	s_and_saveexec_b64 s[0:1], s[2:3]
	s_cbranch_execz .LBB143_2264
.LBB143_2142:
	s_sext_i32_i16 s2, s12
	s_cmp_lt_i32 s2, 5
	s_mov_b64 s[0:1], -1
	s_cbranch_scc1 .LBB143_2219
; %bb.2143:
	s_cmp_lt_i32 s2, 8
	s_cbranch_scc1 .LBB143_2175
; %bb.2144:
	s_cmp_lt_i32 s2, 9
	s_cbranch_scc1 .LBB143_2169
; %bb.2145:
	s_cmp_gt_i32 s2, 9
	s_cbranch_scc0 .LBB143_2157
; %bb.2146:
	s_and_b32 s4, s16, 0xff
	s_cmpk_lt_i32 s4, 0x80
	s_cbranch_scc1 .LBB143_2150
; %bb.2147:
	s_and_b32 s0, 0xffff, s4
	s_cmpk_eq_i32 s0, 0x80
	s_mov_b64 s[0:1], -1
	s_cbranch_scc0 .LBB143_2149
; %bb.2148:
	s_mov_b64 s[0:1], 0
.LBB143_2149:
	s_mov_b64 s[2:3], 0
	s_branch .LBB143_2151
.LBB143_2150:
	s_mov_b64 s[2:3], -1
	s_mov_b64 s[0:1], 0
.LBB143_2151:
	s_and_b64 vcc, exec, s[2:3]
	s_cbranch_vccz .LBB143_2153
; %bb.2152:
	s_and_b32 s0, 0xffff, s4
	s_cmp_lg_u32 s0, 0
	s_mov_b64 s[2:3], 0
	s_cselect_b64 s[0:1], -1, 0
	s_branch .LBB143_2154
.LBB143_2153:
	s_mov_b32 s3, 0x7ff80000
	s_brev_b32 s2, 4
.LBB143_2154:
	v_mov_b32_e32 v0, s2
	s_andn2_b64 vcc, exec, s[0:1]
	v_mov_b32_e32 v1, s3
	s_cbranch_vccnz .LBB143_2156
; %bb.2155:
	s_and_b32 s1, s16, 7
	s_flbit_i32_b32 s3, s1
	s_min_u32 s3, s3, 32
	s_sub_i32 s4, s3, 28
	s_lshl_b32 s4, s16, s4
	s_lshl_b32 s0, s16, 24
	s_bfe_u32 s2, s16, 0x40003
	s_sub_i32 s3, 29, s3
	s_and_b32 s4, s4, 7
	s_cmp_eq_u32 s2, 0
	s_cselect_b32 s2, s3, s2
	s_cselect_b32 s1, s4, s1
	s_lshl_b32 s2, s2, 23
	s_and_b32 s0, s0, 0x80000000
	s_add_i32 s2, s2, 0x3b800000
	s_lshl_b32 s1, s1, 20
	s_or_b32 s0, s0, s2
	s_or_b32 s0, s0, s1
	v_cvt_f64_f32_e32 v[0:1], s0
.LBB143_2156:
	v_mov_b32_e32 v2, 0
	v_mov_b32_e32 v3, v2
	global_store_dwordx4 v[4:5], v[0:3], off
	s_mov_b64 s[0:1], 0
.LBB143_2157:
	s_and_b64 vcc, exec, s[0:1]
	s_cbranch_vccz .LBB143_2168
; %bb.2158:
	s_and_b32 s4, s16, 0xff
	s_cmpk_lt_i32 s4, 0x80
	s_cbranch_scc1 .LBB143_2162
; %bb.2159:
	s_and_b32 s0, 0xffff, s4
	s_cmpk_eq_i32 s0, 0x80
	s_mov_b64 s[0:1], -1
	s_cbranch_scc0 .LBB143_2161
; %bb.2160:
	s_mov_b64 s[0:1], 0
.LBB143_2161:
	s_mov_b64 s[2:3], 0
	s_branch .LBB143_2163
.LBB143_2162:
	s_mov_b64 s[2:3], -1
	s_mov_b64 s[0:1], 0
.LBB143_2163:
	s_mov_b32 s5, 0x7f800001
	s_and_b64 vcc, exec, s[2:3]
	s_cbranch_vccz .LBB143_2165
; %bb.2164:
	s_and_b32 s5, 0xffff, s4
	s_cmp_lg_u32 s5, 0
	s_cselect_b64 s[0:1], -1, 0
.LBB143_2165:
	s_andn2_b64 vcc, exec, s[0:1]
	s_cbranch_vccnz .LBB143_2167
; %bb.2166:
	s_and_b32 s1, s16, 7
	s_flbit_i32_b32 s3, s1
	s_min_u32 s3, s3, 32
	s_sub_i32 s4, s3, 28
	s_lshl_b32 s4, s16, s4
	s_lshl_b32 s0, s16, 24
	s_bfe_u32 s2, s16, 0x40003
	s_sub_i32 s3, 29, s3
	s_and_b32 s4, s4, 7
	s_cmp_eq_u32 s2, 0
	s_cselect_b32 s2, s3, s2
	s_cselect_b32 s1, s4, s1
	s_lshl_b32 s2, s2, 23
	s_and_b32 s0, s0, 0x80000000
	s_add_i32 s2, s2, 0x3b800000
	s_lshl_b32 s1, s1, 20
	s_or_b32 s0, s0, s2
	s_or_b32 s5, s0, s1
.LBB143_2167:
	v_mov_b32_e32 v0, s5
	v_mov_b32_e32 v1, 0
	global_store_dwordx2 v[4:5], v[0:1], off
.LBB143_2168:
	s_mov_b64 s[0:1], 0
.LBB143_2169:
	s_andn2_b64 vcc, exec, s[0:1]
	s_cbranch_vccnz .LBB143_2174
; %bb.2170:
	s_and_b32 s4, s16, 0xff
	s_cmpk_lt_i32 s4, 0x80
	s_cbranch_scc1 .LBB143_2182
; %bb.2171:
	s_and_b32 s0, 0xffff, s4
	s_cmpk_eq_i32 s0, 0x80
	s_mov_b64 s[0:1], -1
	s_cbranch_scc0 .LBB143_2173
; %bb.2172:
	s_mov_b64 s[0:1], 0
.LBB143_2173:
	s_mov_b64 s[2:3], 0
	s_branch .LBB143_2183
.LBB143_2174:
	s_mov_b64 s[0:1], 0
.LBB143_2175:
	s_andn2_b64 vcc, exec, s[0:1]
	s_cbranch_vccnz .LBB143_2218
.LBB143_2176:
	s_sext_i32_i16 s2, s12
	s_cmp_lt_i32 s2, 6
	s_mov_b64 s[0:1], -1
	s_cbranch_scc1 .LBB143_2207
; %bb.2177:
	s_cmp_gt_i32 s2, 6
	s_cbranch_scc0 .LBB143_2195
; %bb.2178:
	s_and_b32 s4, s16, 0xff
	s_cmpk_lt_i32 s4, 0x80
	s_cbranch_scc1 .LBB143_2188
; %bb.2179:
	s_and_b32 s0, 0xffff, s4
	s_cmpk_eq_i32 s0, 0x80
	s_mov_b64 s[0:1], -1
	s_cbranch_scc0 .LBB143_2181
; %bb.2180:
	s_mov_b64 s[0:1], 0
.LBB143_2181:
	s_mov_b64 s[2:3], 0
	s_branch .LBB143_2189
.LBB143_2182:
	s_mov_b64 s[2:3], -1
	s_mov_b64 s[0:1], 0
.LBB143_2183:
	s_movk_i32 s5, 0x7e00
	s_and_b64 vcc, exec, s[2:3]
	s_cbranch_vccz .LBB143_2185
; %bb.2184:
	s_and_b32 s5, 0xffff, s4
	s_cmp_lg_u32 s5, 0
	s_cselect_b64 s[0:1], -1, 0
.LBB143_2185:
	s_andn2_b64 vcc, exec, s[0:1]
	v_mov_b32_e32 v0, s5
	s_cbranch_vccnz .LBB143_2187
; %bb.2186:
	s_and_b32 s1, s16, 7
	s_flbit_i32_b32 s3, s1
	s_min_u32 s3, s3, 32
	s_sub_i32 s4, s3, 28
	s_lshl_b32 s4, s16, s4
	s_lshl_b32 s0, s16, 24
	s_bfe_u32 s2, s16, 0x40003
	s_sub_i32 s3, 29, s3
	s_and_b32 s4, s4, 7
	s_cmp_eq_u32 s2, 0
	s_cselect_b32 s2, s3, s2
	s_cselect_b32 s1, s4, s1
	s_lshl_b32 s2, s2, 23
	s_and_b32 s0, s0, 0x80000000
	s_add_i32 s2, s2, 0x3b800000
	s_lshl_b32 s1, s1, 20
	s_or_b32 s0, s0, s2
	s_or_b32 s0, s0, s1
	v_cvt_f16_f32_e32 v0, s0
.LBB143_2187:
	global_store_dword v[4:5], v0, off
	s_cbranch_execz .LBB143_2176
	s_branch .LBB143_2218
.LBB143_2188:
	s_mov_b64 s[2:3], -1
	s_mov_b64 s[0:1], 0
.LBB143_2189:
	s_and_b64 vcc, exec, s[2:3]
	s_cbranch_vccz .LBB143_2191
; %bb.2190:
	s_and_b32 s0, 0xffff, s4
	s_cmp_lg_u32 s0, 0
	s_mov_b64 s[2:3], 0
	s_cselect_b64 s[0:1], -1, 0
	s_branch .LBB143_2192
.LBB143_2191:
	s_mov_b32 s3, 0x7ff80000
	s_brev_b32 s2, 4
.LBB143_2192:
	v_mov_b32_e32 v0, s2
	s_andn2_b64 vcc, exec, s[0:1]
	v_mov_b32_e32 v1, s3
	s_cbranch_vccnz .LBB143_2194
; %bb.2193:
	s_and_b32 s1, s16, 7
	s_flbit_i32_b32 s3, s1
	s_min_u32 s3, s3, 32
	s_sub_i32 s4, s3, 28
	s_lshl_b32 s4, s16, s4
	s_lshl_b32 s0, s16, 24
	s_bfe_u32 s2, s16, 0x40003
	s_sub_i32 s3, 29, s3
	s_and_b32 s4, s4, 7
	s_cmp_eq_u32 s2, 0
	s_cselect_b32 s2, s3, s2
	s_cselect_b32 s1, s4, s1
	s_lshl_b32 s2, s2, 23
	s_and_b32 s0, s0, 0x80000000
	s_add_i32 s2, s2, 0x3b800000
	s_lshl_b32 s1, s1, 20
	s_or_b32 s0, s0, s2
	s_or_b32 s0, s0, s1
	v_cvt_f64_f32_e32 v[0:1], s0
.LBB143_2194:
	global_store_dwordx2 v[4:5], v[0:1], off
	s_mov_b64 s[0:1], 0
.LBB143_2195:
	s_and_b64 vcc, exec, s[0:1]
	s_cbranch_vccz .LBB143_2206
; %bb.2196:
	s_and_b32 s4, s16, 0xff
	s_cmpk_lt_i32 s4, 0x80
	s_cbranch_scc1 .LBB143_2200
; %bb.2197:
	s_and_b32 s0, 0xffff, s4
	s_cmpk_eq_i32 s0, 0x80
	s_mov_b64 s[0:1], -1
	s_cbranch_scc0 .LBB143_2199
; %bb.2198:
	s_mov_b64 s[0:1], 0
.LBB143_2199:
	s_mov_b64 s[2:3], 0
	s_branch .LBB143_2201
.LBB143_2200:
	s_mov_b64 s[2:3], -1
	s_mov_b64 s[0:1], 0
.LBB143_2201:
	s_mov_b32 s5, 0x7f800001
	s_and_b64 vcc, exec, s[2:3]
	s_cbranch_vccz .LBB143_2203
; %bb.2202:
	s_and_b32 s5, 0xffff, s4
	s_cmp_lg_u32 s5, 0
	s_cselect_b64 s[0:1], -1, 0
.LBB143_2203:
	s_andn2_b64 vcc, exec, s[0:1]
	s_cbranch_vccnz .LBB143_2205
; %bb.2204:
	s_and_b32 s1, s16, 7
	s_flbit_i32_b32 s3, s1
	s_min_u32 s3, s3, 32
	s_sub_i32 s4, s3, 28
	s_lshl_b32 s4, s16, s4
	s_lshl_b32 s0, s16, 24
	s_bfe_u32 s2, s16, 0x40003
	s_sub_i32 s3, 29, s3
	s_and_b32 s4, s4, 7
	s_cmp_eq_u32 s2, 0
	s_cselect_b32 s2, s3, s2
	s_cselect_b32 s1, s4, s1
	s_lshl_b32 s2, s2, 23
	s_and_b32 s0, s0, 0x80000000
	s_add_i32 s2, s2, 0x3b800000
	s_lshl_b32 s1, s1, 20
	s_or_b32 s0, s0, s2
	s_or_b32 s5, s0, s1
.LBB143_2205:
	v_mov_b32_e32 v0, s5
	global_store_dword v[4:5], v0, off
.LBB143_2206:
	s_mov_b64 s[0:1], 0
.LBB143_2207:
	s_andn2_b64 vcc, exec, s[0:1]
	s_cbranch_vccnz .LBB143_2218
; %bb.2208:
	s_and_b32 s4, s16, 0xff
	s_cmpk_lt_i32 s4, 0x80
	s_cbranch_scc1 .LBB143_2212
; %bb.2209:
	s_and_b32 s0, 0xffff, s4
	s_cmpk_eq_i32 s0, 0x80
	s_mov_b64 s[0:1], -1
	s_cbranch_scc0 .LBB143_2211
; %bb.2210:
	s_mov_b64 s[0:1], 0
.LBB143_2211:
	s_mov_b64 s[2:3], 0
	s_branch .LBB143_2213
.LBB143_2212:
	s_mov_b64 s[2:3], -1
	s_mov_b64 s[0:1], 0
.LBB143_2213:
	s_movk_i32 s5, 0x7e00
	s_and_b64 vcc, exec, s[2:3]
	s_cbranch_vccz .LBB143_2215
; %bb.2214:
	s_and_b32 s0, 0xffff, s4
	s_cmp_lg_u32 s0, 0
	s_cselect_b64 s[0:1], -1, 0
	s_mov_b32 s5, s4
.LBB143_2215:
	s_andn2_b64 vcc, exec, s[0:1]
	v_mov_b32_e32 v0, s5
	s_cbranch_vccnz .LBB143_2217
; %bb.2216:
	s_and_b32 s1, s16, 7
	s_flbit_i32_b32 s3, s1
	s_min_u32 s3, s3, 32
	s_sub_i32 s4, s3, 28
	s_lshl_b32 s4, s16, s4
	s_lshl_b32 s0, s16, 24
	s_bfe_u32 s2, s16, 0x40003
	s_sub_i32 s3, 29, s3
	s_and_b32 s4, s4, 7
	s_cmp_eq_u32 s2, 0
	s_cselect_b32 s2, s3, s2
	s_cselect_b32 s1, s4, s1
	s_lshl_b32 s2, s2, 23
	s_and_b32 s0, s0, 0x80000000
	s_add_i32 s2, s2, 0x3b800000
	s_lshl_b32 s1, s1, 20
	s_or_b32 s0, s0, s2
	s_or_b32 s0, s0, s1
	v_cvt_f16_f32_e32 v0, s0
.LBB143_2217:
	global_store_short v[4:5], v0, off
.LBB143_2218:
	s_mov_b64 s[0:1], 0
.LBB143_2219:
	s_andn2_b64 vcc, exec, s[0:1]
	s_cbranch_vccnz .LBB143_2264
; %bb.2220:
	s_sext_i32_i16 s2, s12
	s_cmp_lt_i32 s2, 2
	s_mov_b64 s[0:1], -1
	s_cbranch_scc1 .LBB143_2245
; %bb.2221:
	s_cmp_lt_i32 s2, 3
	s_cbranch_scc1 .LBB143_2241
; %bb.2222:
	s_cmp_gt_i32 s2, 3
	s_cbranch_scc0 .LBB143_2231
; %bb.2223:
	s_and_b32 s4, s16, 0xff
	s_cmpk_lt_i32 s4, 0x80
	s_cbranch_scc1 .LBB143_2225
; %bb.2224:
	s_and_b32 s0, 0xffff, s4
	s_cmpk_lg_i32 s0, 0x80
	s_mov_b64 s[2:3], 0
	s_cselect_b64 s[0:1], -1, 0
	s_branch .LBB143_2226
.LBB143_2225:
	s_mov_b64 s[2:3], -1
	s_mov_b64 s[0:1], 0
.LBB143_2226:
	s_andn2_b64 vcc, exec, s[2:3]
	s_cbranch_vccnz .LBB143_2228
; %bb.2227:
	s_and_b32 s0, 0xffff, s4
	s_cmp_lg_u32 s0, 0
	s_cselect_b64 s[0:1], -1, 0
.LBB143_2228:
	v_mov_b32_e32 v0, 0
	s_andn2_b64 vcc, exec, s[0:1]
	v_mov_b32_e32 v1, 0
	s_cbranch_vccnz .LBB143_2230
; %bb.2229:
	s_and_b32 s1, s16, 7
	s_flbit_i32_b32 s3, s1
	s_min_u32 s3, s3, 32
	s_sub_i32 s4, s3, 28
	s_lshl_b32 s4, s16, s4
	s_lshl_b32 s0, s16, 24
	s_bfe_u32 s2, s16, 0x40003
	s_sub_i32 s3, 29, s3
	s_and_b32 s4, s4, 7
	s_cmp_eq_u32 s2, 0
	s_cselect_b32 s2, s3, s2
	s_cselect_b32 s1, s4, s1
	s_lshl_b32 s2, s2, 23
	s_and_b32 s0, s0, 0x80000000
	s_add_i32 s2, s2, 0x3b800000
	s_lshl_b32 s1, s1, 20
	s_or_b32 s0, s0, s2
	s_or_b32 s0, s0, s1
	v_trunc_f32_e32 v0, s0
	s_mov_b32 s0, 0x2f800000
	v_mul_f32_e64 v1, |v0|, s0
	v_floor_f32_e32 v1, v1
	s_mov_b32 s0, 0xcf800000
	v_fma_f32 v2, v1, s0, |v0|
	v_cvt_u32_f32_e32 v2, v2
	v_cvt_u32_f32_e32 v1, v1
	v_ashrrev_i32_e32 v3, 31, v0
	v_xor_b32_e32 v0, v2, v3
	v_xor_b32_e32 v1, v1, v3
	v_sub_co_u32_e32 v0, vcc, v0, v3
	v_subb_co_u32_e32 v1, vcc, v1, v3, vcc
.LBB143_2230:
	global_store_dwordx2 v[4:5], v[0:1], off
	s_mov_b64 s[0:1], 0
.LBB143_2231:
	s_and_b64 vcc, exec, s[0:1]
	s_cbranch_vccz .LBB143_2240
; %bb.2232:
	s_and_b32 s4, s16, 0xff
	s_cmpk_lt_i32 s4, 0x80
	s_cbranch_scc1 .LBB143_2234
; %bb.2233:
	s_and_b32 s0, 0xffff, s4
	s_cmpk_lg_i32 s0, 0x80
	s_mov_b64 s[2:3], 0
	s_cselect_b64 s[0:1], -1, 0
	s_branch .LBB143_2235
.LBB143_2234:
	s_mov_b64 s[2:3], -1
	s_mov_b64 s[0:1], 0
.LBB143_2235:
	s_andn2_b64 vcc, exec, s[2:3]
	s_cbranch_vccnz .LBB143_2237
; %bb.2236:
	s_and_b32 s0, 0xffff, s4
	s_cmp_lg_u32 s0, 0
	s_cselect_b64 s[0:1], -1, 0
.LBB143_2237:
	s_andn2_b64 vcc, exec, s[0:1]
	v_mov_b32_e32 v0, 0
	s_cbranch_vccnz .LBB143_2239
; %bb.2238:
	s_and_b32 s1, s16, 7
	s_flbit_i32_b32 s3, s1
	s_min_u32 s3, s3, 32
	s_sub_i32 s4, s3, 28
	s_lshl_b32 s4, s16, s4
	s_lshl_b32 s0, s16, 24
	s_bfe_u32 s2, s16, 0x40003
	s_sub_i32 s3, 29, s3
	s_and_b32 s4, s4, 7
	s_cmp_eq_u32 s2, 0
	s_cselect_b32 s2, s3, s2
	s_cselect_b32 s1, s4, s1
	s_lshl_b32 s2, s2, 23
	s_and_b32 s0, s0, 0x80000000
	s_add_i32 s2, s2, 0x3b800000
	s_lshl_b32 s1, s1, 20
	s_or_b32 s0, s0, s2
	s_or_b32 s0, s0, s1
	v_cvt_i32_f32_e32 v0, s0
.LBB143_2239:
	global_store_dword v[4:5], v0, off
.LBB143_2240:
	s_mov_b64 s[0:1], 0
.LBB143_2241:
	s_andn2_b64 vcc, exec, s[0:1]
	s_cbranch_vccnz .LBB143_2244
; %bb.2242:
	s_and_b32 s4, s16, 0xff
	s_cmpk_lt_i32 s4, 0x80
	s_cbranch_scc1 .LBB143_2249
; %bb.2243:
	s_and_b32 s0, 0xffff, s4
	s_cmpk_lg_i32 s0, 0x80
	s_mov_b64 s[2:3], 0
	s_cselect_b64 s[0:1], -1, 0
	s_branch .LBB143_2250
.LBB143_2244:
	s_mov_b64 s[0:1], 0
.LBB143_2245:
	s_andn2_b64 vcc, exec, s[0:1]
	s_cbranch_vccnz .LBB143_2264
.LBB143_2246:
	s_sext_i32_i16 s0, s12
	s_cmp_gt_i32 s0, 0
	s_mov_b64 s[0:1], -1
	s_cbranch_scc0 .LBB143_2261
; %bb.2247:
	s_and_b32 s4, s16, 0xff
	s_cmpk_lt_i32 s4, 0x80
	s_cbranch_scc1 .LBB143_2255
; %bb.2248:
	s_and_b32 s0, 0xffff, s4
	s_cmpk_lg_i32 s0, 0x80
	s_mov_b64 s[2:3], 0
	s_cselect_b64 s[0:1], -1, 0
	s_branch .LBB143_2256
.LBB143_2249:
	s_mov_b64 s[2:3], -1
	s_mov_b64 s[0:1], 0
.LBB143_2250:
	s_andn2_b64 vcc, exec, s[2:3]
	s_cbranch_vccnz .LBB143_2252
; %bb.2251:
	s_and_b32 s0, 0xffff, s4
	s_cmp_lg_u32 s0, 0
	s_cselect_b64 s[0:1], -1, 0
.LBB143_2252:
	s_andn2_b64 vcc, exec, s[0:1]
	v_mov_b32_e32 v0, 0
	s_cbranch_vccnz .LBB143_2254
; %bb.2253:
	s_and_b32 s1, s16, 7
	s_flbit_i32_b32 s3, s1
	s_min_u32 s3, s3, 32
	s_sub_i32 s4, s3, 28
	s_lshl_b32 s4, s16, s4
	s_lshl_b32 s0, s16, 24
	s_bfe_u32 s2, s16, 0x40003
	s_sub_i32 s3, 29, s3
	s_and_b32 s4, s4, 7
	s_cmp_eq_u32 s2, 0
	s_cselect_b32 s2, s3, s2
	s_cselect_b32 s1, s4, s1
	s_lshl_b32 s2, s2, 23
	s_and_b32 s0, s0, 0x80000000
	s_add_i32 s2, s2, 0x3b800000
	s_lshl_b32 s1, s1, 20
	s_or_b32 s0, s0, s2
	s_or_b32 s0, s0, s1
	v_cvt_i32_f32_e32 v0, s0
.LBB143_2254:
	global_store_short v[4:5], v0, off
	s_cbranch_execnz .LBB143_2264
	s_branch .LBB143_2246
.LBB143_2255:
	s_mov_b64 s[2:3], -1
	s_mov_b64 s[0:1], 0
.LBB143_2256:
	s_andn2_b64 vcc, exec, s[2:3]
	s_cbranch_vccnz .LBB143_2258
; %bb.2257:
	s_and_b32 s0, 0xffff, s4
	s_cmp_lg_u32 s0, 0
	s_cselect_b64 s[0:1], -1, 0
.LBB143_2258:
	s_andn2_b64 vcc, exec, s[0:1]
	v_mov_b32_e32 v0, 0
	s_cbranch_vccnz .LBB143_2260
; %bb.2259:
	s_and_b32 s1, s16, 7
	s_flbit_i32_b32 s3, s1
	s_min_u32 s3, s3, 32
	s_sub_i32 s4, s3, 28
	s_lshl_b32 s4, s16, s4
	s_lshl_b32 s0, s16, 24
	s_bfe_u32 s2, s16, 0x40003
	s_sub_i32 s3, 29, s3
	s_and_b32 s4, s4, 7
	s_cmp_eq_u32 s2, 0
	s_cselect_b32 s2, s3, s2
	s_cselect_b32 s1, s4, s1
	s_lshl_b32 s2, s2, 23
	s_and_b32 s0, s0, 0x80000000
	s_add_i32 s2, s2, 0x3b800000
	s_lshl_b32 s1, s1, 20
	s_or_b32 s0, s0, s2
	s_or_b32 s0, s0, s1
	v_cvt_i32_f32_e32 v0, s0
.LBB143_2260:
	global_store_byte v[4:5], v0, off
	s_mov_b64 s[0:1], 0
.LBB143_2261:
	s_and_b64 vcc, exec, s[0:1]
	s_cbranch_vccz .LBB143_2264
; %bb.2262:
	s_and_b32 s4, s16, 0xff
	s_cmpk_lt_i32 s4, 0x80
	s_cbranch_scc1 .LBB143_2265
; %bb.2263:
	s_and_b32 s0, 0xffff, s4
	s_cmpk_lg_i32 s0, 0x80
	s_mov_b64 s[2:3], 0
	s_cselect_b64 s[0:1], -1, 0
	s_branch .LBB143_2266
.LBB143_2264:
	s_endpgm
.LBB143_2265:
	s_mov_b64 s[2:3], -1
	s_mov_b64 s[0:1], 0
.LBB143_2266:
	s_andn2_b64 vcc, exec, s[2:3]
	s_cbranch_vccnz .LBB143_2268
; %bb.2267:
	s_and_b32 s0, 0xffff, s4
	s_cmp_lg_u32 s0, 0
	s_cselect_b64 s[0:1], -1, 0
.LBB143_2268:
	s_andn2_b64 vcc, exec, s[0:1]
	v_mov_b32_e32 v0, 0
	s_cbranch_vccnz .LBB143_2270
; %bb.2269:
	s_and_b32 s1, s16, 7
	s_flbit_i32_b32 s3, s1
	s_min_u32 s3, s3, 32
	s_sub_i32 s4, s3, 28
	s_lshl_b32 s4, s16, s4
	s_lshl_b32 s0, s16, 24
	s_bfe_u32 s2, s16, 0x40003
	s_sub_i32 s3, 29, s3
	s_and_b32 s4, s4, 7
	s_cmp_eq_u32 s2, 0
	s_cselect_b32 s2, s3, s2
	s_cselect_b32 s1, s4, s1
	s_lshl_b32 s2, s2, 23
	s_and_b32 s0, s0, 0x80000000
	s_add_i32 s2, s2, 0x3b800000
	s_lshl_b32 s1, s1, 20
	s_or_b32 s0, s0, s2
	s_or_b32 s0, s0, s1
	v_trunc_f32_e32 v0, s0
	s_mov_b32 s0, 0x2f800000
	v_mul_f32_e64 v1, |v0|, s0
	v_floor_f32_e32 v1, v1
	s_mov_b32 s0, 0xcf800000
	v_fma_f32 v1, v1, s0, |v0|
	v_cvt_u32_f32_e32 v1, v1
	v_ashrrev_i32_e32 v0, 31, v0
	v_xor_b32_e32 v1, v1, v0
	v_sub_u32_e32 v0, v1, v0
.LBB143_2270:
	global_store_byte v[4:5], v0, off
	s_endpgm
.LBB143_2271:
	s_mov_b64 s[2:3], 0
.LBB143_2272:
	s_mov_b32 s11, 0x7f800001
	s_and_b64 vcc, exec, s[8:9]
	s_cbranch_vccz .LBB143_2274
; %bb.2273:
	s_and_b32 s2, 0xffff, s10
	s_cmp_lg_u32 s2, 0
	s_mov_b32 s11, 0
	s_cselect_b64 s[2:3], -1, 0
.LBB143_2274:
	s_andn2_b64 vcc, exec, s[2:3]
	s_cbranch_vccnz .LBB143_2276
; %bb.2275:
	s_and_b32 s3, s16, 7
	s_flbit_i32_b32 s9, s3
	s_min_u32 s9, s9, 32
	s_sub_i32 s10, s9, 28
	s_lshl_b32 s10, s16, s10
	s_lshl_b32 s2, s16, 24
	s_bfe_u32 s8, s16, 0x40003
	s_sub_i32 s9, 29, s9
	s_and_b32 s10, s10, 7
	s_cmp_eq_u32 s8, 0
	s_cselect_b32 s8, s9, s8
	s_cselect_b32 s3, s10, s3
	s_lshl_b32 s8, s8, 23
	s_and_b32 s2, s2, 0x80000000
	s_add_i32 s8, s8, 0x3b800000
	s_lshl_b32 s3, s3, 20
	s_or_b32 s2, s2, s8
	s_or_b32 s11, s2, s3
.LBB143_2276:
	s_bfe_u32 s2, s11, 0x10010
	s_add_i32 s2, s11, s2
	s_addk_i32 s2, 0x7fff
	s_lshr_b32 s8, s2, 16
	v_cmp_o_f32_e64 s[2:3], s11, s11
	s_and_b64 s[2:3], s[2:3], exec
	s_cselect_b32 s2, s8, 0x7fc0
	v_mov_b32_e32 v0, s2
	global_store_dword v[4:5], v0, off
	s_mov_b64 s[2:3], 0
.LBB143_2277:
	s_mov_b64 s[8:9], 0
.LBB143_2278:
	s_and_b64 vcc, exec, s[8:9]
	s_cbranch_vccz .LBB143_2290
; %bb.2279:
	s_cmp_eq_u32 s13, 44
	s_mov_b64 s[2:3], -1
	s_cbranch_scc0 .LBB143_2290
; %bb.2280:
	s_and_b32 s10, s16, 0xff
	s_cmpk_lt_i32 s10, 0x80
	s_cbranch_scc1 .LBB143_2284
; %bb.2281:
	s_and_b32 s2, 0xffff, s10
	s_cmpk_eq_i32 s2, 0x80
	s_mov_b64 s[2:3], -1
	s_cbranch_scc0 .LBB143_2283
; %bb.2282:
	s_mov_b64 s[2:3], 0
.LBB143_2283:
	s_mov_b64 s[8:9], 0
	s_branch .LBB143_2285
.LBB143_2284:
	s_mov_b64 s[8:9], -1
	s_mov_b64 s[2:3], 0
.LBB143_2285:
	s_mov_b32 s11, 0x7f800001
	s_and_b64 vcc, exec, s[8:9]
	s_cbranch_vccz .LBB143_2295
; %bb.2286:
	s_and_b32 s11, 0xffff, s10
	s_cmp_lg_u32 s11, 0
	s_cselect_b64 s[2:3], -1, 0
	s_andn2_b64 vcc, exec, s[2:3]
	s_cbranch_vccz .LBB143_2296
.LBB143_2287:
	s_lshr_b32 s2, s11, 23
	s_cmpk_eq_i32 s2, 0xff
	v_mov_b32_e32 v0, 0xff
	s_cbranch_scc1 .LBB143_2289
.LBB143_2288:
	s_bitcmp1_b32 s11, 22
	s_cselect_b64 s[8:9], -1, 0
	s_and_b32 s3, s11, 0x3fffff
	s_or_b32 s3, s2, s3
	s_cmp_lg_u32 s3, 0
	s_cselect_b64 s[10:11], -1, 0
	s_and_b64 s[8:9], s[8:9], s[10:11]
	v_cndmask_b32_e64 v0, 0, 1, s[8:9]
	v_add_u32_e32 v0, s2, v0
.LBB143_2289:
	global_store_byte v[4:5], v0, off
	s_mov_b64 s[2:3], 0
.LBB143_2290:
	s_mov_b64 s[8:9], 0
.LBB143_2291:
	s_and_b64 vcc, exec, s[8:9]
	s_cbranch_vccz .LBB143_2303
; %bb.2292:
	s_cmp_eq_u32 s13, 29
	s_mov_b64 s[2:3], -1
	s_cbranch_scc0 .LBB143_2303
; %bb.2293:
	s_and_b32 s10, s16, 0xff
	s_cmpk_lt_i32 s10, 0x80
	s_cbranch_scc1 .LBB143_2297
; %bb.2294:
	s_and_b32 s2, 0xffff, s10
	s_cmpk_lg_i32 s2, 0x80
	s_mov_b64 s[8:9], 0
	s_cselect_b64 s[2:3], -1, 0
	s_branch .LBB143_2298
.LBB143_2295:
	s_andn2_b64 vcc, exec, s[2:3]
	s_cbranch_vccnz .LBB143_2287
.LBB143_2296:
	s_and_b32 s2, s16, 7
	s_flbit_i32_b32 s8, s2
	s_min_u32 s8, s8, 32
	s_sub_i32 s9, s8, 28
	s_lshl_b32 s9, s16, s9
	s_bfe_u32 s3, s16, 0x40003
	s_sub_i32 s8, 29, s8
	s_and_b32 s9, s9, 7
	s_cmp_eq_u32 s3, 0
	s_cselect_b32 s3, s8, s3
	s_cselect_b32 s2, s9, s2
	s_lshl_b32 s2, s2, 20
	s_lshl_b32 s3, s3, 23
	s_or_b32 s2, s3, s2
	s_add_i32 s11, s2, 0x3b800000
	s_lshr_b32 s2, s11, 23
	s_cmpk_eq_i32 s2, 0xff
	v_mov_b32_e32 v0, 0xff
	s_cbranch_scc0 .LBB143_2288
	s_branch .LBB143_2289
.LBB143_2297:
	s_mov_b64 s[8:9], -1
	s_mov_b64 s[2:3], 0
.LBB143_2298:
	s_andn2_b64 vcc, exec, s[8:9]
	s_cbranch_vccnz .LBB143_2300
; %bb.2299:
	s_and_b32 s2, 0xffff, s10
	s_cmp_lg_u32 s2, 0
	s_cselect_b64 s[2:3], -1, 0
.LBB143_2300:
	v_mov_b32_e32 v0, 0
	s_andn2_b64 vcc, exec, s[2:3]
	v_mov_b32_e32 v1, 0
	s_cbranch_vccnz .LBB143_2302
; %bb.2301:
	s_and_b32 s3, s16, 7
	s_flbit_i32_b32 s9, s3
	s_min_u32 s9, s9, 32
	s_sub_i32 s10, s9, 28
	s_lshl_b32 s10, s16, s10
	s_lshl_b32 s2, s16, 24
	s_bfe_u32 s8, s16, 0x40003
	s_sub_i32 s9, 29, s9
	s_and_b32 s10, s10, 7
	s_cmp_eq_u32 s8, 0
	s_cselect_b32 s8, s9, s8
	s_cselect_b32 s3, s10, s3
	s_lshl_b32 s8, s8, 23
	s_and_b32 s2, s2, 0x80000000
	s_add_i32 s8, s8, 0x3b800000
	s_lshl_b32 s3, s3, 20
	s_or_b32 s2, s2, s8
	s_or_b32 s2, s2, s3
	v_trunc_f32_e32 v0, s2
	v_mul_f32_e32 v1, 0x2f800000, v0
	v_floor_f32_e32 v1, v1
	v_fmac_f32_e32 v0, 0xcf800000, v1
	v_cvt_u32_f32_e32 v0, v0
	v_cvt_u32_f32_e32 v1, v1
.LBB143_2302:
	global_store_dwordx2 v[4:5], v[0:1], off
	s_mov_b64 s[2:3], 0
.LBB143_2303:
	s_mov_b64 s[8:9], 0
.LBB143_2304:
	s_and_b64 vcc, exec, s[8:9]
	s_cbranch_vccz .LBB143_2327
; %bb.2305:
	s_cmp_lt_i32 s13, 27
	s_mov_b64 s[8:9], -1
	s_cbranch_scc1 .LBB143_2325
; %bb.2306:
	s_cmp_gt_i32 s13, 27
	s_cbranch_scc0 .LBB143_2315
; %bb.2307:
	s_and_b32 s14, s16, 0xff
	s_cmpk_lt_i32 s14, 0x80
	s_cbranch_scc1 .LBB143_2309
; %bb.2308:
	s_and_b32 s8, 0xffff, s14
	s_cmpk_lg_i32 s8, 0x80
	s_mov_b64 s[10:11], 0
	s_cselect_b64 s[8:9], -1, 0
	s_branch .LBB143_2310
.LBB143_2309:
	s_mov_b64 s[10:11], -1
	s_mov_b64 s[8:9], 0
.LBB143_2310:
	s_andn2_b64 vcc, exec, s[10:11]
	s_cbranch_vccnz .LBB143_2312
; %bb.2311:
	s_and_b32 s8, 0xffff, s14
	s_cmp_lg_u32 s8, 0
	s_cselect_b64 s[8:9], -1, 0
.LBB143_2312:
	s_andn2_b64 vcc, exec, s[8:9]
	v_mov_b32_e32 v0, 0
	s_cbranch_vccnz .LBB143_2314
; %bb.2313:
	s_and_b32 s9, s16, 7
	s_flbit_i32_b32 s11, s9
	s_min_u32 s11, s11, 32
	s_sub_i32 s14, s11, 28
	s_lshl_b32 s14, s16, s14
	s_lshl_b32 s8, s16, 24
	s_bfe_u32 s10, s16, 0x40003
	s_sub_i32 s11, 29, s11
	s_and_b32 s14, s14, 7
	s_cmp_eq_u32 s10, 0
	s_cselect_b32 s10, s11, s10
	s_cselect_b32 s9, s14, s9
	s_lshl_b32 s10, s10, 23
	s_and_b32 s8, s8, 0x80000000
	s_add_i32 s10, s10, 0x3b800000
	s_lshl_b32 s9, s9, 20
	s_or_b32 s8, s8, s10
	s_or_b32 s8, s8, s9
	v_cvt_u32_f32_e32 v0, s8
.LBB143_2314:
	global_store_dword v[4:5], v0, off
	s_mov_b64 s[8:9], 0
.LBB143_2315:
	s_and_b64 vcc, exec, s[8:9]
	s_cbranch_vccz .LBB143_2324
; %bb.2316:
	s_and_b32 s14, s16, 0xff
	s_cmpk_lt_i32 s14, 0x80
	s_cbranch_scc1 .LBB143_2318
; %bb.2317:
	s_and_b32 s8, 0xffff, s14
	s_cmpk_lg_i32 s8, 0x80
	s_mov_b64 s[10:11], 0
	s_cselect_b64 s[8:9], -1, 0
	s_branch .LBB143_2319
.LBB143_2318:
	s_mov_b64 s[10:11], -1
	s_mov_b64 s[8:9], 0
.LBB143_2319:
	s_andn2_b64 vcc, exec, s[10:11]
	s_cbranch_vccnz .LBB143_2321
; %bb.2320:
	s_and_b32 s8, 0xffff, s14
	s_cmp_lg_u32 s8, 0
	s_cselect_b64 s[8:9], -1, 0
.LBB143_2321:
	s_andn2_b64 vcc, exec, s[8:9]
	v_mov_b32_e32 v0, 0
	s_cbranch_vccnz .LBB143_2323
; %bb.2322:
	s_and_b32 s9, s16, 7
	s_flbit_i32_b32 s11, s9
	s_min_u32 s11, s11, 32
	s_sub_i32 s14, s11, 28
	s_lshl_b32 s14, s16, s14
	s_lshl_b32 s8, s16, 24
	s_bfe_u32 s10, s16, 0x40003
	s_sub_i32 s11, 29, s11
	s_and_b32 s14, s14, 7
	s_cmp_eq_u32 s10, 0
	s_cselect_b32 s10, s11, s10
	s_cselect_b32 s9, s14, s9
	s_lshl_b32 s10, s10, 23
	s_and_b32 s8, s8, 0x80000000
	s_add_i32 s10, s10, 0x3b800000
	s_lshl_b32 s9, s9, 20
	s_or_b32 s8, s8, s10
	s_or_b32 s8, s8, s9
	v_cvt_u32_f32_e32 v0, s8
.LBB143_2323:
	global_store_short v[4:5], v0, off
.LBB143_2324:
	s_mov_b64 s[8:9], 0
.LBB143_2325:
	s_andn2_b64 vcc, exec, s[8:9]
	s_cbranch_vccnz .LBB143_2327
; %bb.2326:
	v_mov_b32_e32 v0, s16
	global_store_byte v[4:5], v0, off
.LBB143_2327:
	s_mov_b64 s[8:9], 0
.LBB143_2328:
	s_and_b64 vcc, exec, s[8:9]
	s_cbranch_vccz .LBB143_2409
; %bb.2329:
	s_cmp_gt_i32 s13, 22
	s_mov_b64 s[4:5], -1
	s_cbranch_scc0 .LBB143_2394
; %bb.2330:
	s_cmp_lt_i32 s13, 24
	s_cbranch_scc1 .LBB143_2372
; %bb.2331:
	s_cmp_gt_i32 s13, 24
	s_cbranch_scc0 .LBB143_2350
; %bb.2332:
	s_and_b32 s11, s16, 0xff
	s_cmpk_lt_i32 s11, 0x80
	s_cbranch_scc1 .LBB143_2336
; %bb.2333:
	s_and_b32 s4, 0xffff, s11
	s_cmpk_eq_i32 s4, 0x80
	s_mov_b64 s[4:5], -1
	s_cbranch_scc0 .LBB143_2335
; %bb.2334:
	s_mov_b64 s[4:5], 0
.LBB143_2335:
	s_mov_b64 s[8:9], 0
	s_branch .LBB143_2337
.LBB143_2336:
	s_mov_b64 s[8:9], -1
	s_mov_b64 s[4:5], 0
.LBB143_2337:
	s_mov_b32 s10, 0x7f800001
	s_and_b64 vcc, exec, s[8:9]
	s_cbranch_vccz .LBB143_2340
; %bb.2338:
	s_and_b32 s4, 0xffff, s11
	s_cmp_lg_u32 s4, 0
	s_mov_b32 s10, 0
	s_cselect_b64 s[4:5], -1, 0
	s_andn2_b64 vcc, exec, s[4:5]
	s_cbranch_vccz .LBB143_2341
.LBB143_2339:
	s_and_b32 s4, s10, 0x7fffffff
	s_cmp_gt_u32 s4, 0x477fffff
	v_mov_b32_e32 v1, 0x80
	s_cbranch_scc0 .LBB143_2342
	s_branch .LBB143_2349
.LBB143_2340:
	s_andn2_b64 vcc, exec, s[4:5]
	s_cbranch_vccnz .LBB143_2339
.LBB143_2341:
	s_and_b32 s5, s16, 7
	s_flbit_i32_b32 s9, s5
	s_min_u32 s9, s9, 32
	s_sub_i32 s10, s9, 28
	s_lshl_b32 s10, s16, s10
	s_lshl_b32 s4, s16, 24
	s_bfe_u32 s8, s16, 0x40003
	s_sub_i32 s9, 29, s9
	s_and_b32 s10, s10, 7
	s_cmp_eq_u32 s8, 0
	s_cselect_b32 s8, s9, s8
	s_cselect_b32 s5, s10, s5
	s_lshl_b32 s8, s8, 23
	s_and_b32 s4, s4, 0x80000000
	s_add_i32 s8, s8, 0x3b800000
	s_lshl_b32 s5, s5, 20
	s_or_b32 s4, s4, s8
	s_or_b32 s10, s4, s5
	s_and_b32 s4, s10, 0x7fffffff
	s_cmp_gt_u32 s4, 0x477fffff
	v_mov_b32_e32 v1, 0x80
	s_cbranch_scc1 .LBB143_2349
.LBB143_2342:
	s_cmp_gt_u32 s4, 0x37ffffff
	s_cbranch_scc0 .LBB143_2344
; %bb.2343:
	s_bfe_u32 s4, s10, 0x10015
	s_add_i32 s4, s10, s4
	s_add_i32 s4, s4, 0x88fffff
	s_lshr_b32 s11, s4, 21
	s_mov_b64 s[8:9], 0
	s_mov_b64 s[4:5], -1
	s_branch .LBB143_2345
.LBB143_2344:
	s_mov_b64 s[8:9], -1
	s_mov_b64 s[4:5], 0
                                        ; implicit-def: $sgpr11
.LBB143_2345:
	s_andn2_b64 vcc, exec, s[8:9]
	v_mov_b32_e32 v0, s11
	s_cbranch_vccnz .LBB143_2347
; %bb.2346:
	v_mov_b32_e32 v0, 0x42800000
	v_add_f32_e64 v0, |s10|, v0
	v_and_b32_e32 v0, 0xff, v0
	v_cmp_ne_u32_e64 s[4:5], 0, v0
.LBB143_2347:
	s_andn2_b64 vcc, exec, s[4:5]
	v_mov_b32_e32 v1, 0
	s_cbranch_vccnz .LBB143_2349
; %bb.2348:
	s_lshr_b32 s4, s10, 24
	s_and_b32 s4, s4, 0x80
	v_or_b32_e32 v1, s4, v0
.LBB143_2349:
	global_store_byte v[4:5], v1, off
	s_mov_b64 s[4:5], 0
.LBB143_2350:
	s_and_b64 vcc, exec, s[4:5]
	s_cbranch_vccz .LBB143_2371
; %bb.2351:
	s_and_b32 s11, s16, 0xff
	s_cmpk_lt_i32 s11, 0x80
	s_cbranch_scc1 .LBB143_2355
; %bb.2352:
	s_and_b32 s4, 0xffff, s11
	s_cmpk_eq_i32 s4, 0x80
	s_mov_b64 s[4:5], -1
	s_cbranch_scc0 .LBB143_2354
; %bb.2353:
	s_mov_b64 s[4:5], 0
.LBB143_2354:
	s_mov_b64 s[8:9], 0
	s_branch .LBB143_2356
.LBB143_2355:
	s_mov_b64 s[8:9], -1
	s_mov_b64 s[4:5], 0
.LBB143_2356:
	s_mov_b32 s10, 0x7f800001
	s_and_b64 vcc, exec, s[8:9]
	s_cbranch_vccz .LBB143_2361
; %bb.2357:
	s_and_b32 s4, 0xffff, s11
	s_cmp_lg_u32 s4, 0
	s_mov_b32 s10, 0
	s_cselect_b64 s[4:5], -1, 0
	s_andn2_b64 vcc, exec, s[4:5]
	s_cbranch_vccz .LBB143_2362
.LBB143_2358:
	s_and_b32 s8, s10, 0x7fffffff
	s_cmp_lt_u32 s8, 0x43f00000
	s_cbranch_scc0 .LBB143_2363
.LBB143_2359:
	s_cmp_gt_u32 s8, 0x3c7fffff
	s_cbranch_scc0 .LBB143_2364
; %bb.2360:
	s_bfe_u32 s4, s10, 0x10014
	s_add_i32 s4, s10, s4
	s_add_i32 s4, s4, 0x407ffff
	s_lshr_b32 s5, s4, 20
	s_and_b32 s4, s4, 0xff00000
	s_cmp_lg_u32 s4, 0x7f00000
	s_cselect_b32 s9, s5, 0x7e
	s_mov_b64 s[4:5], 0
	s_branch .LBB143_2365
.LBB143_2361:
	s_andn2_b64 vcc, exec, s[4:5]
	s_cbranch_vccnz .LBB143_2358
.LBB143_2362:
	s_and_b32 s5, s16, 7
	s_flbit_i32_b32 s9, s5
	s_min_u32 s9, s9, 32
	s_sub_i32 s10, s9, 28
	s_lshl_b32 s10, s16, s10
	s_lshl_b32 s4, s16, 24
	s_bfe_u32 s8, s16, 0x40003
	s_sub_i32 s9, 29, s9
	s_and_b32 s10, s10, 7
	s_cmp_eq_u32 s8, 0
	s_cselect_b32 s8, s9, s8
	s_cselect_b32 s5, s10, s5
	s_lshl_b32 s8, s8, 23
	s_and_b32 s4, s4, 0x80000000
	s_add_i32 s8, s8, 0x3b800000
	s_lshl_b32 s5, s5, 20
	s_or_b32 s4, s4, s8
	s_or_b32 s10, s4, s5
	s_and_b32 s8, s10, 0x7fffffff
	s_cmp_lt_u32 s8, 0x43f00000
	s_cbranch_scc1 .LBB143_2359
.LBB143_2363:
	s_mov_b64 s[4:5], -1
                                        ; implicit-def: $vgpr0
	s_branch .LBB143_2368
.LBB143_2364:
	s_mov_b64 s[4:5], -1
                                        ; implicit-def: $sgpr9
.LBB143_2365:
	s_andn2_b64 vcc, exec, s[4:5]
	v_mov_b32_e32 v0, s9
	s_cbranch_vccnz .LBB143_2367
; %bb.2366:
	v_mov_b32_e32 v0, 0x46800000
	v_add_f32_e64 v0, |s10|, v0
.LBB143_2367:
	s_mov_b64 s[4:5], 0
.LBB143_2368:
	s_andn2_b64 vcc, exec, s[4:5]
	s_cbranch_vccnz .LBB143_2370
; %bb.2369:
	s_cmp_gt_u32 s8, 0x7f800000
	s_movk_i32 s4, 0x7f
	s_cselect_b32 s4, s4, 0x7e
	v_mov_b32_e32 v0, s4
.LBB143_2370:
	s_lshr_b32 s4, s10, 24
	s_and_b32 s4, s4, 0x80
	v_or_b32_e32 v0, s4, v0
	global_store_byte v[4:5], v0, off
.LBB143_2371:
	s_mov_b64 s[4:5], 0
.LBB143_2372:
	s_andn2_b64 vcc, exec, s[4:5]
	s_cbranch_vccnz .LBB143_2393
; %bb.2373:
	s_and_b32 s11, s16, 0xff
	s_cmpk_lt_i32 s11, 0x80
	s_cbranch_scc1 .LBB143_2377
; %bb.2374:
	s_and_b32 s4, 0xffff, s11
	s_cmpk_eq_i32 s4, 0x80
	s_mov_b64 s[4:5], -1
	s_cbranch_scc0 .LBB143_2376
; %bb.2375:
	s_mov_b64 s[4:5], 0
.LBB143_2376:
	s_mov_b64 s[8:9], 0
	s_branch .LBB143_2378
.LBB143_2377:
	s_mov_b64 s[8:9], -1
	s_mov_b64 s[4:5], 0
.LBB143_2378:
	s_mov_b32 s10, 0x7f800001
	s_and_b64 vcc, exec, s[8:9]
	s_cbranch_vccz .LBB143_2383
; %bb.2379:
	s_and_b32 s4, 0xffff, s11
	s_cmp_lg_u32 s4, 0
	s_mov_b32 s10, 0
	s_cselect_b64 s[4:5], -1, 0
	s_andn2_b64 vcc, exec, s[4:5]
	s_cbranch_vccz .LBB143_2384
.LBB143_2380:
	s_and_b32 s8, s10, 0x7fffffff
	s_cmp_lt_u32 s8, 0x47800000
	s_cbranch_scc0 .LBB143_2385
.LBB143_2381:
	s_cmp_gt_u32 s8, 0x387fffff
	s_cbranch_scc0 .LBB143_2386
; %bb.2382:
	s_bfe_u32 s4, s10, 0x10015
	s_add_i32 s4, s10, s4
	s_add_i32 s4, s4, 0x80fffff
	s_lshr_b32 s9, s4, 21
	s_mov_b64 s[4:5], 0
	s_branch .LBB143_2387
.LBB143_2383:
	s_andn2_b64 vcc, exec, s[4:5]
	s_cbranch_vccnz .LBB143_2380
.LBB143_2384:
	s_and_b32 s5, s16, 7
	s_flbit_i32_b32 s9, s5
	s_min_u32 s9, s9, 32
	s_sub_i32 s10, s9, 28
	s_lshl_b32 s10, s16, s10
	s_lshl_b32 s4, s16, 24
	s_bfe_u32 s8, s16, 0x40003
	s_sub_i32 s9, 29, s9
	s_and_b32 s10, s10, 7
	s_cmp_eq_u32 s8, 0
	s_cselect_b32 s8, s9, s8
	s_cselect_b32 s5, s10, s5
	s_lshl_b32 s8, s8, 23
	s_and_b32 s4, s4, 0x80000000
	s_add_i32 s8, s8, 0x3b800000
	s_lshl_b32 s5, s5, 20
	s_or_b32 s4, s4, s8
	s_or_b32 s10, s4, s5
	s_and_b32 s8, s10, 0x7fffffff
	s_cmp_lt_u32 s8, 0x47800000
	s_cbranch_scc1 .LBB143_2381
.LBB143_2385:
	s_mov_b64 s[4:5], -1
                                        ; implicit-def: $vgpr0
	s_branch .LBB143_2390
.LBB143_2386:
	s_mov_b64 s[4:5], -1
                                        ; implicit-def: $sgpr9
.LBB143_2387:
	s_andn2_b64 vcc, exec, s[4:5]
	v_mov_b32_e32 v0, s9
	s_cbranch_vccnz .LBB143_2389
; %bb.2388:
	v_mov_b32_e32 v0, 0x43000000
	v_add_f32_e64 v0, |s10|, v0
.LBB143_2389:
	s_mov_b64 s[4:5], 0
.LBB143_2390:
	s_andn2_b64 vcc, exec, s[4:5]
	s_cbranch_vccnz .LBB143_2392
; %bb.2391:
	s_cmp_gt_u32 s8, 0x7f800000
	s_movk_i32 s4, 0x7f
	s_cselect_b32 s4, s4, 0x7c
	v_mov_b32_e32 v0, s4
.LBB143_2392:
	s_lshr_b32 s4, s10, 24
	s_and_b32 s4, s4, 0x80
	v_or_b32_e32 v0, s4, v0
	global_store_byte v[4:5], v0, off
.LBB143_2393:
	s_mov_b64 s[4:5], 0
.LBB143_2394:
	s_andn2_b64 vcc, exec, s[4:5]
	s_mov_b64 s[4:5], 0
	s_cbranch_vccnz .LBB143_2409
; %bb.2395:
	s_cmp_gt_i32 s13, 14
	s_mov_b64 s[8:9], -1
	s_cbranch_scc0 .LBB143_2407
; %bb.2396:
	s_cmp_eq_u32 s13, 15
	s_mov_b64 s[2:3], -1
	s_cbranch_scc0 .LBB143_2406
; %bb.2397:
	s_and_b32 s8, s16, 0xff
	s_cmpk_lt_i32 s8, 0x80
	s_cbranch_scc1 .LBB143_2401
; %bb.2398:
	s_and_b32 s2, 0xffff, s8
	s_cmpk_eq_i32 s2, 0x80
	s_mov_b64 s[2:3], -1
	s_cbranch_scc1 .LBB143_2402
; %bb.2399:
	s_mov_b32 s9, 0x7f800001
	s_and_b64 vcc, exec, s[4:5]
	s_cbranch_vccz .LBB143_2403
.LBB143_2400:
	s_and_b32 s2, 0xffff, s8
	s_cmp_lg_u32 s2, 0
	s_mov_b32 s9, 0
	s_cselect_b64 s[2:3], -1, 0
	s_andn2_b64 vcc, exec, s[2:3]
	s_cbranch_vccz .LBB143_2404
	s_branch .LBB143_2405
.LBB143_2401:
	s_mov_b64 s[4:5], -1
.LBB143_2402:
	s_mov_b64 s[2:3], 0
	s_mov_b32 s9, 0x7f800001
	s_and_b64 vcc, exec, s[4:5]
	s_cbranch_vccnz .LBB143_2400
.LBB143_2403:
	s_andn2_b64 vcc, exec, s[2:3]
	s_cbranch_vccnz .LBB143_2405
.LBB143_2404:
	s_and_b32 s3, s16, 7
	s_flbit_i32_b32 s5, s3
	s_min_u32 s5, s5, 32
	s_sub_i32 s8, s5, 28
	s_lshl_b32 s8, s16, s8
	s_lshl_b32 s2, s16, 24
	s_bfe_u32 s4, s16, 0x40003
	s_sub_i32 s5, 29, s5
	s_and_b32 s8, s8, 7
	s_cmp_eq_u32 s4, 0
	s_cselect_b32 s4, s5, s4
	s_cselect_b32 s3, s8, s3
	s_lshl_b32 s4, s4, 23
	s_and_b32 s2, s2, 0x80000000
	s_add_i32 s4, s4, 0x3b800000
	s_lshl_b32 s3, s3, 20
	s_or_b32 s2, s2, s4
	s_or_b32 s9, s2, s3
.LBB143_2405:
	s_bfe_u32 s2, s9, 0x10010
	s_add_i32 s2, s9, s2
	s_addk_i32 s2, 0x7fff
	s_lshr_b32 s4, s2, 16
	v_cmp_o_f32_e64 s[2:3], s9, s9
	s_and_b64 s[2:3], s[2:3], exec
	s_cselect_b32 s2, s4, 0x7fc0
	v_mov_b32_e32 v0, s2
	global_store_short v[4:5], v0, off
	s_mov_b64 s[2:3], 0
.LBB143_2406:
	s_mov_b64 s[8:9], 0
.LBB143_2407:
	s_mov_b64 s[4:5], 0
	s_and_b64 vcc, exec, s[8:9]
	s_cbranch_vccz .LBB143_2409
; %bb.2408:
	s_cmp_lg_u32 s13, 11
	s_mov_b64 s[4:5], -1
	s_cselect_b64 s[2:3], -1, 0
.LBB143_2409:
	s_and_b64 vcc, exec, s[2:3]
	s_cbranch_vccnz .LBB143_2411
.LBB143_2410:
	s_mov_b64 s[2:3], 0
	s_branch .LBB143_2136
.LBB143_2411:
	s_mov_b64 s[4:5], 0
	s_or_b64 s[0:1], s[0:1], exec
	s_trap 2
	s_branch .LBB143_2410
	.section	.rodata,"a",@progbits
	.p2align	6, 0x0
	.amdhsa_kernel _ZN2at6native32elementwise_kernel_manual_unrollILi128ELi4EZNS0_15gpu_kernel_implINS0_11FillFunctorIN3c1015Float8_e4m3fnuzEEEEEvRNS_18TensorIteratorBaseERKT_EUlibE0_EEviT1_
		.amdhsa_group_segment_fixed_size 0
		.amdhsa_private_segment_fixed_size 0
		.amdhsa_kernarg_size 288
		.amdhsa_user_sgpr_count 6
		.amdhsa_user_sgpr_private_segment_buffer 1
		.amdhsa_user_sgpr_dispatch_ptr 0
		.amdhsa_user_sgpr_queue_ptr 0
		.amdhsa_user_sgpr_kernarg_segment_ptr 1
		.amdhsa_user_sgpr_dispatch_id 0
		.amdhsa_user_sgpr_flat_scratch_init 0
		.amdhsa_user_sgpr_private_segment_size 0
		.amdhsa_uses_dynamic_stack 0
		.amdhsa_system_sgpr_private_segment_wavefront_offset 0
		.amdhsa_system_sgpr_workgroup_id_x 1
		.amdhsa_system_sgpr_workgroup_id_y 0
		.amdhsa_system_sgpr_workgroup_id_z 0
		.amdhsa_system_sgpr_workgroup_info 0
		.amdhsa_system_vgpr_workitem_id 0
		.amdhsa_next_free_vgpr 19
		.amdhsa_next_free_sgpr 69
		.amdhsa_reserve_vcc 1
		.amdhsa_reserve_flat_scratch 0
		.amdhsa_float_round_mode_32 0
		.amdhsa_float_round_mode_16_64 0
		.amdhsa_float_denorm_mode_32 3
		.amdhsa_float_denorm_mode_16_64 3
		.amdhsa_dx10_clamp 1
		.amdhsa_ieee_mode 1
		.amdhsa_fp16_overflow 0
		.amdhsa_exception_fp_ieee_invalid_op 0
		.amdhsa_exception_fp_denorm_src 0
		.amdhsa_exception_fp_ieee_div_zero 0
		.amdhsa_exception_fp_ieee_overflow 0
		.amdhsa_exception_fp_ieee_underflow 0
		.amdhsa_exception_fp_ieee_inexact 0
		.amdhsa_exception_int_div_zero 0
	.end_amdhsa_kernel
	.section	.text._ZN2at6native32elementwise_kernel_manual_unrollILi128ELi4EZNS0_15gpu_kernel_implINS0_11FillFunctorIN3c1015Float8_e4m3fnuzEEEEEvRNS_18TensorIteratorBaseERKT_EUlibE0_EEviT1_,"axG",@progbits,_ZN2at6native32elementwise_kernel_manual_unrollILi128ELi4EZNS0_15gpu_kernel_implINS0_11FillFunctorIN3c1015Float8_e4m3fnuzEEEEEvRNS_18TensorIteratorBaseERKT_EUlibE0_EEviT1_,comdat
.Lfunc_end143:
	.size	_ZN2at6native32elementwise_kernel_manual_unrollILi128ELi4EZNS0_15gpu_kernel_implINS0_11FillFunctorIN3c1015Float8_e4m3fnuzEEEEEvRNS_18TensorIteratorBaseERKT_EUlibE0_EEviT1_, .Lfunc_end143-_ZN2at6native32elementwise_kernel_manual_unrollILi128ELi4EZNS0_15gpu_kernel_implINS0_11FillFunctorIN3c1015Float8_e4m3fnuzEEEEEvRNS_18TensorIteratorBaseERKT_EUlibE0_EEviT1_
                                        ; -- End function
	.set _ZN2at6native32elementwise_kernel_manual_unrollILi128ELi4EZNS0_15gpu_kernel_implINS0_11FillFunctorIN3c1015Float8_e4m3fnuzEEEEEvRNS_18TensorIteratorBaseERKT_EUlibE0_EEviT1_.num_vgpr, 19
	.set _ZN2at6native32elementwise_kernel_manual_unrollILi128ELi4EZNS0_15gpu_kernel_implINS0_11FillFunctorIN3c1015Float8_e4m3fnuzEEEEEvRNS_18TensorIteratorBaseERKT_EUlibE0_EEviT1_.num_agpr, 0
	.set _ZN2at6native32elementwise_kernel_manual_unrollILi128ELi4EZNS0_15gpu_kernel_implINS0_11FillFunctorIN3c1015Float8_e4m3fnuzEEEEEvRNS_18TensorIteratorBaseERKT_EUlibE0_EEviT1_.numbered_sgpr, 69
	.set _ZN2at6native32elementwise_kernel_manual_unrollILi128ELi4EZNS0_15gpu_kernel_implINS0_11FillFunctorIN3c1015Float8_e4m3fnuzEEEEEvRNS_18TensorIteratorBaseERKT_EUlibE0_EEviT1_.num_named_barrier, 0
	.set _ZN2at6native32elementwise_kernel_manual_unrollILi128ELi4EZNS0_15gpu_kernel_implINS0_11FillFunctorIN3c1015Float8_e4m3fnuzEEEEEvRNS_18TensorIteratorBaseERKT_EUlibE0_EEviT1_.private_seg_size, 0
	.set _ZN2at6native32elementwise_kernel_manual_unrollILi128ELi4EZNS0_15gpu_kernel_implINS0_11FillFunctorIN3c1015Float8_e4m3fnuzEEEEEvRNS_18TensorIteratorBaseERKT_EUlibE0_EEviT1_.uses_vcc, 1
	.set _ZN2at6native32elementwise_kernel_manual_unrollILi128ELi4EZNS0_15gpu_kernel_implINS0_11FillFunctorIN3c1015Float8_e4m3fnuzEEEEEvRNS_18TensorIteratorBaseERKT_EUlibE0_EEviT1_.uses_flat_scratch, 0
	.set _ZN2at6native32elementwise_kernel_manual_unrollILi128ELi4EZNS0_15gpu_kernel_implINS0_11FillFunctorIN3c1015Float8_e4m3fnuzEEEEEvRNS_18TensorIteratorBaseERKT_EUlibE0_EEviT1_.has_dyn_sized_stack, 0
	.set _ZN2at6native32elementwise_kernel_manual_unrollILi128ELi4EZNS0_15gpu_kernel_implINS0_11FillFunctorIN3c1015Float8_e4m3fnuzEEEEEvRNS_18TensorIteratorBaseERKT_EUlibE0_EEviT1_.has_recursion, 0
	.set _ZN2at6native32elementwise_kernel_manual_unrollILi128ELi4EZNS0_15gpu_kernel_implINS0_11FillFunctorIN3c1015Float8_e4m3fnuzEEEEEvRNS_18TensorIteratorBaseERKT_EUlibE0_EEviT1_.has_indirect_call, 0
	.section	.AMDGPU.csdata,"",@progbits
; Kernel info:
; codeLenInByte = 41280
; TotalNumSgprs: 73
; NumVgprs: 19
; ScratchSize: 0
; MemoryBound: 0
; FloatMode: 240
; IeeeMode: 1
; LDSByteSize: 0 bytes/workgroup (compile time only)
; SGPRBlocks: 9
; VGPRBlocks: 4
; NumSGPRsForWavesPerEU: 73
; NumVGPRsForWavesPerEU: 19
; Occupancy: 10
; WaveLimiterHint : 1
; COMPUTE_PGM_RSRC2:SCRATCH_EN: 0
; COMPUTE_PGM_RSRC2:USER_SGPR: 6
; COMPUTE_PGM_RSRC2:TRAP_HANDLER: 0
; COMPUTE_PGM_RSRC2:TGID_X_EN: 1
; COMPUTE_PGM_RSRC2:TGID_Y_EN: 0
; COMPUTE_PGM_RSRC2:TGID_Z_EN: 0
; COMPUTE_PGM_RSRC2:TIDIG_COMP_CNT: 0
	.section	.text._ZN2at6native29vectorized_elementwise_kernelILi16ENS0_11FillFunctorIN3c1014Float8_e8m0fnuEEESt5arrayIPcLm1EEEEviT0_T1_,"axG",@progbits,_ZN2at6native29vectorized_elementwise_kernelILi16ENS0_11FillFunctorIN3c1014Float8_e8m0fnuEEESt5arrayIPcLm1EEEEviT0_T1_,comdat
	.protected	_ZN2at6native29vectorized_elementwise_kernelILi16ENS0_11FillFunctorIN3c1014Float8_e8m0fnuEEESt5arrayIPcLm1EEEEviT0_T1_ ; -- Begin function _ZN2at6native29vectorized_elementwise_kernelILi16ENS0_11FillFunctorIN3c1014Float8_e8m0fnuEEESt5arrayIPcLm1EEEEviT0_T1_
	.globl	_ZN2at6native29vectorized_elementwise_kernelILi16ENS0_11FillFunctorIN3c1014Float8_e8m0fnuEEESt5arrayIPcLm1EEEEviT0_T1_
	.p2align	8
	.type	_ZN2at6native29vectorized_elementwise_kernelILi16ENS0_11FillFunctorIN3c1014Float8_e8m0fnuEEESt5arrayIPcLm1EEEEviT0_T1_,@function
_ZN2at6native29vectorized_elementwise_kernelILi16ENS0_11FillFunctorIN3c1014Float8_e8m0fnuEEESt5arrayIPcLm1EEEEviT0_T1_: ; @_ZN2at6native29vectorized_elementwise_kernelILi16ENS0_11FillFunctorIN3c1014Float8_e8m0fnuEEESt5arrayIPcLm1EEEEviT0_T1_
; %bb.0:
	s_load_dwordx4 s[0:3], s[4:5], 0x0
	s_lshl_b32 s6, s6, 12
	s_mov_b64 s[4:5], -1
	s_waitcnt lgkmcnt(0)
	s_sub_i32 s0, s0, s6
	s_cmpk_gt_i32 s0, 0xfff
	s_cbranch_scc0 .LBB144_2
; %bb.1:
	s_ashr_i32 s5, s6, 31
	s_add_u32 s4, s2, s6
	s_addc_u32 s5, s3, s5
	s_lshl_b32 s7, s1, 8
	s_and_b32 s8, s1, 0xff
	s_or_b32 s7, s8, s7
	s_and_b32 s8, s7, 0xffff
	s_lshl_b32 s7, s7, 16
	s_or_b32 s7, s8, s7
	v_lshlrev_b32_e32 v5, 4, v0
	v_mov_b32_e32 v1, s7
	v_mov_b32_e32 v2, s7
	;; [unrolled: 1-line block ×4, first 2 shown]
	global_store_dwordx4 v5, v[1:4], s[4:5]
	s_mov_b64 s[4:5], 0
.LBB144_2:
	s_andn2_b64 vcc, exec, s[4:5]
	s_cbranch_vccnz .LBB144_20
; %bb.3:
	v_cmp_gt_i32_e32 vcc, s0, v0
	s_and_saveexec_b64 s[4:5], vcc
	s_cbranch_execnz .LBB144_21
; %bb.4:
	s_or_b64 exec, exec, s[4:5]
	v_cmp_gt_i32_e32 vcc, s0, v0
	s_and_saveexec_b64 s[4:5], vcc
	s_cbranch_execnz .LBB144_22
.LBB144_5:
	s_or_b64 exec, exec, s[4:5]
	v_cmp_gt_i32_e32 vcc, s0, v0
	s_and_saveexec_b64 s[4:5], vcc
	s_cbranch_execnz .LBB144_23
.LBB144_6:
	s_or_b64 exec, exec, s[4:5]
	v_cmp_gt_i32_e32 vcc, s0, v0
	s_and_saveexec_b64 s[4:5], vcc
	s_cbranch_execnz .LBB144_24
.LBB144_7:
	s_or_b64 exec, exec, s[4:5]
	v_cmp_gt_i32_e32 vcc, s0, v0
	s_and_saveexec_b64 s[4:5], vcc
	s_cbranch_execnz .LBB144_25
.LBB144_8:
	s_or_b64 exec, exec, s[4:5]
	v_cmp_gt_i32_e32 vcc, s0, v0
	s_and_saveexec_b64 s[4:5], vcc
	s_cbranch_execnz .LBB144_26
.LBB144_9:
	s_or_b64 exec, exec, s[4:5]
	v_cmp_gt_i32_e32 vcc, s0, v0
	s_and_saveexec_b64 s[4:5], vcc
	s_cbranch_execnz .LBB144_27
.LBB144_10:
	s_or_b64 exec, exec, s[4:5]
	v_cmp_gt_i32_e32 vcc, s0, v0
	s_and_saveexec_b64 s[4:5], vcc
	s_cbranch_execnz .LBB144_28
.LBB144_11:
	s_or_b64 exec, exec, s[4:5]
	v_cmp_gt_i32_e32 vcc, s0, v0
	s_and_saveexec_b64 s[4:5], vcc
	s_cbranch_execnz .LBB144_29
.LBB144_12:
	s_or_b64 exec, exec, s[4:5]
	v_cmp_gt_i32_e32 vcc, s0, v0
	s_and_saveexec_b64 s[4:5], vcc
	s_cbranch_execnz .LBB144_30
.LBB144_13:
	s_or_b64 exec, exec, s[4:5]
	v_cmp_gt_i32_e32 vcc, s0, v0
	s_and_saveexec_b64 s[4:5], vcc
	s_cbranch_execnz .LBB144_31
.LBB144_14:
	s_or_b64 exec, exec, s[4:5]
	v_cmp_gt_i32_e32 vcc, s0, v0
	s_and_saveexec_b64 s[4:5], vcc
	s_cbranch_execnz .LBB144_32
.LBB144_15:
	s_or_b64 exec, exec, s[4:5]
	v_cmp_gt_i32_e32 vcc, s0, v0
	s_and_saveexec_b64 s[4:5], vcc
	s_cbranch_execnz .LBB144_33
.LBB144_16:
	s_or_b64 exec, exec, s[4:5]
	v_cmp_gt_i32_e32 vcc, s0, v0
	s_and_saveexec_b64 s[4:5], vcc
	s_cbranch_execnz .LBB144_34
.LBB144_17:
	s_or_b64 exec, exec, s[4:5]
	v_cmp_gt_i32_e32 vcc, s0, v0
	s_and_saveexec_b64 s[4:5], vcc
	s_cbranch_execnz .LBB144_35
.LBB144_18:
	s_or_b64 exec, exec, s[4:5]
	v_cmp_gt_i32_e32 vcc, s0, v0
	s_and_saveexec_b64 s[4:5], vcc
	s_cbranch_execz .LBB144_20
.LBB144_19:
	v_add_u32_e32 v0, s6, v0
	v_mov_b32_e32 v1, s1
	global_store_byte v0, v1, s[2:3]
.LBB144_20:
	s_endpgm
.LBB144_21:
	v_or_b32_e32 v1, 0x100, v0
	v_or_b32_e32 v0, s6, v0
	v_mov_b32_e32 v2, s1
	global_store_byte v0, v2, s[2:3]
	v_mov_b32_e32 v0, v1
	s_or_b64 exec, exec, s[4:5]
	v_cmp_gt_i32_e32 vcc, s0, v0
	s_and_saveexec_b64 s[4:5], vcc
	s_cbranch_execz .LBB144_5
.LBB144_22:
	v_add_u32_e32 v1, s6, v0
	v_add_u32_e32 v0, 0x100, v0
	v_mov_b32_e32 v2, s1
	global_store_byte v1, v2, s[2:3]
	s_or_b64 exec, exec, s[4:5]
	v_cmp_gt_i32_e32 vcc, s0, v0
	s_and_saveexec_b64 s[4:5], vcc
	s_cbranch_execz .LBB144_6
.LBB144_23:
	v_add_u32_e32 v1, s6, v0
	v_add_u32_e32 v0, 0x100, v0
	v_mov_b32_e32 v2, s1
	global_store_byte v1, v2, s[2:3]
	s_or_b64 exec, exec, s[4:5]
	v_cmp_gt_i32_e32 vcc, s0, v0
	s_and_saveexec_b64 s[4:5], vcc
	s_cbranch_execz .LBB144_7
.LBB144_24:
	v_add_u32_e32 v1, s6, v0
	v_add_u32_e32 v0, 0x100, v0
	v_mov_b32_e32 v2, s1
	global_store_byte v1, v2, s[2:3]
	s_or_b64 exec, exec, s[4:5]
	v_cmp_gt_i32_e32 vcc, s0, v0
	s_and_saveexec_b64 s[4:5], vcc
	s_cbranch_execz .LBB144_8
.LBB144_25:
	v_add_u32_e32 v1, s6, v0
	v_add_u32_e32 v0, 0x100, v0
	v_mov_b32_e32 v2, s1
	global_store_byte v1, v2, s[2:3]
	s_or_b64 exec, exec, s[4:5]
	v_cmp_gt_i32_e32 vcc, s0, v0
	s_and_saveexec_b64 s[4:5], vcc
	s_cbranch_execz .LBB144_9
.LBB144_26:
	v_add_u32_e32 v1, s6, v0
	v_add_u32_e32 v0, 0x100, v0
	v_mov_b32_e32 v2, s1
	global_store_byte v1, v2, s[2:3]
	s_or_b64 exec, exec, s[4:5]
	v_cmp_gt_i32_e32 vcc, s0, v0
	s_and_saveexec_b64 s[4:5], vcc
	s_cbranch_execz .LBB144_10
.LBB144_27:
	v_add_u32_e32 v1, s6, v0
	v_add_u32_e32 v0, 0x100, v0
	v_mov_b32_e32 v2, s1
	global_store_byte v1, v2, s[2:3]
	s_or_b64 exec, exec, s[4:5]
	v_cmp_gt_i32_e32 vcc, s0, v0
	s_and_saveexec_b64 s[4:5], vcc
	s_cbranch_execz .LBB144_11
.LBB144_28:
	v_add_u32_e32 v1, s6, v0
	v_add_u32_e32 v0, 0x100, v0
	v_mov_b32_e32 v2, s1
	global_store_byte v1, v2, s[2:3]
	s_or_b64 exec, exec, s[4:5]
	v_cmp_gt_i32_e32 vcc, s0, v0
	s_and_saveexec_b64 s[4:5], vcc
	s_cbranch_execz .LBB144_12
.LBB144_29:
	v_add_u32_e32 v1, s6, v0
	v_add_u32_e32 v0, 0x100, v0
	v_mov_b32_e32 v2, s1
	global_store_byte v1, v2, s[2:3]
	s_or_b64 exec, exec, s[4:5]
	v_cmp_gt_i32_e32 vcc, s0, v0
	s_and_saveexec_b64 s[4:5], vcc
	s_cbranch_execz .LBB144_13
.LBB144_30:
	v_add_u32_e32 v1, s6, v0
	v_add_u32_e32 v0, 0x100, v0
	v_mov_b32_e32 v2, s1
	global_store_byte v1, v2, s[2:3]
	s_or_b64 exec, exec, s[4:5]
	v_cmp_gt_i32_e32 vcc, s0, v0
	s_and_saveexec_b64 s[4:5], vcc
	s_cbranch_execz .LBB144_14
.LBB144_31:
	v_add_u32_e32 v1, s6, v0
	v_add_u32_e32 v0, 0x100, v0
	v_mov_b32_e32 v2, s1
	global_store_byte v1, v2, s[2:3]
	s_or_b64 exec, exec, s[4:5]
	v_cmp_gt_i32_e32 vcc, s0, v0
	s_and_saveexec_b64 s[4:5], vcc
	s_cbranch_execz .LBB144_15
.LBB144_32:
	v_add_u32_e32 v1, s6, v0
	v_add_u32_e32 v0, 0x100, v0
	v_mov_b32_e32 v2, s1
	global_store_byte v1, v2, s[2:3]
	s_or_b64 exec, exec, s[4:5]
	v_cmp_gt_i32_e32 vcc, s0, v0
	s_and_saveexec_b64 s[4:5], vcc
	s_cbranch_execz .LBB144_16
.LBB144_33:
	v_add_u32_e32 v1, s6, v0
	v_add_u32_e32 v0, 0x100, v0
	v_mov_b32_e32 v2, s1
	global_store_byte v1, v2, s[2:3]
	s_or_b64 exec, exec, s[4:5]
	v_cmp_gt_i32_e32 vcc, s0, v0
	s_and_saveexec_b64 s[4:5], vcc
	s_cbranch_execz .LBB144_17
.LBB144_34:
	v_add_u32_e32 v1, s6, v0
	v_add_u32_e32 v0, 0x100, v0
	v_mov_b32_e32 v2, s1
	global_store_byte v1, v2, s[2:3]
	s_or_b64 exec, exec, s[4:5]
	v_cmp_gt_i32_e32 vcc, s0, v0
	s_and_saveexec_b64 s[4:5], vcc
	s_cbranch_execz .LBB144_18
.LBB144_35:
	v_add_u32_e32 v1, s6, v0
	v_add_u32_e32 v0, 0x100, v0
	v_mov_b32_e32 v2, s1
	global_store_byte v1, v2, s[2:3]
	s_or_b64 exec, exec, s[4:5]
	v_cmp_gt_i32_e32 vcc, s0, v0
	s_and_saveexec_b64 s[4:5], vcc
	s_cbranch_execnz .LBB144_19
	s_branch .LBB144_20
	.section	.rodata,"a",@progbits
	.p2align	6, 0x0
	.amdhsa_kernel _ZN2at6native29vectorized_elementwise_kernelILi16ENS0_11FillFunctorIN3c1014Float8_e8m0fnuEEESt5arrayIPcLm1EEEEviT0_T1_
		.amdhsa_group_segment_fixed_size 0
		.amdhsa_private_segment_fixed_size 0
		.amdhsa_kernarg_size 16
		.amdhsa_user_sgpr_count 6
		.amdhsa_user_sgpr_private_segment_buffer 1
		.amdhsa_user_sgpr_dispatch_ptr 0
		.amdhsa_user_sgpr_queue_ptr 0
		.amdhsa_user_sgpr_kernarg_segment_ptr 1
		.amdhsa_user_sgpr_dispatch_id 0
		.amdhsa_user_sgpr_flat_scratch_init 0
		.amdhsa_user_sgpr_private_segment_size 0
		.amdhsa_uses_dynamic_stack 0
		.amdhsa_system_sgpr_private_segment_wavefront_offset 0
		.amdhsa_system_sgpr_workgroup_id_x 1
		.amdhsa_system_sgpr_workgroup_id_y 0
		.amdhsa_system_sgpr_workgroup_id_z 0
		.amdhsa_system_sgpr_workgroup_info 0
		.amdhsa_system_vgpr_workitem_id 0
		.amdhsa_next_free_vgpr 6
		.amdhsa_next_free_sgpr 9
		.amdhsa_reserve_vcc 1
		.amdhsa_reserve_flat_scratch 0
		.amdhsa_float_round_mode_32 0
		.amdhsa_float_round_mode_16_64 0
		.amdhsa_float_denorm_mode_32 3
		.amdhsa_float_denorm_mode_16_64 3
		.amdhsa_dx10_clamp 1
		.amdhsa_ieee_mode 1
		.amdhsa_fp16_overflow 0
		.amdhsa_exception_fp_ieee_invalid_op 0
		.amdhsa_exception_fp_denorm_src 0
		.amdhsa_exception_fp_ieee_div_zero 0
		.amdhsa_exception_fp_ieee_overflow 0
		.amdhsa_exception_fp_ieee_underflow 0
		.amdhsa_exception_fp_ieee_inexact 0
		.amdhsa_exception_int_div_zero 0
	.end_amdhsa_kernel
	.section	.text._ZN2at6native29vectorized_elementwise_kernelILi16ENS0_11FillFunctorIN3c1014Float8_e8m0fnuEEESt5arrayIPcLm1EEEEviT0_T1_,"axG",@progbits,_ZN2at6native29vectorized_elementwise_kernelILi16ENS0_11FillFunctorIN3c1014Float8_e8m0fnuEEESt5arrayIPcLm1EEEEviT0_T1_,comdat
.Lfunc_end144:
	.size	_ZN2at6native29vectorized_elementwise_kernelILi16ENS0_11FillFunctorIN3c1014Float8_e8m0fnuEEESt5arrayIPcLm1EEEEviT0_T1_, .Lfunc_end144-_ZN2at6native29vectorized_elementwise_kernelILi16ENS0_11FillFunctorIN3c1014Float8_e8m0fnuEEESt5arrayIPcLm1EEEEviT0_T1_
                                        ; -- End function
	.set _ZN2at6native29vectorized_elementwise_kernelILi16ENS0_11FillFunctorIN3c1014Float8_e8m0fnuEEESt5arrayIPcLm1EEEEviT0_T1_.num_vgpr, 6
	.set _ZN2at6native29vectorized_elementwise_kernelILi16ENS0_11FillFunctorIN3c1014Float8_e8m0fnuEEESt5arrayIPcLm1EEEEviT0_T1_.num_agpr, 0
	.set _ZN2at6native29vectorized_elementwise_kernelILi16ENS0_11FillFunctorIN3c1014Float8_e8m0fnuEEESt5arrayIPcLm1EEEEviT0_T1_.numbered_sgpr, 9
	.set _ZN2at6native29vectorized_elementwise_kernelILi16ENS0_11FillFunctorIN3c1014Float8_e8m0fnuEEESt5arrayIPcLm1EEEEviT0_T1_.num_named_barrier, 0
	.set _ZN2at6native29vectorized_elementwise_kernelILi16ENS0_11FillFunctorIN3c1014Float8_e8m0fnuEEESt5arrayIPcLm1EEEEviT0_T1_.private_seg_size, 0
	.set _ZN2at6native29vectorized_elementwise_kernelILi16ENS0_11FillFunctorIN3c1014Float8_e8m0fnuEEESt5arrayIPcLm1EEEEviT0_T1_.uses_vcc, 1
	.set _ZN2at6native29vectorized_elementwise_kernelILi16ENS0_11FillFunctorIN3c1014Float8_e8m0fnuEEESt5arrayIPcLm1EEEEviT0_T1_.uses_flat_scratch, 0
	.set _ZN2at6native29vectorized_elementwise_kernelILi16ENS0_11FillFunctorIN3c1014Float8_e8m0fnuEEESt5arrayIPcLm1EEEEviT0_T1_.has_dyn_sized_stack, 0
	.set _ZN2at6native29vectorized_elementwise_kernelILi16ENS0_11FillFunctorIN3c1014Float8_e8m0fnuEEESt5arrayIPcLm1EEEEviT0_T1_.has_recursion, 0
	.set _ZN2at6native29vectorized_elementwise_kernelILi16ENS0_11FillFunctorIN3c1014Float8_e8m0fnuEEESt5arrayIPcLm1EEEEviT0_T1_.has_indirect_call, 0
	.section	.AMDGPU.csdata,"",@progbits
; Kernel info:
; codeLenInByte = 996
; TotalNumSgprs: 13
; NumVgprs: 6
; ScratchSize: 0
; MemoryBound: 0
; FloatMode: 240
; IeeeMode: 1
; LDSByteSize: 0 bytes/workgroup (compile time only)
; SGPRBlocks: 1
; VGPRBlocks: 1
; NumSGPRsForWavesPerEU: 13
; NumVGPRsForWavesPerEU: 6
; Occupancy: 10
; WaveLimiterHint : 0
; COMPUTE_PGM_RSRC2:SCRATCH_EN: 0
; COMPUTE_PGM_RSRC2:USER_SGPR: 6
; COMPUTE_PGM_RSRC2:TRAP_HANDLER: 0
; COMPUTE_PGM_RSRC2:TGID_X_EN: 1
; COMPUTE_PGM_RSRC2:TGID_Y_EN: 0
; COMPUTE_PGM_RSRC2:TGID_Z_EN: 0
; COMPUTE_PGM_RSRC2:TIDIG_COMP_CNT: 0
	.section	.text._ZN2at6native29vectorized_elementwise_kernelILi8ENS0_11FillFunctorIN3c1014Float8_e8m0fnuEEESt5arrayIPcLm1EEEEviT0_T1_,"axG",@progbits,_ZN2at6native29vectorized_elementwise_kernelILi8ENS0_11FillFunctorIN3c1014Float8_e8m0fnuEEESt5arrayIPcLm1EEEEviT0_T1_,comdat
	.protected	_ZN2at6native29vectorized_elementwise_kernelILi8ENS0_11FillFunctorIN3c1014Float8_e8m0fnuEEESt5arrayIPcLm1EEEEviT0_T1_ ; -- Begin function _ZN2at6native29vectorized_elementwise_kernelILi8ENS0_11FillFunctorIN3c1014Float8_e8m0fnuEEESt5arrayIPcLm1EEEEviT0_T1_
	.globl	_ZN2at6native29vectorized_elementwise_kernelILi8ENS0_11FillFunctorIN3c1014Float8_e8m0fnuEEESt5arrayIPcLm1EEEEviT0_T1_
	.p2align	8
	.type	_ZN2at6native29vectorized_elementwise_kernelILi8ENS0_11FillFunctorIN3c1014Float8_e8m0fnuEEESt5arrayIPcLm1EEEEviT0_T1_,@function
_ZN2at6native29vectorized_elementwise_kernelILi8ENS0_11FillFunctorIN3c1014Float8_e8m0fnuEEESt5arrayIPcLm1EEEEviT0_T1_: ; @_ZN2at6native29vectorized_elementwise_kernelILi8ENS0_11FillFunctorIN3c1014Float8_e8m0fnuEEESt5arrayIPcLm1EEEEviT0_T1_
; %bb.0:
	s_load_dwordx4 s[0:3], s[4:5], 0x0
	s_lshl_b32 s6, s6, 12
	s_mov_b64 s[4:5], -1
	s_waitcnt lgkmcnt(0)
	s_sub_i32 s0, s0, s6
	s_cmpk_gt_i32 s0, 0xfff
	s_cbranch_scc0 .LBB145_2
; %bb.1:
	s_and_b32 s4, s1, 0xff
	s_mul_i32 s4, s4, 0x1010101
	s_ashr_i32 s7, s6, 31
	s_mov_b32 s5, s4
	s_add_u32 s8, s2, s6
	v_mov_b32_e32 v1, s4
	s_addc_u32 s9, s3, s7
	v_lshlrev_b32_e32 v3, 3, v0
	v_mov_b32_e32 v2, s5
	global_store_dwordx2 v3, v[1:2], s[8:9]
	global_store_dwordx2 v3, v[1:2], s[8:9] offset:2048
	s_mov_b64 s[4:5], 0
.LBB145_2:
	s_andn2_b64 vcc, exec, s[4:5]
	s_cbranch_vccnz .LBB145_20
; %bb.3:
	v_cmp_gt_i32_e32 vcc, s0, v0
	s_and_saveexec_b64 s[4:5], vcc
	s_cbranch_execnz .LBB145_21
; %bb.4:
	s_or_b64 exec, exec, s[4:5]
	v_cmp_gt_i32_e32 vcc, s0, v0
	s_and_saveexec_b64 s[4:5], vcc
	s_cbranch_execnz .LBB145_22
.LBB145_5:
	s_or_b64 exec, exec, s[4:5]
	v_cmp_gt_i32_e32 vcc, s0, v0
	s_and_saveexec_b64 s[4:5], vcc
	s_cbranch_execnz .LBB145_23
.LBB145_6:
	s_or_b64 exec, exec, s[4:5]
	v_cmp_gt_i32_e32 vcc, s0, v0
	s_and_saveexec_b64 s[4:5], vcc
	s_cbranch_execnz .LBB145_24
.LBB145_7:
	s_or_b64 exec, exec, s[4:5]
	v_cmp_gt_i32_e32 vcc, s0, v0
	s_and_saveexec_b64 s[4:5], vcc
	s_cbranch_execnz .LBB145_25
.LBB145_8:
	s_or_b64 exec, exec, s[4:5]
	v_cmp_gt_i32_e32 vcc, s0, v0
	s_and_saveexec_b64 s[4:5], vcc
	s_cbranch_execnz .LBB145_26
.LBB145_9:
	s_or_b64 exec, exec, s[4:5]
	v_cmp_gt_i32_e32 vcc, s0, v0
	s_and_saveexec_b64 s[4:5], vcc
	s_cbranch_execnz .LBB145_27
.LBB145_10:
	s_or_b64 exec, exec, s[4:5]
	v_cmp_gt_i32_e32 vcc, s0, v0
	s_and_saveexec_b64 s[4:5], vcc
	s_cbranch_execnz .LBB145_28
.LBB145_11:
	s_or_b64 exec, exec, s[4:5]
	v_cmp_gt_i32_e32 vcc, s0, v0
	s_and_saveexec_b64 s[4:5], vcc
	s_cbranch_execnz .LBB145_29
.LBB145_12:
	s_or_b64 exec, exec, s[4:5]
	v_cmp_gt_i32_e32 vcc, s0, v0
	s_and_saveexec_b64 s[4:5], vcc
	s_cbranch_execnz .LBB145_30
.LBB145_13:
	s_or_b64 exec, exec, s[4:5]
	v_cmp_gt_i32_e32 vcc, s0, v0
	s_and_saveexec_b64 s[4:5], vcc
	s_cbranch_execnz .LBB145_31
.LBB145_14:
	s_or_b64 exec, exec, s[4:5]
	v_cmp_gt_i32_e32 vcc, s0, v0
	s_and_saveexec_b64 s[4:5], vcc
	s_cbranch_execnz .LBB145_32
.LBB145_15:
	s_or_b64 exec, exec, s[4:5]
	v_cmp_gt_i32_e32 vcc, s0, v0
	s_and_saveexec_b64 s[4:5], vcc
	s_cbranch_execnz .LBB145_33
.LBB145_16:
	s_or_b64 exec, exec, s[4:5]
	v_cmp_gt_i32_e32 vcc, s0, v0
	s_and_saveexec_b64 s[4:5], vcc
	s_cbranch_execnz .LBB145_34
.LBB145_17:
	s_or_b64 exec, exec, s[4:5]
	v_cmp_gt_i32_e32 vcc, s0, v0
	s_and_saveexec_b64 s[4:5], vcc
	s_cbranch_execnz .LBB145_35
.LBB145_18:
	s_or_b64 exec, exec, s[4:5]
	v_cmp_gt_i32_e32 vcc, s0, v0
	s_and_saveexec_b64 s[4:5], vcc
	s_cbranch_execz .LBB145_20
.LBB145_19:
	v_add_u32_e32 v0, s6, v0
	v_mov_b32_e32 v1, s1
	global_store_byte v0, v1, s[2:3]
.LBB145_20:
	s_endpgm
.LBB145_21:
	v_or_b32_e32 v1, 0x100, v0
	v_or_b32_e32 v0, s6, v0
	v_mov_b32_e32 v2, s1
	global_store_byte v0, v2, s[2:3]
	v_mov_b32_e32 v0, v1
	s_or_b64 exec, exec, s[4:5]
	v_cmp_gt_i32_e32 vcc, s0, v0
	s_and_saveexec_b64 s[4:5], vcc
	s_cbranch_execz .LBB145_5
.LBB145_22:
	v_add_u32_e32 v1, s6, v0
	v_add_u32_e32 v0, 0x100, v0
	v_mov_b32_e32 v2, s1
	global_store_byte v1, v2, s[2:3]
	s_or_b64 exec, exec, s[4:5]
	v_cmp_gt_i32_e32 vcc, s0, v0
	s_and_saveexec_b64 s[4:5], vcc
	s_cbranch_execz .LBB145_6
.LBB145_23:
	v_add_u32_e32 v1, s6, v0
	v_add_u32_e32 v0, 0x100, v0
	v_mov_b32_e32 v2, s1
	global_store_byte v1, v2, s[2:3]
	s_or_b64 exec, exec, s[4:5]
	v_cmp_gt_i32_e32 vcc, s0, v0
	s_and_saveexec_b64 s[4:5], vcc
	s_cbranch_execz .LBB145_7
.LBB145_24:
	v_add_u32_e32 v1, s6, v0
	v_add_u32_e32 v0, 0x100, v0
	v_mov_b32_e32 v2, s1
	global_store_byte v1, v2, s[2:3]
	s_or_b64 exec, exec, s[4:5]
	v_cmp_gt_i32_e32 vcc, s0, v0
	s_and_saveexec_b64 s[4:5], vcc
	s_cbranch_execz .LBB145_8
.LBB145_25:
	v_add_u32_e32 v1, s6, v0
	v_add_u32_e32 v0, 0x100, v0
	v_mov_b32_e32 v2, s1
	global_store_byte v1, v2, s[2:3]
	s_or_b64 exec, exec, s[4:5]
	v_cmp_gt_i32_e32 vcc, s0, v0
	s_and_saveexec_b64 s[4:5], vcc
	s_cbranch_execz .LBB145_9
.LBB145_26:
	v_add_u32_e32 v1, s6, v0
	v_add_u32_e32 v0, 0x100, v0
	v_mov_b32_e32 v2, s1
	global_store_byte v1, v2, s[2:3]
	s_or_b64 exec, exec, s[4:5]
	v_cmp_gt_i32_e32 vcc, s0, v0
	s_and_saveexec_b64 s[4:5], vcc
	s_cbranch_execz .LBB145_10
.LBB145_27:
	v_add_u32_e32 v1, s6, v0
	v_add_u32_e32 v0, 0x100, v0
	v_mov_b32_e32 v2, s1
	global_store_byte v1, v2, s[2:3]
	s_or_b64 exec, exec, s[4:5]
	v_cmp_gt_i32_e32 vcc, s0, v0
	s_and_saveexec_b64 s[4:5], vcc
	s_cbranch_execz .LBB145_11
.LBB145_28:
	v_add_u32_e32 v1, s6, v0
	v_add_u32_e32 v0, 0x100, v0
	v_mov_b32_e32 v2, s1
	global_store_byte v1, v2, s[2:3]
	s_or_b64 exec, exec, s[4:5]
	v_cmp_gt_i32_e32 vcc, s0, v0
	s_and_saveexec_b64 s[4:5], vcc
	s_cbranch_execz .LBB145_12
.LBB145_29:
	v_add_u32_e32 v1, s6, v0
	v_add_u32_e32 v0, 0x100, v0
	v_mov_b32_e32 v2, s1
	global_store_byte v1, v2, s[2:3]
	s_or_b64 exec, exec, s[4:5]
	v_cmp_gt_i32_e32 vcc, s0, v0
	s_and_saveexec_b64 s[4:5], vcc
	s_cbranch_execz .LBB145_13
.LBB145_30:
	v_add_u32_e32 v1, s6, v0
	v_add_u32_e32 v0, 0x100, v0
	v_mov_b32_e32 v2, s1
	global_store_byte v1, v2, s[2:3]
	s_or_b64 exec, exec, s[4:5]
	v_cmp_gt_i32_e32 vcc, s0, v0
	s_and_saveexec_b64 s[4:5], vcc
	s_cbranch_execz .LBB145_14
.LBB145_31:
	v_add_u32_e32 v1, s6, v0
	v_add_u32_e32 v0, 0x100, v0
	v_mov_b32_e32 v2, s1
	global_store_byte v1, v2, s[2:3]
	s_or_b64 exec, exec, s[4:5]
	v_cmp_gt_i32_e32 vcc, s0, v0
	s_and_saveexec_b64 s[4:5], vcc
	s_cbranch_execz .LBB145_15
.LBB145_32:
	v_add_u32_e32 v1, s6, v0
	v_add_u32_e32 v0, 0x100, v0
	v_mov_b32_e32 v2, s1
	global_store_byte v1, v2, s[2:3]
	s_or_b64 exec, exec, s[4:5]
	v_cmp_gt_i32_e32 vcc, s0, v0
	s_and_saveexec_b64 s[4:5], vcc
	s_cbranch_execz .LBB145_16
.LBB145_33:
	v_add_u32_e32 v1, s6, v0
	v_add_u32_e32 v0, 0x100, v0
	v_mov_b32_e32 v2, s1
	global_store_byte v1, v2, s[2:3]
	s_or_b64 exec, exec, s[4:5]
	v_cmp_gt_i32_e32 vcc, s0, v0
	s_and_saveexec_b64 s[4:5], vcc
	s_cbranch_execz .LBB145_17
.LBB145_34:
	v_add_u32_e32 v1, s6, v0
	v_add_u32_e32 v0, 0x100, v0
	v_mov_b32_e32 v2, s1
	global_store_byte v1, v2, s[2:3]
	s_or_b64 exec, exec, s[4:5]
	v_cmp_gt_i32_e32 vcc, s0, v0
	s_and_saveexec_b64 s[4:5], vcc
	s_cbranch_execz .LBB145_18
.LBB145_35:
	v_add_u32_e32 v1, s6, v0
	v_add_u32_e32 v0, 0x100, v0
	v_mov_b32_e32 v2, s1
	global_store_byte v1, v2, s[2:3]
	s_or_b64 exec, exec, s[4:5]
	v_cmp_gt_i32_e32 vcc, s0, v0
	s_and_saveexec_b64 s[4:5], vcc
	s_cbranch_execnz .LBB145_19
	s_branch .LBB145_20
	.section	.rodata,"a",@progbits
	.p2align	6, 0x0
	.amdhsa_kernel _ZN2at6native29vectorized_elementwise_kernelILi8ENS0_11FillFunctorIN3c1014Float8_e8m0fnuEEESt5arrayIPcLm1EEEEviT0_T1_
		.amdhsa_group_segment_fixed_size 0
		.amdhsa_private_segment_fixed_size 0
		.amdhsa_kernarg_size 16
		.amdhsa_user_sgpr_count 6
		.amdhsa_user_sgpr_private_segment_buffer 1
		.amdhsa_user_sgpr_dispatch_ptr 0
		.amdhsa_user_sgpr_queue_ptr 0
		.amdhsa_user_sgpr_kernarg_segment_ptr 1
		.amdhsa_user_sgpr_dispatch_id 0
		.amdhsa_user_sgpr_flat_scratch_init 0
		.amdhsa_user_sgpr_private_segment_size 0
		.amdhsa_uses_dynamic_stack 0
		.amdhsa_system_sgpr_private_segment_wavefront_offset 0
		.amdhsa_system_sgpr_workgroup_id_x 1
		.amdhsa_system_sgpr_workgroup_id_y 0
		.amdhsa_system_sgpr_workgroup_id_z 0
		.amdhsa_system_sgpr_workgroup_info 0
		.amdhsa_system_vgpr_workitem_id 0
		.amdhsa_next_free_vgpr 4
		.amdhsa_next_free_sgpr 10
		.amdhsa_reserve_vcc 1
		.amdhsa_reserve_flat_scratch 0
		.amdhsa_float_round_mode_32 0
		.amdhsa_float_round_mode_16_64 0
		.amdhsa_float_denorm_mode_32 3
		.amdhsa_float_denorm_mode_16_64 3
		.amdhsa_dx10_clamp 1
		.amdhsa_ieee_mode 1
		.amdhsa_fp16_overflow 0
		.amdhsa_exception_fp_ieee_invalid_op 0
		.amdhsa_exception_fp_denorm_src 0
		.amdhsa_exception_fp_ieee_div_zero 0
		.amdhsa_exception_fp_ieee_overflow 0
		.amdhsa_exception_fp_ieee_underflow 0
		.amdhsa_exception_fp_ieee_inexact 0
		.amdhsa_exception_int_div_zero 0
	.end_amdhsa_kernel
	.section	.text._ZN2at6native29vectorized_elementwise_kernelILi8ENS0_11FillFunctorIN3c1014Float8_e8m0fnuEEESt5arrayIPcLm1EEEEviT0_T1_,"axG",@progbits,_ZN2at6native29vectorized_elementwise_kernelILi8ENS0_11FillFunctorIN3c1014Float8_e8m0fnuEEESt5arrayIPcLm1EEEEviT0_T1_,comdat
.Lfunc_end145:
	.size	_ZN2at6native29vectorized_elementwise_kernelILi8ENS0_11FillFunctorIN3c1014Float8_e8m0fnuEEESt5arrayIPcLm1EEEEviT0_T1_, .Lfunc_end145-_ZN2at6native29vectorized_elementwise_kernelILi8ENS0_11FillFunctorIN3c1014Float8_e8m0fnuEEESt5arrayIPcLm1EEEEviT0_T1_
                                        ; -- End function
	.set _ZN2at6native29vectorized_elementwise_kernelILi8ENS0_11FillFunctorIN3c1014Float8_e8m0fnuEEESt5arrayIPcLm1EEEEviT0_T1_.num_vgpr, 4
	.set _ZN2at6native29vectorized_elementwise_kernelILi8ENS0_11FillFunctorIN3c1014Float8_e8m0fnuEEESt5arrayIPcLm1EEEEviT0_T1_.num_agpr, 0
	.set _ZN2at6native29vectorized_elementwise_kernelILi8ENS0_11FillFunctorIN3c1014Float8_e8m0fnuEEESt5arrayIPcLm1EEEEviT0_T1_.numbered_sgpr, 10
	.set _ZN2at6native29vectorized_elementwise_kernelILi8ENS0_11FillFunctorIN3c1014Float8_e8m0fnuEEESt5arrayIPcLm1EEEEviT0_T1_.num_named_barrier, 0
	.set _ZN2at6native29vectorized_elementwise_kernelILi8ENS0_11FillFunctorIN3c1014Float8_e8m0fnuEEESt5arrayIPcLm1EEEEviT0_T1_.private_seg_size, 0
	.set _ZN2at6native29vectorized_elementwise_kernelILi8ENS0_11FillFunctorIN3c1014Float8_e8m0fnuEEESt5arrayIPcLm1EEEEviT0_T1_.uses_vcc, 1
	.set _ZN2at6native29vectorized_elementwise_kernelILi8ENS0_11FillFunctorIN3c1014Float8_e8m0fnuEEESt5arrayIPcLm1EEEEviT0_T1_.uses_flat_scratch, 0
	.set _ZN2at6native29vectorized_elementwise_kernelILi8ENS0_11FillFunctorIN3c1014Float8_e8m0fnuEEESt5arrayIPcLm1EEEEviT0_T1_.has_dyn_sized_stack, 0
	.set _ZN2at6native29vectorized_elementwise_kernelILi8ENS0_11FillFunctorIN3c1014Float8_e8m0fnuEEESt5arrayIPcLm1EEEEviT0_T1_.has_recursion, 0
	.set _ZN2at6native29vectorized_elementwise_kernelILi8ENS0_11FillFunctorIN3c1014Float8_e8m0fnuEEESt5arrayIPcLm1EEEEviT0_T1_.has_indirect_call, 0
	.section	.AMDGPU.csdata,"",@progbits
; Kernel info:
; codeLenInByte = 984
; TotalNumSgprs: 14
; NumVgprs: 4
; ScratchSize: 0
; MemoryBound: 0
; FloatMode: 240
; IeeeMode: 1
; LDSByteSize: 0 bytes/workgroup (compile time only)
; SGPRBlocks: 1
; VGPRBlocks: 0
; NumSGPRsForWavesPerEU: 14
; NumVGPRsForWavesPerEU: 4
; Occupancy: 10
; WaveLimiterHint : 1
; COMPUTE_PGM_RSRC2:SCRATCH_EN: 0
; COMPUTE_PGM_RSRC2:USER_SGPR: 6
; COMPUTE_PGM_RSRC2:TRAP_HANDLER: 0
; COMPUTE_PGM_RSRC2:TGID_X_EN: 1
; COMPUTE_PGM_RSRC2:TGID_Y_EN: 0
; COMPUTE_PGM_RSRC2:TGID_Z_EN: 0
; COMPUTE_PGM_RSRC2:TIDIG_COMP_CNT: 0
	.section	.text._ZN2at6native29vectorized_elementwise_kernelILi4ENS0_11FillFunctorIN3c1014Float8_e8m0fnuEEESt5arrayIPcLm1EEEEviT0_T1_,"axG",@progbits,_ZN2at6native29vectorized_elementwise_kernelILi4ENS0_11FillFunctorIN3c1014Float8_e8m0fnuEEESt5arrayIPcLm1EEEEviT0_T1_,comdat
	.protected	_ZN2at6native29vectorized_elementwise_kernelILi4ENS0_11FillFunctorIN3c1014Float8_e8m0fnuEEESt5arrayIPcLm1EEEEviT0_T1_ ; -- Begin function _ZN2at6native29vectorized_elementwise_kernelILi4ENS0_11FillFunctorIN3c1014Float8_e8m0fnuEEESt5arrayIPcLm1EEEEviT0_T1_
	.globl	_ZN2at6native29vectorized_elementwise_kernelILi4ENS0_11FillFunctorIN3c1014Float8_e8m0fnuEEESt5arrayIPcLm1EEEEviT0_T1_
	.p2align	8
	.type	_ZN2at6native29vectorized_elementwise_kernelILi4ENS0_11FillFunctorIN3c1014Float8_e8m0fnuEEESt5arrayIPcLm1EEEEviT0_T1_,@function
_ZN2at6native29vectorized_elementwise_kernelILi4ENS0_11FillFunctorIN3c1014Float8_e8m0fnuEEESt5arrayIPcLm1EEEEviT0_T1_: ; @_ZN2at6native29vectorized_elementwise_kernelILi4ENS0_11FillFunctorIN3c1014Float8_e8m0fnuEEESt5arrayIPcLm1EEEEviT0_T1_
; %bb.0:
	s_load_dwordx4 s[0:3], s[4:5], 0x0
	s_lshl_b32 s6, s6, 12
	s_mov_b64 s[4:5], -1
	s_waitcnt lgkmcnt(0)
	s_sub_i32 s0, s0, s6
	s_cmpk_gt_i32 s0, 0xfff
	s_cbranch_scc0 .LBB146_2
; %bb.1:
	s_and_b32 s4, s1, 0xff
	s_ashr_i32 s5, s6, 31
	s_mul_i32 s7, s4, 0x1010101
	s_add_u32 s4, s2, s6
	s_addc_u32 s5, s3, s5
	v_lshlrev_b32_e32 v1, 2, v0
	v_mov_b32_e32 v2, s7
	global_store_dword v1, v2, s[4:5]
	global_store_dword v1, v2, s[4:5] offset:1024
	global_store_dword v1, v2, s[4:5] offset:2048
	;; [unrolled: 1-line block ×3, first 2 shown]
	s_mov_b64 s[4:5], 0
.LBB146_2:
	s_andn2_b64 vcc, exec, s[4:5]
	s_cbranch_vccnz .LBB146_20
; %bb.3:
	v_cmp_gt_i32_e32 vcc, s0, v0
	s_and_saveexec_b64 s[4:5], vcc
	s_cbranch_execnz .LBB146_21
; %bb.4:
	s_or_b64 exec, exec, s[4:5]
	v_cmp_gt_i32_e32 vcc, s0, v0
	s_and_saveexec_b64 s[4:5], vcc
	s_cbranch_execnz .LBB146_22
.LBB146_5:
	s_or_b64 exec, exec, s[4:5]
	v_cmp_gt_i32_e32 vcc, s0, v0
	s_and_saveexec_b64 s[4:5], vcc
	s_cbranch_execnz .LBB146_23
.LBB146_6:
	s_or_b64 exec, exec, s[4:5]
	v_cmp_gt_i32_e32 vcc, s0, v0
	s_and_saveexec_b64 s[4:5], vcc
	s_cbranch_execnz .LBB146_24
.LBB146_7:
	s_or_b64 exec, exec, s[4:5]
	v_cmp_gt_i32_e32 vcc, s0, v0
	s_and_saveexec_b64 s[4:5], vcc
	s_cbranch_execnz .LBB146_25
.LBB146_8:
	s_or_b64 exec, exec, s[4:5]
	v_cmp_gt_i32_e32 vcc, s0, v0
	s_and_saveexec_b64 s[4:5], vcc
	s_cbranch_execnz .LBB146_26
.LBB146_9:
	s_or_b64 exec, exec, s[4:5]
	v_cmp_gt_i32_e32 vcc, s0, v0
	s_and_saveexec_b64 s[4:5], vcc
	s_cbranch_execnz .LBB146_27
.LBB146_10:
	s_or_b64 exec, exec, s[4:5]
	v_cmp_gt_i32_e32 vcc, s0, v0
	s_and_saveexec_b64 s[4:5], vcc
	s_cbranch_execnz .LBB146_28
.LBB146_11:
	s_or_b64 exec, exec, s[4:5]
	v_cmp_gt_i32_e32 vcc, s0, v0
	s_and_saveexec_b64 s[4:5], vcc
	s_cbranch_execnz .LBB146_29
.LBB146_12:
	s_or_b64 exec, exec, s[4:5]
	v_cmp_gt_i32_e32 vcc, s0, v0
	s_and_saveexec_b64 s[4:5], vcc
	s_cbranch_execnz .LBB146_30
.LBB146_13:
	s_or_b64 exec, exec, s[4:5]
	v_cmp_gt_i32_e32 vcc, s0, v0
	s_and_saveexec_b64 s[4:5], vcc
	s_cbranch_execnz .LBB146_31
.LBB146_14:
	s_or_b64 exec, exec, s[4:5]
	v_cmp_gt_i32_e32 vcc, s0, v0
	s_and_saveexec_b64 s[4:5], vcc
	s_cbranch_execnz .LBB146_32
.LBB146_15:
	s_or_b64 exec, exec, s[4:5]
	v_cmp_gt_i32_e32 vcc, s0, v0
	s_and_saveexec_b64 s[4:5], vcc
	s_cbranch_execnz .LBB146_33
.LBB146_16:
	s_or_b64 exec, exec, s[4:5]
	v_cmp_gt_i32_e32 vcc, s0, v0
	s_and_saveexec_b64 s[4:5], vcc
	s_cbranch_execnz .LBB146_34
.LBB146_17:
	s_or_b64 exec, exec, s[4:5]
	v_cmp_gt_i32_e32 vcc, s0, v0
	s_and_saveexec_b64 s[4:5], vcc
	s_cbranch_execnz .LBB146_35
.LBB146_18:
	s_or_b64 exec, exec, s[4:5]
	v_cmp_gt_i32_e32 vcc, s0, v0
	s_and_saveexec_b64 s[4:5], vcc
	s_cbranch_execz .LBB146_20
.LBB146_19:
	v_add_u32_e32 v0, s6, v0
	v_mov_b32_e32 v1, s1
	global_store_byte v0, v1, s[2:3]
.LBB146_20:
	s_endpgm
.LBB146_21:
	v_or_b32_e32 v1, 0x100, v0
	v_or_b32_e32 v0, s6, v0
	v_mov_b32_e32 v2, s1
	global_store_byte v0, v2, s[2:3]
	v_mov_b32_e32 v0, v1
	s_or_b64 exec, exec, s[4:5]
	v_cmp_gt_i32_e32 vcc, s0, v0
	s_and_saveexec_b64 s[4:5], vcc
	s_cbranch_execz .LBB146_5
.LBB146_22:
	v_add_u32_e32 v1, s6, v0
	v_add_u32_e32 v0, 0x100, v0
	v_mov_b32_e32 v2, s1
	global_store_byte v1, v2, s[2:3]
	s_or_b64 exec, exec, s[4:5]
	v_cmp_gt_i32_e32 vcc, s0, v0
	s_and_saveexec_b64 s[4:5], vcc
	s_cbranch_execz .LBB146_6
.LBB146_23:
	v_add_u32_e32 v1, s6, v0
	v_add_u32_e32 v0, 0x100, v0
	v_mov_b32_e32 v2, s1
	global_store_byte v1, v2, s[2:3]
	s_or_b64 exec, exec, s[4:5]
	v_cmp_gt_i32_e32 vcc, s0, v0
	s_and_saveexec_b64 s[4:5], vcc
	s_cbranch_execz .LBB146_7
.LBB146_24:
	v_add_u32_e32 v1, s6, v0
	v_add_u32_e32 v0, 0x100, v0
	v_mov_b32_e32 v2, s1
	global_store_byte v1, v2, s[2:3]
	s_or_b64 exec, exec, s[4:5]
	v_cmp_gt_i32_e32 vcc, s0, v0
	s_and_saveexec_b64 s[4:5], vcc
	s_cbranch_execz .LBB146_8
.LBB146_25:
	v_add_u32_e32 v1, s6, v0
	v_add_u32_e32 v0, 0x100, v0
	v_mov_b32_e32 v2, s1
	global_store_byte v1, v2, s[2:3]
	s_or_b64 exec, exec, s[4:5]
	v_cmp_gt_i32_e32 vcc, s0, v0
	s_and_saveexec_b64 s[4:5], vcc
	s_cbranch_execz .LBB146_9
.LBB146_26:
	v_add_u32_e32 v1, s6, v0
	v_add_u32_e32 v0, 0x100, v0
	v_mov_b32_e32 v2, s1
	global_store_byte v1, v2, s[2:3]
	s_or_b64 exec, exec, s[4:5]
	v_cmp_gt_i32_e32 vcc, s0, v0
	s_and_saveexec_b64 s[4:5], vcc
	s_cbranch_execz .LBB146_10
.LBB146_27:
	v_add_u32_e32 v1, s6, v0
	v_add_u32_e32 v0, 0x100, v0
	v_mov_b32_e32 v2, s1
	global_store_byte v1, v2, s[2:3]
	s_or_b64 exec, exec, s[4:5]
	v_cmp_gt_i32_e32 vcc, s0, v0
	s_and_saveexec_b64 s[4:5], vcc
	s_cbranch_execz .LBB146_11
.LBB146_28:
	v_add_u32_e32 v1, s6, v0
	v_add_u32_e32 v0, 0x100, v0
	v_mov_b32_e32 v2, s1
	global_store_byte v1, v2, s[2:3]
	s_or_b64 exec, exec, s[4:5]
	v_cmp_gt_i32_e32 vcc, s0, v0
	s_and_saveexec_b64 s[4:5], vcc
	s_cbranch_execz .LBB146_12
.LBB146_29:
	v_add_u32_e32 v1, s6, v0
	v_add_u32_e32 v0, 0x100, v0
	v_mov_b32_e32 v2, s1
	global_store_byte v1, v2, s[2:3]
	s_or_b64 exec, exec, s[4:5]
	v_cmp_gt_i32_e32 vcc, s0, v0
	s_and_saveexec_b64 s[4:5], vcc
	s_cbranch_execz .LBB146_13
.LBB146_30:
	v_add_u32_e32 v1, s6, v0
	v_add_u32_e32 v0, 0x100, v0
	v_mov_b32_e32 v2, s1
	global_store_byte v1, v2, s[2:3]
	s_or_b64 exec, exec, s[4:5]
	v_cmp_gt_i32_e32 vcc, s0, v0
	s_and_saveexec_b64 s[4:5], vcc
	s_cbranch_execz .LBB146_14
.LBB146_31:
	v_add_u32_e32 v1, s6, v0
	v_add_u32_e32 v0, 0x100, v0
	v_mov_b32_e32 v2, s1
	global_store_byte v1, v2, s[2:3]
	s_or_b64 exec, exec, s[4:5]
	v_cmp_gt_i32_e32 vcc, s0, v0
	s_and_saveexec_b64 s[4:5], vcc
	s_cbranch_execz .LBB146_15
.LBB146_32:
	v_add_u32_e32 v1, s6, v0
	v_add_u32_e32 v0, 0x100, v0
	v_mov_b32_e32 v2, s1
	global_store_byte v1, v2, s[2:3]
	s_or_b64 exec, exec, s[4:5]
	v_cmp_gt_i32_e32 vcc, s0, v0
	s_and_saveexec_b64 s[4:5], vcc
	s_cbranch_execz .LBB146_16
.LBB146_33:
	v_add_u32_e32 v1, s6, v0
	v_add_u32_e32 v0, 0x100, v0
	v_mov_b32_e32 v2, s1
	global_store_byte v1, v2, s[2:3]
	s_or_b64 exec, exec, s[4:5]
	v_cmp_gt_i32_e32 vcc, s0, v0
	s_and_saveexec_b64 s[4:5], vcc
	s_cbranch_execz .LBB146_17
.LBB146_34:
	v_add_u32_e32 v1, s6, v0
	v_add_u32_e32 v0, 0x100, v0
	v_mov_b32_e32 v2, s1
	global_store_byte v1, v2, s[2:3]
	s_or_b64 exec, exec, s[4:5]
	v_cmp_gt_i32_e32 vcc, s0, v0
	s_and_saveexec_b64 s[4:5], vcc
	s_cbranch_execz .LBB146_18
.LBB146_35:
	v_add_u32_e32 v1, s6, v0
	v_add_u32_e32 v0, 0x100, v0
	v_mov_b32_e32 v2, s1
	global_store_byte v1, v2, s[2:3]
	s_or_b64 exec, exec, s[4:5]
	v_cmp_gt_i32_e32 vcc, s0, v0
	s_and_saveexec_b64 s[4:5], vcc
	s_cbranch_execnz .LBB146_19
	s_branch .LBB146_20
	.section	.rodata,"a",@progbits
	.p2align	6, 0x0
	.amdhsa_kernel _ZN2at6native29vectorized_elementwise_kernelILi4ENS0_11FillFunctorIN3c1014Float8_e8m0fnuEEESt5arrayIPcLm1EEEEviT0_T1_
		.amdhsa_group_segment_fixed_size 0
		.amdhsa_private_segment_fixed_size 0
		.amdhsa_kernarg_size 16
		.amdhsa_user_sgpr_count 6
		.amdhsa_user_sgpr_private_segment_buffer 1
		.amdhsa_user_sgpr_dispatch_ptr 0
		.amdhsa_user_sgpr_queue_ptr 0
		.amdhsa_user_sgpr_kernarg_segment_ptr 1
		.amdhsa_user_sgpr_dispatch_id 0
		.amdhsa_user_sgpr_flat_scratch_init 0
		.amdhsa_user_sgpr_private_segment_size 0
		.amdhsa_uses_dynamic_stack 0
		.amdhsa_system_sgpr_private_segment_wavefront_offset 0
		.amdhsa_system_sgpr_workgroup_id_x 1
		.amdhsa_system_sgpr_workgroup_id_y 0
		.amdhsa_system_sgpr_workgroup_id_z 0
		.amdhsa_system_sgpr_workgroup_info 0
		.amdhsa_system_vgpr_workitem_id 0
		.amdhsa_next_free_vgpr 3
		.amdhsa_next_free_sgpr 8
		.amdhsa_reserve_vcc 1
		.amdhsa_reserve_flat_scratch 0
		.amdhsa_float_round_mode_32 0
		.amdhsa_float_round_mode_16_64 0
		.amdhsa_float_denorm_mode_32 3
		.amdhsa_float_denorm_mode_16_64 3
		.amdhsa_dx10_clamp 1
		.amdhsa_ieee_mode 1
		.amdhsa_fp16_overflow 0
		.amdhsa_exception_fp_ieee_invalid_op 0
		.amdhsa_exception_fp_denorm_src 0
		.amdhsa_exception_fp_ieee_div_zero 0
		.amdhsa_exception_fp_ieee_overflow 0
		.amdhsa_exception_fp_ieee_underflow 0
		.amdhsa_exception_fp_ieee_inexact 0
		.amdhsa_exception_int_div_zero 0
	.end_amdhsa_kernel
	.section	.text._ZN2at6native29vectorized_elementwise_kernelILi4ENS0_11FillFunctorIN3c1014Float8_e8m0fnuEEESt5arrayIPcLm1EEEEviT0_T1_,"axG",@progbits,_ZN2at6native29vectorized_elementwise_kernelILi4ENS0_11FillFunctorIN3c1014Float8_e8m0fnuEEESt5arrayIPcLm1EEEEviT0_T1_,comdat
.Lfunc_end146:
	.size	_ZN2at6native29vectorized_elementwise_kernelILi4ENS0_11FillFunctorIN3c1014Float8_e8m0fnuEEESt5arrayIPcLm1EEEEviT0_T1_, .Lfunc_end146-_ZN2at6native29vectorized_elementwise_kernelILi4ENS0_11FillFunctorIN3c1014Float8_e8m0fnuEEESt5arrayIPcLm1EEEEviT0_T1_
                                        ; -- End function
	.set _ZN2at6native29vectorized_elementwise_kernelILi4ENS0_11FillFunctorIN3c1014Float8_e8m0fnuEEESt5arrayIPcLm1EEEEviT0_T1_.num_vgpr, 3
	.set _ZN2at6native29vectorized_elementwise_kernelILi4ENS0_11FillFunctorIN3c1014Float8_e8m0fnuEEESt5arrayIPcLm1EEEEviT0_T1_.num_agpr, 0
	.set _ZN2at6native29vectorized_elementwise_kernelILi4ENS0_11FillFunctorIN3c1014Float8_e8m0fnuEEESt5arrayIPcLm1EEEEviT0_T1_.numbered_sgpr, 8
	.set _ZN2at6native29vectorized_elementwise_kernelILi4ENS0_11FillFunctorIN3c1014Float8_e8m0fnuEEESt5arrayIPcLm1EEEEviT0_T1_.num_named_barrier, 0
	.set _ZN2at6native29vectorized_elementwise_kernelILi4ENS0_11FillFunctorIN3c1014Float8_e8m0fnuEEESt5arrayIPcLm1EEEEviT0_T1_.private_seg_size, 0
	.set _ZN2at6native29vectorized_elementwise_kernelILi4ENS0_11FillFunctorIN3c1014Float8_e8m0fnuEEESt5arrayIPcLm1EEEEviT0_T1_.uses_vcc, 1
	.set _ZN2at6native29vectorized_elementwise_kernelILi4ENS0_11FillFunctorIN3c1014Float8_e8m0fnuEEESt5arrayIPcLm1EEEEviT0_T1_.uses_flat_scratch, 0
	.set _ZN2at6native29vectorized_elementwise_kernelILi4ENS0_11FillFunctorIN3c1014Float8_e8m0fnuEEESt5arrayIPcLm1EEEEviT0_T1_.has_dyn_sized_stack, 0
	.set _ZN2at6native29vectorized_elementwise_kernelILi4ENS0_11FillFunctorIN3c1014Float8_e8m0fnuEEESt5arrayIPcLm1EEEEviT0_T1_.has_recursion, 0
	.set _ZN2at6native29vectorized_elementwise_kernelILi4ENS0_11FillFunctorIN3c1014Float8_e8m0fnuEEESt5arrayIPcLm1EEEEviT0_T1_.has_indirect_call, 0
	.section	.AMDGPU.csdata,"",@progbits
; Kernel info:
; codeLenInByte = 992
; TotalNumSgprs: 12
; NumVgprs: 3
; ScratchSize: 0
; MemoryBound: 0
; FloatMode: 240
; IeeeMode: 1
; LDSByteSize: 0 bytes/workgroup (compile time only)
; SGPRBlocks: 1
; VGPRBlocks: 0
; NumSGPRsForWavesPerEU: 12
; NumVGPRsForWavesPerEU: 3
; Occupancy: 10
; WaveLimiterHint : 1
; COMPUTE_PGM_RSRC2:SCRATCH_EN: 0
; COMPUTE_PGM_RSRC2:USER_SGPR: 6
; COMPUTE_PGM_RSRC2:TRAP_HANDLER: 0
; COMPUTE_PGM_RSRC2:TGID_X_EN: 1
; COMPUTE_PGM_RSRC2:TGID_Y_EN: 0
; COMPUTE_PGM_RSRC2:TGID_Z_EN: 0
; COMPUTE_PGM_RSRC2:TIDIG_COMP_CNT: 0
	.section	.text._ZN2at6native29vectorized_elementwise_kernelILi2ENS0_11FillFunctorIN3c1014Float8_e8m0fnuEEESt5arrayIPcLm1EEEEviT0_T1_,"axG",@progbits,_ZN2at6native29vectorized_elementwise_kernelILi2ENS0_11FillFunctorIN3c1014Float8_e8m0fnuEEESt5arrayIPcLm1EEEEviT0_T1_,comdat
	.protected	_ZN2at6native29vectorized_elementwise_kernelILi2ENS0_11FillFunctorIN3c1014Float8_e8m0fnuEEESt5arrayIPcLm1EEEEviT0_T1_ ; -- Begin function _ZN2at6native29vectorized_elementwise_kernelILi2ENS0_11FillFunctorIN3c1014Float8_e8m0fnuEEESt5arrayIPcLm1EEEEviT0_T1_
	.globl	_ZN2at6native29vectorized_elementwise_kernelILi2ENS0_11FillFunctorIN3c1014Float8_e8m0fnuEEESt5arrayIPcLm1EEEEviT0_T1_
	.p2align	8
	.type	_ZN2at6native29vectorized_elementwise_kernelILi2ENS0_11FillFunctorIN3c1014Float8_e8m0fnuEEESt5arrayIPcLm1EEEEviT0_T1_,@function
_ZN2at6native29vectorized_elementwise_kernelILi2ENS0_11FillFunctorIN3c1014Float8_e8m0fnuEEESt5arrayIPcLm1EEEEviT0_T1_: ; @_ZN2at6native29vectorized_elementwise_kernelILi2ENS0_11FillFunctorIN3c1014Float8_e8m0fnuEEESt5arrayIPcLm1EEEEviT0_T1_
; %bb.0:
	s_load_dwordx4 s[0:3], s[4:5], 0x0
	s_lshl_b32 s6, s6, 12
	s_mov_b64 s[4:5], -1
	s_waitcnt lgkmcnt(0)
	s_sub_i32 s0, s0, s6
	s_cmpk_gt_i32 s0, 0xfff
	s_cbranch_scc0 .LBB147_2
; %bb.1:
	s_and_b32 s4, s1, 0xff
	s_ashr_i32 s5, s6, 31
	s_mul_i32 s7, s4, 0x101
	s_add_u32 s4, s2, s6
	s_addc_u32 s5, s3, s5
	v_lshlrev_b32_e32 v1, 1, v0
	v_mov_b32_e32 v2, s7
	global_store_short v1, v2, s[4:5]
	global_store_short v1, v2, s[4:5] offset:512
	global_store_short v1, v2, s[4:5] offset:1024
	;; [unrolled: 1-line block ×7, first 2 shown]
	s_mov_b64 s[4:5], 0
.LBB147_2:
	s_andn2_b64 vcc, exec, s[4:5]
	s_cbranch_vccnz .LBB147_20
; %bb.3:
	v_cmp_gt_i32_e32 vcc, s0, v0
	s_and_saveexec_b64 s[4:5], vcc
	s_cbranch_execnz .LBB147_21
; %bb.4:
	s_or_b64 exec, exec, s[4:5]
	v_cmp_gt_i32_e32 vcc, s0, v0
	s_and_saveexec_b64 s[4:5], vcc
	s_cbranch_execnz .LBB147_22
.LBB147_5:
	s_or_b64 exec, exec, s[4:5]
	v_cmp_gt_i32_e32 vcc, s0, v0
	s_and_saveexec_b64 s[4:5], vcc
	s_cbranch_execnz .LBB147_23
.LBB147_6:
	s_or_b64 exec, exec, s[4:5]
	v_cmp_gt_i32_e32 vcc, s0, v0
	s_and_saveexec_b64 s[4:5], vcc
	s_cbranch_execnz .LBB147_24
.LBB147_7:
	s_or_b64 exec, exec, s[4:5]
	v_cmp_gt_i32_e32 vcc, s0, v0
	s_and_saveexec_b64 s[4:5], vcc
	s_cbranch_execnz .LBB147_25
.LBB147_8:
	s_or_b64 exec, exec, s[4:5]
	v_cmp_gt_i32_e32 vcc, s0, v0
	s_and_saveexec_b64 s[4:5], vcc
	s_cbranch_execnz .LBB147_26
.LBB147_9:
	s_or_b64 exec, exec, s[4:5]
	v_cmp_gt_i32_e32 vcc, s0, v0
	s_and_saveexec_b64 s[4:5], vcc
	s_cbranch_execnz .LBB147_27
.LBB147_10:
	s_or_b64 exec, exec, s[4:5]
	v_cmp_gt_i32_e32 vcc, s0, v0
	s_and_saveexec_b64 s[4:5], vcc
	s_cbranch_execnz .LBB147_28
.LBB147_11:
	s_or_b64 exec, exec, s[4:5]
	v_cmp_gt_i32_e32 vcc, s0, v0
	s_and_saveexec_b64 s[4:5], vcc
	s_cbranch_execnz .LBB147_29
.LBB147_12:
	s_or_b64 exec, exec, s[4:5]
	v_cmp_gt_i32_e32 vcc, s0, v0
	s_and_saveexec_b64 s[4:5], vcc
	s_cbranch_execnz .LBB147_30
.LBB147_13:
	s_or_b64 exec, exec, s[4:5]
	v_cmp_gt_i32_e32 vcc, s0, v0
	s_and_saveexec_b64 s[4:5], vcc
	s_cbranch_execnz .LBB147_31
.LBB147_14:
	s_or_b64 exec, exec, s[4:5]
	v_cmp_gt_i32_e32 vcc, s0, v0
	s_and_saveexec_b64 s[4:5], vcc
	s_cbranch_execnz .LBB147_32
.LBB147_15:
	s_or_b64 exec, exec, s[4:5]
	v_cmp_gt_i32_e32 vcc, s0, v0
	s_and_saveexec_b64 s[4:5], vcc
	s_cbranch_execnz .LBB147_33
.LBB147_16:
	s_or_b64 exec, exec, s[4:5]
	v_cmp_gt_i32_e32 vcc, s0, v0
	s_and_saveexec_b64 s[4:5], vcc
	s_cbranch_execnz .LBB147_34
.LBB147_17:
	s_or_b64 exec, exec, s[4:5]
	v_cmp_gt_i32_e32 vcc, s0, v0
	s_and_saveexec_b64 s[4:5], vcc
	s_cbranch_execnz .LBB147_35
.LBB147_18:
	s_or_b64 exec, exec, s[4:5]
	v_cmp_gt_i32_e32 vcc, s0, v0
	s_and_saveexec_b64 s[4:5], vcc
	s_cbranch_execz .LBB147_20
.LBB147_19:
	v_add_u32_e32 v0, s6, v0
	v_mov_b32_e32 v1, s1
	global_store_byte v0, v1, s[2:3]
.LBB147_20:
	s_endpgm
.LBB147_21:
	v_or_b32_e32 v1, 0x100, v0
	v_or_b32_e32 v0, s6, v0
	v_mov_b32_e32 v2, s1
	global_store_byte v0, v2, s[2:3]
	v_mov_b32_e32 v0, v1
	s_or_b64 exec, exec, s[4:5]
	v_cmp_gt_i32_e32 vcc, s0, v0
	s_and_saveexec_b64 s[4:5], vcc
	s_cbranch_execz .LBB147_5
.LBB147_22:
	v_add_u32_e32 v1, s6, v0
	v_add_u32_e32 v0, 0x100, v0
	v_mov_b32_e32 v2, s1
	global_store_byte v1, v2, s[2:3]
	s_or_b64 exec, exec, s[4:5]
	v_cmp_gt_i32_e32 vcc, s0, v0
	s_and_saveexec_b64 s[4:5], vcc
	s_cbranch_execz .LBB147_6
.LBB147_23:
	v_add_u32_e32 v1, s6, v0
	v_add_u32_e32 v0, 0x100, v0
	v_mov_b32_e32 v2, s1
	global_store_byte v1, v2, s[2:3]
	s_or_b64 exec, exec, s[4:5]
	v_cmp_gt_i32_e32 vcc, s0, v0
	s_and_saveexec_b64 s[4:5], vcc
	s_cbranch_execz .LBB147_7
.LBB147_24:
	v_add_u32_e32 v1, s6, v0
	v_add_u32_e32 v0, 0x100, v0
	v_mov_b32_e32 v2, s1
	global_store_byte v1, v2, s[2:3]
	s_or_b64 exec, exec, s[4:5]
	v_cmp_gt_i32_e32 vcc, s0, v0
	s_and_saveexec_b64 s[4:5], vcc
	s_cbranch_execz .LBB147_8
.LBB147_25:
	v_add_u32_e32 v1, s6, v0
	v_add_u32_e32 v0, 0x100, v0
	v_mov_b32_e32 v2, s1
	global_store_byte v1, v2, s[2:3]
	s_or_b64 exec, exec, s[4:5]
	v_cmp_gt_i32_e32 vcc, s0, v0
	s_and_saveexec_b64 s[4:5], vcc
	s_cbranch_execz .LBB147_9
.LBB147_26:
	v_add_u32_e32 v1, s6, v0
	v_add_u32_e32 v0, 0x100, v0
	v_mov_b32_e32 v2, s1
	global_store_byte v1, v2, s[2:3]
	s_or_b64 exec, exec, s[4:5]
	v_cmp_gt_i32_e32 vcc, s0, v0
	s_and_saveexec_b64 s[4:5], vcc
	s_cbranch_execz .LBB147_10
.LBB147_27:
	v_add_u32_e32 v1, s6, v0
	v_add_u32_e32 v0, 0x100, v0
	v_mov_b32_e32 v2, s1
	global_store_byte v1, v2, s[2:3]
	s_or_b64 exec, exec, s[4:5]
	v_cmp_gt_i32_e32 vcc, s0, v0
	s_and_saveexec_b64 s[4:5], vcc
	s_cbranch_execz .LBB147_11
.LBB147_28:
	v_add_u32_e32 v1, s6, v0
	v_add_u32_e32 v0, 0x100, v0
	v_mov_b32_e32 v2, s1
	global_store_byte v1, v2, s[2:3]
	s_or_b64 exec, exec, s[4:5]
	v_cmp_gt_i32_e32 vcc, s0, v0
	s_and_saveexec_b64 s[4:5], vcc
	s_cbranch_execz .LBB147_12
.LBB147_29:
	v_add_u32_e32 v1, s6, v0
	v_add_u32_e32 v0, 0x100, v0
	v_mov_b32_e32 v2, s1
	global_store_byte v1, v2, s[2:3]
	s_or_b64 exec, exec, s[4:5]
	v_cmp_gt_i32_e32 vcc, s0, v0
	s_and_saveexec_b64 s[4:5], vcc
	s_cbranch_execz .LBB147_13
.LBB147_30:
	v_add_u32_e32 v1, s6, v0
	v_add_u32_e32 v0, 0x100, v0
	v_mov_b32_e32 v2, s1
	global_store_byte v1, v2, s[2:3]
	s_or_b64 exec, exec, s[4:5]
	v_cmp_gt_i32_e32 vcc, s0, v0
	s_and_saveexec_b64 s[4:5], vcc
	s_cbranch_execz .LBB147_14
.LBB147_31:
	v_add_u32_e32 v1, s6, v0
	v_add_u32_e32 v0, 0x100, v0
	v_mov_b32_e32 v2, s1
	global_store_byte v1, v2, s[2:3]
	s_or_b64 exec, exec, s[4:5]
	v_cmp_gt_i32_e32 vcc, s0, v0
	s_and_saveexec_b64 s[4:5], vcc
	s_cbranch_execz .LBB147_15
.LBB147_32:
	v_add_u32_e32 v1, s6, v0
	v_add_u32_e32 v0, 0x100, v0
	v_mov_b32_e32 v2, s1
	global_store_byte v1, v2, s[2:3]
	s_or_b64 exec, exec, s[4:5]
	v_cmp_gt_i32_e32 vcc, s0, v0
	s_and_saveexec_b64 s[4:5], vcc
	s_cbranch_execz .LBB147_16
.LBB147_33:
	v_add_u32_e32 v1, s6, v0
	v_add_u32_e32 v0, 0x100, v0
	v_mov_b32_e32 v2, s1
	global_store_byte v1, v2, s[2:3]
	s_or_b64 exec, exec, s[4:5]
	v_cmp_gt_i32_e32 vcc, s0, v0
	s_and_saveexec_b64 s[4:5], vcc
	s_cbranch_execz .LBB147_17
.LBB147_34:
	v_add_u32_e32 v1, s6, v0
	v_add_u32_e32 v0, 0x100, v0
	v_mov_b32_e32 v2, s1
	global_store_byte v1, v2, s[2:3]
	s_or_b64 exec, exec, s[4:5]
	v_cmp_gt_i32_e32 vcc, s0, v0
	s_and_saveexec_b64 s[4:5], vcc
	s_cbranch_execz .LBB147_18
.LBB147_35:
	v_add_u32_e32 v1, s6, v0
	v_add_u32_e32 v0, 0x100, v0
	v_mov_b32_e32 v2, s1
	global_store_byte v1, v2, s[2:3]
	s_or_b64 exec, exec, s[4:5]
	v_cmp_gt_i32_e32 vcc, s0, v0
	s_and_saveexec_b64 s[4:5], vcc
	s_cbranch_execnz .LBB147_19
	s_branch .LBB147_20
	.section	.rodata,"a",@progbits
	.p2align	6, 0x0
	.amdhsa_kernel _ZN2at6native29vectorized_elementwise_kernelILi2ENS0_11FillFunctorIN3c1014Float8_e8m0fnuEEESt5arrayIPcLm1EEEEviT0_T1_
		.amdhsa_group_segment_fixed_size 0
		.amdhsa_private_segment_fixed_size 0
		.amdhsa_kernarg_size 16
		.amdhsa_user_sgpr_count 6
		.amdhsa_user_sgpr_private_segment_buffer 1
		.amdhsa_user_sgpr_dispatch_ptr 0
		.amdhsa_user_sgpr_queue_ptr 0
		.amdhsa_user_sgpr_kernarg_segment_ptr 1
		.amdhsa_user_sgpr_dispatch_id 0
		.amdhsa_user_sgpr_flat_scratch_init 0
		.amdhsa_user_sgpr_private_segment_size 0
		.amdhsa_uses_dynamic_stack 0
		.amdhsa_system_sgpr_private_segment_wavefront_offset 0
		.amdhsa_system_sgpr_workgroup_id_x 1
		.amdhsa_system_sgpr_workgroup_id_y 0
		.amdhsa_system_sgpr_workgroup_id_z 0
		.amdhsa_system_sgpr_workgroup_info 0
		.amdhsa_system_vgpr_workitem_id 0
		.amdhsa_next_free_vgpr 3
		.amdhsa_next_free_sgpr 8
		.amdhsa_reserve_vcc 1
		.amdhsa_reserve_flat_scratch 0
		.amdhsa_float_round_mode_32 0
		.amdhsa_float_round_mode_16_64 0
		.amdhsa_float_denorm_mode_32 3
		.amdhsa_float_denorm_mode_16_64 3
		.amdhsa_dx10_clamp 1
		.amdhsa_ieee_mode 1
		.amdhsa_fp16_overflow 0
		.amdhsa_exception_fp_ieee_invalid_op 0
		.amdhsa_exception_fp_denorm_src 0
		.amdhsa_exception_fp_ieee_div_zero 0
		.amdhsa_exception_fp_ieee_overflow 0
		.amdhsa_exception_fp_ieee_underflow 0
		.amdhsa_exception_fp_ieee_inexact 0
		.amdhsa_exception_int_div_zero 0
	.end_amdhsa_kernel
	.section	.text._ZN2at6native29vectorized_elementwise_kernelILi2ENS0_11FillFunctorIN3c1014Float8_e8m0fnuEEESt5arrayIPcLm1EEEEviT0_T1_,"axG",@progbits,_ZN2at6native29vectorized_elementwise_kernelILi2ENS0_11FillFunctorIN3c1014Float8_e8m0fnuEEESt5arrayIPcLm1EEEEviT0_T1_,comdat
.Lfunc_end147:
	.size	_ZN2at6native29vectorized_elementwise_kernelILi2ENS0_11FillFunctorIN3c1014Float8_e8m0fnuEEESt5arrayIPcLm1EEEEviT0_T1_, .Lfunc_end147-_ZN2at6native29vectorized_elementwise_kernelILi2ENS0_11FillFunctorIN3c1014Float8_e8m0fnuEEESt5arrayIPcLm1EEEEviT0_T1_
                                        ; -- End function
	.set _ZN2at6native29vectorized_elementwise_kernelILi2ENS0_11FillFunctorIN3c1014Float8_e8m0fnuEEESt5arrayIPcLm1EEEEviT0_T1_.num_vgpr, 3
	.set _ZN2at6native29vectorized_elementwise_kernelILi2ENS0_11FillFunctorIN3c1014Float8_e8m0fnuEEESt5arrayIPcLm1EEEEviT0_T1_.num_agpr, 0
	.set _ZN2at6native29vectorized_elementwise_kernelILi2ENS0_11FillFunctorIN3c1014Float8_e8m0fnuEEESt5arrayIPcLm1EEEEviT0_T1_.numbered_sgpr, 8
	.set _ZN2at6native29vectorized_elementwise_kernelILi2ENS0_11FillFunctorIN3c1014Float8_e8m0fnuEEESt5arrayIPcLm1EEEEviT0_T1_.num_named_barrier, 0
	.set _ZN2at6native29vectorized_elementwise_kernelILi2ENS0_11FillFunctorIN3c1014Float8_e8m0fnuEEESt5arrayIPcLm1EEEEviT0_T1_.private_seg_size, 0
	.set _ZN2at6native29vectorized_elementwise_kernelILi2ENS0_11FillFunctorIN3c1014Float8_e8m0fnuEEESt5arrayIPcLm1EEEEviT0_T1_.uses_vcc, 1
	.set _ZN2at6native29vectorized_elementwise_kernelILi2ENS0_11FillFunctorIN3c1014Float8_e8m0fnuEEESt5arrayIPcLm1EEEEviT0_T1_.uses_flat_scratch, 0
	.set _ZN2at6native29vectorized_elementwise_kernelILi2ENS0_11FillFunctorIN3c1014Float8_e8m0fnuEEESt5arrayIPcLm1EEEEviT0_T1_.has_dyn_sized_stack, 0
	.set _ZN2at6native29vectorized_elementwise_kernelILi2ENS0_11FillFunctorIN3c1014Float8_e8m0fnuEEESt5arrayIPcLm1EEEEviT0_T1_.has_recursion, 0
	.set _ZN2at6native29vectorized_elementwise_kernelILi2ENS0_11FillFunctorIN3c1014Float8_e8m0fnuEEESt5arrayIPcLm1EEEEviT0_T1_.has_indirect_call, 0
	.section	.AMDGPU.csdata,"",@progbits
; Kernel info:
; codeLenInByte = 1024
; TotalNumSgprs: 12
; NumVgprs: 3
; ScratchSize: 0
; MemoryBound: 0
; FloatMode: 240
; IeeeMode: 1
; LDSByteSize: 0 bytes/workgroup (compile time only)
; SGPRBlocks: 1
; VGPRBlocks: 0
; NumSGPRsForWavesPerEU: 12
; NumVGPRsForWavesPerEU: 3
; Occupancy: 10
; WaveLimiterHint : 1
; COMPUTE_PGM_RSRC2:SCRATCH_EN: 0
; COMPUTE_PGM_RSRC2:USER_SGPR: 6
; COMPUTE_PGM_RSRC2:TRAP_HANDLER: 0
; COMPUTE_PGM_RSRC2:TGID_X_EN: 1
; COMPUTE_PGM_RSRC2:TGID_Y_EN: 0
; COMPUTE_PGM_RSRC2:TGID_Z_EN: 0
; COMPUTE_PGM_RSRC2:TIDIG_COMP_CNT: 0
	.section	.text._ZN2at6native27unrolled_elementwise_kernelINS0_11FillFunctorIN3c1014Float8_e8m0fnuEEESt5arrayIPcLm1EELi4E23TrivialOffsetCalculatorILi0EjES9_ILi1EjENS0_6memory15LoadWithoutCastENSC_16StoreWithoutCastEEEviT_T0_T2_T3_T4_T5_,"axG",@progbits,_ZN2at6native27unrolled_elementwise_kernelINS0_11FillFunctorIN3c1014Float8_e8m0fnuEEESt5arrayIPcLm1EELi4E23TrivialOffsetCalculatorILi0EjES9_ILi1EjENS0_6memory15LoadWithoutCastENSC_16StoreWithoutCastEEEviT_T0_T2_T3_T4_T5_,comdat
	.protected	_ZN2at6native27unrolled_elementwise_kernelINS0_11FillFunctorIN3c1014Float8_e8m0fnuEEESt5arrayIPcLm1EELi4E23TrivialOffsetCalculatorILi0EjES9_ILi1EjENS0_6memory15LoadWithoutCastENSC_16StoreWithoutCastEEEviT_T0_T2_T3_T4_T5_ ; -- Begin function _ZN2at6native27unrolled_elementwise_kernelINS0_11FillFunctorIN3c1014Float8_e8m0fnuEEESt5arrayIPcLm1EELi4E23TrivialOffsetCalculatorILi0EjES9_ILi1EjENS0_6memory15LoadWithoutCastENSC_16StoreWithoutCastEEEviT_T0_T2_T3_T4_T5_
	.globl	_ZN2at6native27unrolled_elementwise_kernelINS0_11FillFunctorIN3c1014Float8_e8m0fnuEEESt5arrayIPcLm1EELi4E23TrivialOffsetCalculatorILi0EjES9_ILi1EjENS0_6memory15LoadWithoutCastENSC_16StoreWithoutCastEEEviT_T0_T2_T3_T4_T5_
	.p2align	8
	.type	_ZN2at6native27unrolled_elementwise_kernelINS0_11FillFunctorIN3c1014Float8_e8m0fnuEEESt5arrayIPcLm1EELi4E23TrivialOffsetCalculatorILi0EjES9_ILi1EjENS0_6memory15LoadWithoutCastENSC_16StoreWithoutCastEEEviT_T0_T2_T3_T4_T5_,@function
_ZN2at6native27unrolled_elementwise_kernelINS0_11FillFunctorIN3c1014Float8_e8m0fnuEEESt5arrayIPcLm1EELi4E23TrivialOffsetCalculatorILi0EjES9_ILi1EjENS0_6memory15LoadWithoutCastENSC_16StoreWithoutCastEEEviT_T0_T2_T3_T4_T5_: ; @_ZN2at6native27unrolled_elementwise_kernelINS0_11FillFunctorIN3c1014Float8_e8m0fnuEEESt5arrayIPcLm1EELi4E23TrivialOffsetCalculatorILi0EjES9_ILi1EjENS0_6memory15LoadWithoutCastENSC_16StoreWithoutCastEEEviT_T0_T2_T3_T4_T5_
; %bb.0:
	s_load_dwordx4 s[0:3], s[4:5], 0x0
	s_lshl_b32 s6, s6, 10
	s_waitcnt lgkmcnt(0)
	s_sub_i32 s0, s0, s6
	v_cmp_gt_i32_e32 vcc, s0, v0
	s_and_saveexec_b64 s[4:5], vcc
	s_cbranch_execnz .LBB148_5
; %bb.1:
	s_or_b64 exec, exec, s[4:5]
	v_cmp_gt_i32_e32 vcc, s0, v0
	s_and_saveexec_b64 s[4:5], vcc
	s_cbranch_execnz .LBB148_6
.LBB148_2:
	s_or_b64 exec, exec, s[4:5]
	v_cmp_gt_i32_e32 vcc, s0, v0
	s_and_saveexec_b64 s[4:5], vcc
	s_cbranch_execnz .LBB148_7
.LBB148_3:
	s_or_b64 exec, exec, s[4:5]
	v_cmp_gt_i32_e32 vcc, s0, v0
	s_and_saveexec_b64 s[4:5], vcc
	s_cbranch_execnz .LBB148_8
.LBB148_4:
	s_endpgm
.LBB148_5:
	v_or_b32_e32 v1, s6, v0
	v_or_b32_e32 v0, 0x100, v0
	v_mov_b32_e32 v2, s1
	global_store_byte v1, v2, s[2:3]
	s_or_b64 exec, exec, s[4:5]
	v_cmp_gt_i32_e32 vcc, s0, v0
	s_and_saveexec_b64 s[4:5], vcc
	s_cbranch_execz .LBB148_2
.LBB148_6:
	v_add_u32_e32 v1, 0x100, v0
	v_add_u32_e32 v0, s6, v0
	v_mov_b32_e32 v2, s1
	global_store_byte v0, v2, s[2:3]
	v_mov_b32_e32 v0, v1
	s_or_b64 exec, exec, s[4:5]
	v_cmp_gt_i32_e32 vcc, s0, v0
	s_and_saveexec_b64 s[4:5], vcc
	s_cbranch_execz .LBB148_3
.LBB148_7:
	v_add_u32_e32 v1, 0x100, v0
	v_add_u32_e32 v0, s6, v0
	v_mov_b32_e32 v2, s1
	global_store_byte v0, v2, s[2:3]
	v_mov_b32_e32 v0, v1
	s_or_b64 exec, exec, s[4:5]
	v_cmp_gt_i32_e32 vcc, s0, v0
	s_and_saveexec_b64 s[4:5], vcc
	s_cbranch_execz .LBB148_4
.LBB148_8:
	v_add_u32_e32 v0, s6, v0
	v_mov_b32_e32 v1, s1
	global_store_byte v0, v1, s[2:3]
	s_endpgm
	.section	.rodata,"a",@progbits
	.p2align	6, 0x0
	.amdhsa_kernel _ZN2at6native27unrolled_elementwise_kernelINS0_11FillFunctorIN3c1014Float8_e8m0fnuEEESt5arrayIPcLm1EELi4E23TrivialOffsetCalculatorILi0EjES9_ILi1EjENS0_6memory15LoadWithoutCastENSC_16StoreWithoutCastEEEviT_T0_T2_T3_T4_T5_
		.amdhsa_group_segment_fixed_size 0
		.amdhsa_private_segment_fixed_size 0
		.amdhsa_kernarg_size 20
		.amdhsa_user_sgpr_count 6
		.amdhsa_user_sgpr_private_segment_buffer 1
		.amdhsa_user_sgpr_dispatch_ptr 0
		.amdhsa_user_sgpr_queue_ptr 0
		.amdhsa_user_sgpr_kernarg_segment_ptr 1
		.amdhsa_user_sgpr_dispatch_id 0
		.amdhsa_user_sgpr_flat_scratch_init 0
		.amdhsa_user_sgpr_private_segment_size 0
		.amdhsa_uses_dynamic_stack 0
		.amdhsa_system_sgpr_private_segment_wavefront_offset 0
		.amdhsa_system_sgpr_workgroup_id_x 1
		.amdhsa_system_sgpr_workgroup_id_y 0
		.amdhsa_system_sgpr_workgroup_id_z 0
		.amdhsa_system_sgpr_workgroup_info 0
		.amdhsa_system_vgpr_workitem_id 0
		.amdhsa_next_free_vgpr 3
		.amdhsa_next_free_sgpr 7
		.amdhsa_reserve_vcc 1
		.amdhsa_reserve_flat_scratch 0
		.amdhsa_float_round_mode_32 0
		.amdhsa_float_round_mode_16_64 0
		.amdhsa_float_denorm_mode_32 3
		.amdhsa_float_denorm_mode_16_64 3
		.amdhsa_dx10_clamp 1
		.amdhsa_ieee_mode 1
		.amdhsa_fp16_overflow 0
		.amdhsa_exception_fp_ieee_invalid_op 0
		.amdhsa_exception_fp_denorm_src 0
		.amdhsa_exception_fp_ieee_div_zero 0
		.amdhsa_exception_fp_ieee_overflow 0
		.amdhsa_exception_fp_ieee_underflow 0
		.amdhsa_exception_fp_ieee_inexact 0
		.amdhsa_exception_int_div_zero 0
	.end_amdhsa_kernel
	.section	.text._ZN2at6native27unrolled_elementwise_kernelINS0_11FillFunctorIN3c1014Float8_e8m0fnuEEESt5arrayIPcLm1EELi4E23TrivialOffsetCalculatorILi0EjES9_ILi1EjENS0_6memory15LoadWithoutCastENSC_16StoreWithoutCastEEEviT_T0_T2_T3_T4_T5_,"axG",@progbits,_ZN2at6native27unrolled_elementwise_kernelINS0_11FillFunctorIN3c1014Float8_e8m0fnuEEESt5arrayIPcLm1EELi4E23TrivialOffsetCalculatorILi0EjES9_ILi1EjENS0_6memory15LoadWithoutCastENSC_16StoreWithoutCastEEEviT_T0_T2_T3_T4_T5_,comdat
.Lfunc_end148:
	.size	_ZN2at6native27unrolled_elementwise_kernelINS0_11FillFunctorIN3c1014Float8_e8m0fnuEEESt5arrayIPcLm1EELi4E23TrivialOffsetCalculatorILi0EjES9_ILi1EjENS0_6memory15LoadWithoutCastENSC_16StoreWithoutCastEEEviT_T0_T2_T3_T4_T5_, .Lfunc_end148-_ZN2at6native27unrolled_elementwise_kernelINS0_11FillFunctorIN3c1014Float8_e8m0fnuEEESt5arrayIPcLm1EELi4E23TrivialOffsetCalculatorILi0EjES9_ILi1EjENS0_6memory15LoadWithoutCastENSC_16StoreWithoutCastEEEviT_T0_T2_T3_T4_T5_
                                        ; -- End function
	.set _ZN2at6native27unrolled_elementwise_kernelINS0_11FillFunctorIN3c1014Float8_e8m0fnuEEESt5arrayIPcLm1EELi4E23TrivialOffsetCalculatorILi0EjES9_ILi1EjENS0_6memory15LoadWithoutCastENSC_16StoreWithoutCastEEEviT_T0_T2_T3_T4_T5_.num_vgpr, 3
	.set _ZN2at6native27unrolled_elementwise_kernelINS0_11FillFunctorIN3c1014Float8_e8m0fnuEEESt5arrayIPcLm1EELi4E23TrivialOffsetCalculatorILi0EjES9_ILi1EjENS0_6memory15LoadWithoutCastENSC_16StoreWithoutCastEEEviT_T0_T2_T3_T4_T5_.num_agpr, 0
	.set _ZN2at6native27unrolled_elementwise_kernelINS0_11FillFunctorIN3c1014Float8_e8m0fnuEEESt5arrayIPcLm1EELi4E23TrivialOffsetCalculatorILi0EjES9_ILi1EjENS0_6memory15LoadWithoutCastENSC_16StoreWithoutCastEEEviT_T0_T2_T3_T4_T5_.numbered_sgpr, 7
	.set _ZN2at6native27unrolled_elementwise_kernelINS0_11FillFunctorIN3c1014Float8_e8m0fnuEEESt5arrayIPcLm1EELi4E23TrivialOffsetCalculatorILi0EjES9_ILi1EjENS0_6memory15LoadWithoutCastENSC_16StoreWithoutCastEEEviT_T0_T2_T3_T4_T5_.num_named_barrier, 0
	.set _ZN2at6native27unrolled_elementwise_kernelINS0_11FillFunctorIN3c1014Float8_e8m0fnuEEESt5arrayIPcLm1EELi4E23TrivialOffsetCalculatorILi0EjES9_ILi1EjENS0_6memory15LoadWithoutCastENSC_16StoreWithoutCastEEEviT_T0_T2_T3_T4_T5_.private_seg_size, 0
	.set _ZN2at6native27unrolled_elementwise_kernelINS0_11FillFunctorIN3c1014Float8_e8m0fnuEEESt5arrayIPcLm1EELi4E23TrivialOffsetCalculatorILi0EjES9_ILi1EjENS0_6memory15LoadWithoutCastENSC_16StoreWithoutCastEEEviT_T0_T2_T3_T4_T5_.uses_vcc, 1
	.set _ZN2at6native27unrolled_elementwise_kernelINS0_11FillFunctorIN3c1014Float8_e8m0fnuEEESt5arrayIPcLm1EELi4E23TrivialOffsetCalculatorILi0EjES9_ILi1EjENS0_6memory15LoadWithoutCastENSC_16StoreWithoutCastEEEviT_T0_T2_T3_T4_T5_.uses_flat_scratch, 0
	.set _ZN2at6native27unrolled_elementwise_kernelINS0_11FillFunctorIN3c1014Float8_e8m0fnuEEESt5arrayIPcLm1EELi4E23TrivialOffsetCalculatorILi0EjES9_ILi1EjENS0_6memory15LoadWithoutCastENSC_16StoreWithoutCastEEEviT_T0_T2_T3_T4_T5_.has_dyn_sized_stack, 0
	.set _ZN2at6native27unrolled_elementwise_kernelINS0_11FillFunctorIN3c1014Float8_e8m0fnuEEESt5arrayIPcLm1EELi4E23TrivialOffsetCalculatorILi0EjES9_ILi1EjENS0_6memory15LoadWithoutCastENSC_16StoreWithoutCastEEEviT_T0_T2_T3_T4_T5_.has_recursion, 0
	.set _ZN2at6native27unrolled_elementwise_kernelINS0_11FillFunctorIN3c1014Float8_e8m0fnuEEESt5arrayIPcLm1EELi4E23TrivialOffsetCalculatorILi0EjES9_ILi1EjENS0_6memory15LoadWithoutCastENSC_16StoreWithoutCastEEEviT_T0_T2_T3_T4_T5_.has_indirect_call, 0
	.section	.AMDGPU.csdata,"",@progbits
; Kernel info:
; codeLenInByte = 232
; TotalNumSgprs: 11
; NumVgprs: 3
; ScratchSize: 0
; MemoryBound: 0
; FloatMode: 240
; IeeeMode: 1
; LDSByteSize: 0 bytes/workgroup (compile time only)
; SGPRBlocks: 1
; VGPRBlocks: 0
; NumSGPRsForWavesPerEU: 11
; NumVGPRsForWavesPerEU: 3
; Occupancy: 10
; WaveLimiterHint : 0
; COMPUTE_PGM_RSRC2:SCRATCH_EN: 0
; COMPUTE_PGM_RSRC2:USER_SGPR: 6
; COMPUTE_PGM_RSRC2:TRAP_HANDLER: 0
; COMPUTE_PGM_RSRC2:TGID_X_EN: 1
; COMPUTE_PGM_RSRC2:TGID_Y_EN: 0
; COMPUTE_PGM_RSRC2:TGID_Z_EN: 0
; COMPUTE_PGM_RSRC2:TIDIG_COMP_CNT: 0
	.section	.text._ZN2at6native32elementwise_kernel_manual_unrollILi128ELi8EZNS0_22gpu_kernel_impl_nocastINS0_11FillFunctorIN3c1014Float8_e8m0fnuEEEEEvRNS_18TensorIteratorBaseERKT_EUlibE_EEviT1_,"axG",@progbits,_ZN2at6native32elementwise_kernel_manual_unrollILi128ELi8EZNS0_22gpu_kernel_impl_nocastINS0_11FillFunctorIN3c1014Float8_e8m0fnuEEEEEvRNS_18TensorIteratorBaseERKT_EUlibE_EEviT1_,comdat
	.protected	_ZN2at6native32elementwise_kernel_manual_unrollILi128ELi8EZNS0_22gpu_kernel_impl_nocastINS0_11FillFunctorIN3c1014Float8_e8m0fnuEEEEEvRNS_18TensorIteratorBaseERKT_EUlibE_EEviT1_ ; -- Begin function _ZN2at6native32elementwise_kernel_manual_unrollILi128ELi8EZNS0_22gpu_kernel_impl_nocastINS0_11FillFunctorIN3c1014Float8_e8m0fnuEEEEEvRNS_18TensorIteratorBaseERKT_EUlibE_EEviT1_
	.globl	_ZN2at6native32elementwise_kernel_manual_unrollILi128ELi8EZNS0_22gpu_kernel_impl_nocastINS0_11FillFunctorIN3c1014Float8_e8m0fnuEEEEEvRNS_18TensorIteratorBaseERKT_EUlibE_EEviT1_
	.p2align	8
	.type	_ZN2at6native32elementwise_kernel_manual_unrollILi128ELi8EZNS0_22gpu_kernel_impl_nocastINS0_11FillFunctorIN3c1014Float8_e8m0fnuEEEEEvRNS_18TensorIteratorBaseERKT_EUlibE_EEviT1_,@function
_ZN2at6native32elementwise_kernel_manual_unrollILi128ELi8EZNS0_22gpu_kernel_impl_nocastINS0_11FillFunctorIN3c1014Float8_e8m0fnuEEEEEvRNS_18TensorIteratorBaseERKT_EUlibE_EEviT1_: ; @_ZN2at6native32elementwise_kernel_manual_unrollILi128ELi8EZNS0_22gpu_kernel_impl_nocastINS0_11FillFunctorIN3c1014Float8_e8m0fnuEEEEEvRNS_18TensorIteratorBaseERKT_EUlibE_EEviT1_
; %bb.0:
	s_load_dword s48, s[4:5], 0x0
	s_load_dword s33, s[4:5], 0x8
	s_add_u32 s20, s4, 8
	s_addc_u32 s21, s5, 0
	v_lshl_or_b32 v7, s6, 10, v0
	v_or_b32_e32 v9, 0x380, v7
	s_waitcnt lgkmcnt(0)
	s_add_i32 s46, s33, -1
	s_cmp_gt_u32 s46, 1
	v_cmp_le_i32_e32 vcc, s48, v9
	s_cselect_b64 s[22:23], -1, 0
	s_and_saveexec_b64 s[0:1], vcc
	s_xor_b64 s[24:25], exec, s[0:1]
	s_cbranch_execz .LBB149_7
; %bb.1:
	s_load_dwordx4 s[8:11], s[20:21], 0x4
	s_load_dwordx2 s[30:31], s[20:21], 0x14
	s_load_dwordx2 s[28:29], s[20:21], 0xc4
	s_load_dwordx2 s[26:27], s[20:21], 0x108
	s_load_dword s47, s[20:21], 0x110
	s_cmp_lg_u32 s33, 0
	s_cselect_b64 s[38:39], -1, 0
	s_add_u32 s36, s20, 0xc4
	s_addc_u32 s37, s21, 0
	s_min_u32 s49, s46, 15
	s_cmp_gt_u32 s33, 1
	s_cselect_b64 s[34:35], -1, 0
	v_cmp_gt_i32_e32 vcc, s48, v7
	s_and_saveexec_b64 s[40:41], vcc
	s_cbranch_execz .LBB149_14
; %bb.2:
	s_andn2_b64 vcc, exec, s[22:23]
	s_cbranch_vccnz .LBB149_21
; %bb.3:
	s_andn2_b64 vcc, exec, s[38:39]
	s_cbranch_vccnz .LBB149_129
; %bb.4:
	s_add_i32 s51, s49, 1
	s_cmp_eq_u32 s46, 2
	s_cbranch_scc1 .LBB149_131
; %bb.5:
	s_and_b32 s50, s51, 28
	s_mov_b32 s52, 0
	v_mov_b32_e32 v0, 0
	s_mov_b64 s[42:43], s[20:21]
	s_mov_b64 s[44:45], s[36:37]
	v_mov_b32_e32 v1, v7
.LBB149_6:                              ; =>This Inner Loop Header: Depth=1
	s_load_dwordx8 s[0:7], s[42:43], 0x4
	s_load_dwordx4 s[12:15], s[42:43], 0x24
	s_load_dwordx4 s[16:19], s[44:45], 0x0
	s_add_u32 s42, s42, 48
	s_addc_u32 s43, s43, 0
	s_waitcnt lgkmcnt(0)
	v_mul_hi_u32 v2, s1, v1
	s_add_i32 s52, s52, 4
	s_add_u32 s44, s44, 16
	s_addc_u32 s45, s45, 0
	v_add_u32_e32 v2, v1, v2
	v_lshrrev_b32_e32 v2, s2, v2
	v_mul_lo_u32 v3, v2, s0
	v_mul_hi_u32 v4, s4, v2
	s_cmp_lg_u32 s50, s52
	v_sub_u32_e32 v1, v1, v3
	v_add_u32_e32 v3, v2, v4
	v_lshrrev_b32_e32 v3, s5, v3
	v_mul_lo_u32 v4, v1, s16
	v_mul_hi_u32 v1, s7, v3
	v_mul_lo_u32 v6, v3, s3
	v_add_u32_e32 v1, v3, v1
	v_lshrrev_b32_e32 v5, s12, v1
	v_mul_hi_u32 v1, s14, v5
	v_sub_u32_e32 v2, v2, v6
	v_mul_lo_u32 v6, v5, s6
	v_mul_lo_u32 v2, v2, s17
	v_add_u32_e32 v1, v5, v1
	v_lshrrev_b32_e32 v1, s15, v1
	v_mul_lo_u32 v8, v1, s13
	v_sub_u32_e32 v3, v3, v6
	v_mul_lo_u32 v3, v3, s18
	v_add3_u32 v0, v4, v0, v2
	v_sub_u32_e32 v5, v5, v8
	v_mul_lo_u32 v5, v5, s19
	v_add3_u32 v0, v3, v0, v5
	s_cbranch_scc1 .LBB149_6
	s_branch .LBB149_132
.LBB149_7:
	s_andn2_saveexec_b64 s[0:1], s[24:25]
	s_cbranch_execz .LBB149_221
.LBB149_8:
	v_cndmask_b32_e64 v0, 0, 1, s[22:23]
	v_cmp_ne_u32_e64 s[0:1], 1, v0
	s_andn2_b64 vcc, exec, s[22:23]
	s_cbranch_vccnz .LBB149_20
; %bb.9:
	s_cmp_lg_u32 s33, 0
	s_mov_b32 s24, 0
	s_cbranch_scc0 .LBB149_23
; %bb.10:
	s_min_u32 s25, s46, 15
	s_add_i32 s25, s25, 1
	s_cmp_eq_u32 s46, 2
	s_cbranch_scc1 .LBB149_24
; %bb.11:
	s_and_b32 s24, s25, 28
	s_add_u32 s2, s20, 0xc4
	s_addc_u32 s3, s21, 0
	s_waitcnt lgkmcnt(0)
	s_mov_b32 s26, 0
	v_mov_b32_e32 v0, 0
	s_mov_b64 s[22:23], s[20:21]
	v_mov_b32_e32 v1, v7
.LBB149_12:                             ; =>This Inner Loop Header: Depth=1
	s_load_dwordx8 s[4:11], s[22:23], 0x4
	s_load_dwordx4 s[12:15], s[22:23], 0x24
	s_load_dwordx4 s[16:19], s[2:3], 0x0
	s_add_u32 s22, s22, 48
	s_addc_u32 s23, s23, 0
	s_waitcnt lgkmcnt(0)
	v_mul_hi_u32 v2, s5, v1
	s_add_i32 s26, s26, 4
	s_add_u32 s2, s2, 16
	s_addc_u32 s3, s3, 0
	v_add_u32_e32 v2, v1, v2
	v_lshrrev_b32_e32 v2, s6, v2
	v_mul_lo_u32 v3, v2, s4
	v_mul_hi_u32 v4, s8, v2
	s_cmp_lg_u32 s24, s26
	v_sub_u32_e32 v1, v1, v3
	v_add_u32_e32 v3, v2, v4
	v_lshrrev_b32_e32 v3, s9, v3
	v_mul_lo_u32 v4, v1, s16
	v_mul_hi_u32 v1, s11, v3
	v_mul_lo_u32 v6, v3, s7
	v_add_u32_e32 v1, v3, v1
	v_lshrrev_b32_e32 v5, s12, v1
	v_mul_hi_u32 v1, s14, v5
	v_sub_u32_e32 v2, v2, v6
	v_mul_lo_u32 v6, v5, s10
	v_mul_lo_u32 v2, v2, s17
	v_add_u32_e32 v1, v5, v1
	v_lshrrev_b32_e32 v1, s15, v1
	v_mul_lo_u32 v8, v1, s13
	v_sub_u32_e32 v3, v3, v6
	v_mul_lo_u32 v3, v3, s18
	v_add3_u32 v0, v4, v0, v2
	v_sub_u32_e32 v5, v5, v8
	v_mul_lo_u32 v5, v5, s19
	v_add3_u32 v0, v3, v0, v5
	s_cbranch_scc1 .LBB149_12
; %bb.13:
	s_and_b32 s6, s25, 3
	s_cmp_eq_u32 s6, 0
	s_cbranch_scc0 .LBB149_25
	s_branch .LBB149_27
.LBB149_14:
	s_or_b64 exec, exec, s[40:41]
	v_cmp_gt_i32_e32 vcc, s48, v7
	s_and_saveexec_b64 s[40:41], vcc
	s_cbranch_execz .LBB149_139
.LBB149_15:
	s_andn2_b64 vcc, exec, s[22:23]
	s_cbranch_vccnz .LBB149_22
; %bb.16:
	s_andn2_b64 vcc, exec, s[38:39]
	s_cbranch_vccnz .LBB149_130
; %bb.17:
	s_add_i32 s51, s49, 1
	s_cmp_eq_u32 s46, 2
	s_cbranch_scc1 .LBB149_147
; %bb.18:
	s_and_b32 s50, s51, 28
	s_mov_b32 s52, 0
	v_mov_b32_e32 v0, 0
	s_mov_b64 s[42:43], s[20:21]
	s_mov_b64 s[44:45], s[36:37]
	v_mov_b32_e32 v1, v7
.LBB149_19:                             ; =>This Inner Loop Header: Depth=1
	s_load_dwordx8 s[0:7], s[42:43], 0x4
	s_load_dwordx4 s[12:15], s[42:43], 0x24
	s_load_dwordx4 s[16:19], s[44:45], 0x0
	s_add_u32 s42, s42, 48
	s_addc_u32 s43, s43, 0
	s_waitcnt lgkmcnt(0)
	v_mul_hi_u32 v2, s1, v1
	s_add_i32 s52, s52, 4
	s_add_u32 s44, s44, 16
	s_addc_u32 s45, s45, 0
	v_add_u32_e32 v2, v1, v2
	v_lshrrev_b32_e32 v2, s2, v2
	v_mul_lo_u32 v3, v2, s0
	v_mul_hi_u32 v4, s4, v2
	s_cmp_eq_u32 s50, s52
	v_sub_u32_e32 v1, v1, v3
	v_add_u32_e32 v3, v2, v4
	v_lshrrev_b32_e32 v3, s5, v3
	v_mul_lo_u32 v4, v1, s16
	v_mul_hi_u32 v1, s7, v3
	v_mul_lo_u32 v6, v3, s3
	v_add_u32_e32 v1, v3, v1
	v_lshrrev_b32_e32 v5, s12, v1
	v_mul_hi_u32 v1, s14, v5
	v_sub_u32_e32 v2, v2, v6
	v_mul_lo_u32 v6, v5, s6
	v_mul_lo_u32 v2, v2, s17
	v_add_u32_e32 v1, v5, v1
	v_lshrrev_b32_e32 v1, s15, v1
	v_mul_lo_u32 v8, v1, s13
	v_sub_u32_e32 v3, v3, v6
	v_mul_lo_u32 v3, v3, s18
	v_add3_u32 v0, v4, v0, v2
	v_sub_u32_e32 v5, v5, v8
	v_mul_lo_u32 v5, v5, s19
	v_add3_u32 v0, v3, v0, v5
	s_cbranch_scc0 .LBB149_19
	s_branch .LBB149_148
.LBB149_20:
                                        ; implicit-def: $vgpr0
	s_branch .LBB149_28
.LBB149_21:
                                        ; implicit-def: $vgpr0
	s_branch .LBB149_136
.LBB149_22:
                                        ; implicit-def: $vgpr0
	s_branch .LBB149_152
.LBB149_23:
	v_mov_b32_e32 v0, 0
	s_branch .LBB149_27
.LBB149_24:
	v_mov_b32_e32 v0, 0
	v_mov_b32_e32 v1, v7
	s_and_b32 s6, s25, 3
	s_cmp_eq_u32 s6, 0
	s_cbranch_scc1 .LBB149_27
.LBB149_25:
	s_lshl_b32 s2, s24, 2
	s_add_u32 s2, s20, s2
	s_addc_u32 s3, s21, 0
	s_add_u32 s2, s2, 0xc4
	s_addc_u32 s3, s3, 0
	s_mul_i32 s4, s24, 12
	s_add_u32 s4, s20, s4
	s_addc_u32 s5, s21, 0
.LBB149_26:                             ; =>This Inner Loop Header: Depth=1
	s_waitcnt lgkmcnt(0)
	s_load_dwordx2 s[8:9], s[4:5], 0x4
	s_load_dword s7, s[4:5], 0xc
	s_add_u32 s4, s4, 12
	s_addc_u32 s5, s5, 0
	s_waitcnt lgkmcnt(0)
	v_mul_hi_u32 v2, s9, v1
	s_load_dword s9, s[2:3], 0x0
	s_add_u32 s2, s2, 4
	s_addc_u32 s3, s3, 0
	v_add_u32_e32 v2, v1, v2
	v_lshrrev_b32_e32 v2, s7, v2
	v_mul_lo_u32 v3, v2, s8
	s_add_i32 s6, s6, -1
	s_cmp_lg_u32 s6, 0
	v_sub_u32_e32 v1, v1, v3
	s_waitcnt lgkmcnt(0)
	v_mad_u64_u32 v[0:1], s[8:9], v1, s9, v[0:1]
	v_mov_b32_e32 v1, v2
	s_cbranch_scc1 .LBB149_26
.LBB149_27:
	s_cbranch_execnz .LBB149_30
.LBB149_28:
	s_load_dwordx4 s[4:7], s[20:21], 0x4
	s_load_dword s2, s[20:21], 0xc4
	s_cmp_lt_u32 s33, 2
	s_waitcnt lgkmcnt(0)
	v_mul_hi_u32 v0, s5, v7
	v_add_u32_e32 v0, v7, v0
	v_lshrrev_b32_e32 v1, s6, v0
	v_mul_lo_u32 v0, v1, s4
	v_sub_u32_e32 v0, v7, v0
	v_mul_lo_u32 v0, v0, s2
	s_cbranch_scc1 .LBB149_30
; %bb.29:
	s_load_dwordx4 s[4:7], s[20:21], 0x10
	s_load_dword s2, s[20:21], 0xc8
	s_waitcnt lgkmcnt(0)
	v_mul_hi_u32 v2, s5, v1
	v_add_u32_e32 v2, v1, v2
	v_lshrrev_b32_e32 v2, s6, v2
	v_mul_lo_u32 v2, v2, s4
	v_sub_u32_e32 v1, v1, v2
	v_mad_u64_u32 v[0:1], s[2:3], v1, s2, v[0:1]
.LBB149_30:
	s_and_b64 vcc, exec, s[0:1]
	v_add_u32_e32 v3, 0x80, v7
	s_cbranch_vccnz .LBB149_36
; %bb.31:
	s_cmp_lg_u32 s33, 0
	s_mov_b32 s24, 0
	s_cbranch_scc0 .LBB149_37
; %bb.32:
	s_min_u32 s25, s46, 15
	s_add_i32 s25, s25, 1
	s_cmp_eq_u32 s46, 2
	s_cbranch_scc1 .LBB149_38
; %bb.33:
	s_and_b32 s24, s25, 28
	s_add_u32 s2, s20, 0xc4
	s_addc_u32 s3, s21, 0
	s_waitcnt lgkmcnt(0)
	s_mov_b32 s26, 0
	v_mov_b32_e32 v1, 0
	s_mov_b64 s[22:23], s[20:21]
	v_mov_b32_e32 v2, v3
.LBB149_34:                             ; =>This Inner Loop Header: Depth=1
	s_load_dwordx8 s[4:11], s[22:23], 0x4
	s_load_dwordx4 s[12:15], s[22:23], 0x24
	s_load_dwordx4 s[16:19], s[2:3], 0x0
	s_add_u32 s22, s22, 48
	s_addc_u32 s23, s23, 0
	s_waitcnt lgkmcnt(0)
	v_mul_hi_u32 v4, s5, v2
	s_add_i32 s26, s26, 4
	s_add_u32 s2, s2, 16
	s_addc_u32 s3, s3, 0
	v_add_u32_e32 v4, v2, v4
	v_lshrrev_b32_e32 v4, s6, v4
	v_mul_lo_u32 v5, v4, s4
	v_mul_hi_u32 v6, s8, v4
	s_cmp_lg_u32 s24, s26
	v_sub_u32_e32 v2, v2, v5
	v_add_u32_e32 v5, v4, v6
	v_lshrrev_b32_e32 v5, s9, v5
	v_mul_lo_u32 v6, v2, s16
	v_mul_hi_u32 v2, s11, v5
	v_mul_lo_u32 v10, v5, s7
	v_add_u32_e32 v2, v5, v2
	v_lshrrev_b32_e32 v8, s12, v2
	v_mul_hi_u32 v2, s14, v8
	v_sub_u32_e32 v4, v4, v10
	v_mul_lo_u32 v10, v8, s10
	v_mul_lo_u32 v4, v4, s17
	v_add_u32_e32 v2, v8, v2
	v_lshrrev_b32_e32 v2, s15, v2
	v_mul_lo_u32 v11, v2, s13
	v_sub_u32_e32 v5, v5, v10
	v_mul_lo_u32 v5, v5, s18
	v_add3_u32 v1, v6, v1, v4
	v_sub_u32_e32 v8, v8, v11
	v_mul_lo_u32 v8, v8, s19
	v_add3_u32 v1, v5, v1, v8
	s_cbranch_scc1 .LBB149_34
; %bb.35:
	s_and_b32 s6, s25, 3
	s_cmp_eq_u32 s6, 0
	s_cbranch_scc0 .LBB149_39
	s_branch .LBB149_41
.LBB149_36:
                                        ; implicit-def: $vgpr1
	s_branch .LBB149_42
.LBB149_37:
	v_mov_b32_e32 v1, 0
	s_branch .LBB149_41
.LBB149_38:
	v_mov_b32_e32 v1, 0
	v_mov_b32_e32 v2, v3
	s_and_b32 s6, s25, 3
	s_cmp_eq_u32 s6, 0
	s_cbranch_scc1 .LBB149_41
.LBB149_39:
	s_lshl_b32 s2, s24, 2
	s_add_u32 s2, s20, s2
	s_addc_u32 s3, s21, 0
	s_add_u32 s2, s2, 0xc4
	s_addc_u32 s3, s3, 0
	s_mul_i32 s4, s24, 12
	s_add_u32 s4, s20, s4
	s_addc_u32 s5, s21, 0
.LBB149_40:                             ; =>This Inner Loop Header: Depth=1
	s_waitcnt lgkmcnt(0)
	s_load_dwordx2 s[8:9], s[4:5], 0x4
	s_load_dword s7, s[4:5], 0xc
	s_add_u32 s4, s4, 12
	s_addc_u32 s5, s5, 0
	s_waitcnt lgkmcnt(0)
	v_mul_hi_u32 v4, s9, v2
	s_load_dword s9, s[2:3], 0x0
	s_add_u32 s2, s2, 4
	s_addc_u32 s3, s3, 0
	v_add_u32_e32 v4, v2, v4
	v_lshrrev_b32_e32 v4, s7, v4
	v_mul_lo_u32 v5, v4, s8
	s_add_i32 s6, s6, -1
	s_cmp_lg_u32 s6, 0
	v_sub_u32_e32 v2, v2, v5
	s_waitcnt lgkmcnt(0)
	v_mad_u64_u32 v[1:2], s[8:9], v2, s9, v[1:2]
	v_mov_b32_e32 v2, v4
	s_cbranch_scc1 .LBB149_40
.LBB149_41:
	s_cbranch_execnz .LBB149_44
.LBB149_42:
	s_load_dwordx4 s[4:7], s[20:21], 0x4
	s_load_dword s2, s[20:21], 0xc4
	s_cmp_lt_u32 s33, 2
	s_waitcnt lgkmcnt(0)
	v_mul_hi_u32 v1, s5, v3
	v_add_u32_e32 v1, v3, v1
	v_lshrrev_b32_e32 v2, s6, v1
	v_mul_lo_u32 v1, v2, s4
	v_sub_u32_e32 v1, v3, v1
	v_mul_lo_u32 v1, v1, s2
	s_cbranch_scc1 .LBB149_44
; %bb.43:
	s_load_dwordx4 s[4:7], s[20:21], 0x10
	s_load_dword s2, s[20:21], 0xc8
	s_waitcnt lgkmcnt(0)
	v_mul_hi_u32 v3, s5, v2
	v_add_u32_e32 v3, v2, v3
	v_lshrrev_b32_e32 v3, s6, v3
	v_mul_lo_u32 v3, v3, s4
	v_sub_u32_e32 v2, v2, v3
	v_mad_u64_u32 v[1:2], s[2:3], v2, s2, v[1:2]
.LBB149_44:
	s_and_b64 vcc, exec, s[0:1]
	v_add_u32_e32 v4, 0x100, v7
	s_cbranch_vccnz .LBB149_50
; %bb.45:
	s_cmp_lg_u32 s33, 0
	s_mov_b32 s24, 0
	s_cbranch_scc0 .LBB149_51
; %bb.46:
	s_min_u32 s25, s46, 15
	s_add_i32 s25, s25, 1
	s_cmp_eq_u32 s46, 2
	s_cbranch_scc1 .LBB149_52
; %bb.47:
	s_and_b32 s24, s25, 28
	s_add_u32 s2, s20, 0xc4
	s_addc_u32 s3, s21, 0
	s_waitcnt lgkmcnt(0)
	s_mov_b32 s26, 0
	v_mov_b32_e32 v2, 0
	s_mov_b64 s[22:23], s[20:21]
	v_mov_b32_e32 v3, v4
.LBB149_48:                             ; =>This Inner Loop Header: Depth=1
	s_load_dwordx8 s[4:11], s[22:23], 0x4
	s_load_dwordx4 s[12:15], s[22:23], 0x24
	s_load_dwordx4 s[16:19], s[2:3], 0x0
	s_add_u32 s22, s22, 48
	s_addc_u32 s23, s23, 0
	s_waitcnt lgkmcnt(0)
	v_mul_hi_u32 v5, s5, v3
	s_add_i32 s26, s26, 4
	s_add_u32 s2, s2, 16
	s_addc_u32 s3, s3, 0
	v_add_u32_e32 v5, v3, v5
	v_lshrrev_b32_e32 v5, s6, v5
	v_mul_lo_u32 v6, v5, s4
	v_mul_hi_u32 v8, s8, v5
	s_cmp_lg_u32 s24, s26
	v_sub_u32_e32 v3, v3, v6
	v_add_u32_e32 v6, v5, v8
	v_lshrrev_b32_e32 v6, s9, v6
	v_mul_lo_u32 v8, v3, s16
	v_mul_hi_u32 v3, s11, v6
	v_mul_lo_u32 v11, v6, s7
	v_add_u32_e32 v3, v6, v3
	v_lshrrev_b32_e32 v10, s12, v3
	v_mul_hi_u32 v3, s14, v10
	v_sub_u32_e32 v5, v5, v11
	v_mul_lo_u32 v11, v10, s10
	v_mul_lo_u32 v5, v5, s17
	v_add_u32_e32 v3, v10, v3
	v_lshrrev_b32_e32 v3, s15, v3
	v_mul_lo_u32 v12, v3, s13
	v_sub_u32_e32 v6, v6, v11
	v_mul_lo_u32 v6, v6, s18
	v_add3_u32 v2, v8, v2, v5
	v_sub_u32_e32 v10, v10, v12
	v_mul_lo_u32 v10, v10, s19
	v_add3_u32 v2, v6, v2, v10
	s_cbranch_scc1 .LBB149_48
; %bb.49:
	s_and_b32 s6, s25, 3
	s_cmp_eq_u32 s6, 0
	s_cbranch_scc0 .LBB149_53
	s_branch .LBB149_55
.LBB149_50:
                                        ; implicit-def: $vgpr2
	s_branch .LBB149_56
.LBB149_51:
	v_mov_b32_e32 v2, 0
	s_branch .LBB149_55
.LBB149_52:
	v_mov_b32_e32 v2, 0
	v_mov_b32_e32 v3, v4
	s_and_b32 s6, s25, 3
	s_cmp_eq_u32 s6, 0
	s_cbranch_scc1 .LBB149_55
.LBB149_53:
	s_lshl_b32 s2, s24, 2
	s_add_u32 s2, s20, s2
	s_addc_u32 s3, s21, 0
	s_add_u32 s2, s2, 0xc4
	s_addc_u32 s3, s3, 0
	s_mul_i32 s4, s24, 12
	s_add_u32 s4, s20, s4
	s_addc_u32 s5, s21, 0
.LBB149_54:                             ; =>This Inner Loop Header: Depth=1
	s_waitcnt lgkmcnt(0)
	s_load_dwordx2 s[8:9], s[4:5], 0x4
	s_load_dword s7, s[4:5], 0xc
	s_add_u32 s4, s4, 12
	s_addc_u32 s5, s5, 0
	s_waitcnt lgkmcnt(0)
	v_mul_hi_u32 v5, s9, v3
	s_load_dword s9, s[2:3], 0x0
	s_add_u32 s2, s2, 4
	s_addc_u32 s3, s3, 0
	v_add_u32_e32 v5, v3, v5
	v_lshrrev_b32_e32 v5, s7, v5
	v_mul_lo_u32 v6, v5, s8
	s_add_i32 s6, s6, -1
	s_cmp_lg_u32 s6, 0
	v_sub_u32_e32 v3, v3, v6
	s_waitcnt lgkmcnt(0)
	v_mad_u64_u32 v[2:3], s[8:9], v3, s9, v[2:3]
	v_mov_b32_e32 v3, v5
	s_cbranch_scc1 .LBB149_54
.LBB149_55:
	s_cbranch_execnz .LBB149_58
.LBB149_56:
	s_load_dwordx4 s[4:7], s[20:21], 0x4
	s_load_dword s2, s[20:21], 0xc4
	s_cmp_lt_u32 s33, 2
	s_waitcnt lgkmcnt(0)
	v_mul_hi_u32 v2, s5, v4
	v_add_u32_e32 v2, v4, v2
	v_lshrrev_b32_e32 v3, s6, v2
	v_mul_lo_u32 v2, v3, s4
	v_sub_u32_e32 v2, v4, v2
	v_mul_lo_u32 v2, v2, s2
	s_cbranch_scc1 .LBB149_58
; %bb.57:
	s_load_dwordx4 s[4:7], s[20:21], 0x10
	s_load_dword s2, s[20:21], 0xc8
	s_waitcnt lgkmcnt(0)
	v_mul_hi_u32 v4, s5, v3
	v_add_u32_e32 v4, v3, v4
	v_lshrrev_b32_e32 v4, s6, v4
	v_mul_lo_u32 v4, v4, s4
	v_sub_u32_e32 v3, v3, v4
	v_mad_u64_u32 v[2:3], s[2:3], v3, s2, v[2:3]
.LBB149_58:
	s_and_b64 vcc, exec, s[0:1]
	v_add_u32_e32 v5, 0x180, v7
	s_cbranch_vccnz .LBB149_64
; %bb.59:
	s_cmp_lg_u32 s33, 0
	s_mov_b32 s24, 0
	s_cbranch_scc0 .LBB149_65
; %bb.60:
	s_min_u32 s25, s46, 15
	s_add_i32 s25, s25, 1
	s_cmp_eq_u32 s46, 2
	s_cbranch_scc1 .LBB149_66
; %bb.61:
	s_and_b32 s24, s25, 28
	s_add_u32 s2, s20, 0xc4
	s_addc_u32 s3, s21, 0
	s_waitcnt lgkmcnt(0)
	s_mov_b32 s26, 0
	v_mov_b32_e32 v3, 0
	s_mov_b64 s[22:23], s[20:21]
	v_mov_b32_e32 v4, v5
.LBB149_62:                             ; =>This Inner Loop Header: Depth=1
	s_load_dwordx8 s[4:11], s[22:23], 0x4
	s_load_dwordx4 s[12:15], s[22:23], 0x24
	s_load_dwordx4 s[16:19], s[2:3], 0x0
	s_add_u32 s22, s22, 48
	s_addc_u32 s23, s23, 0
	s_waitcnt lgkmcnt(0)
	v_mul_hi_u32 v6, s5, v4
	s_add_i32 s26, s26, 4
	s_add_u32 s2, s2, 16
	s_addc_u32 s3, s3, 0
	v_add_u32_e32 v6, v4, v6
	v_lshrrev_b32_e32 v6, s6, v6
	v_mul_lo_u32 v8, v6, s4
	v_mul_hi_u32 v10, s8, v6
	s_cmp_lg_u32 s24, s26
	v_sub_u32_e32 v4, v4, v8
	v_add_u32_e32 v8, v6, v10
	v_lshrrev_b32_e32 v8, s9, v8
	v_mul_lo_u32 v10, v4, s16
	v_mul_hi_u32 v4, s11, v8
	v_mul_lo_u32 v12, v8, s7
	v_add_u32_e32 v4, v8, v4
	v_lshrrev_b32_e32 v11, s12, v4
	v_mul_hi_u32 v4, s14, v11
	v_sub_u32_e32 v6, v6, v12
	v_mul_lo_u32 v12, v11, s10
	v_mul_lo_u32 v6, v6, s17
	v_add_u32_e32 v4, v11, v4
	v_lshrrev_b32_e32 v4, s15, v4
	v_mul_lo_u32 v13, v4, s13
	v_sub_u32_e32 v8, v8, v12
	v_mul_lo_u32 v8, v8, s18
	v_add3_u32 v3, v10, v3, v6
	v_sub_u32_e32 v11, v11, v13
	v_mul_lo_u32 v11, v11, s19
	v_add3_u32 v3, v8, v3, v11
	s_cbranch_scc1 .LBB149_62
; %bb.63:
	s_and_b32 s6, s25, 3
	s_cmp_eq_u32 s6, 0
	s_cbranch_scc0 .LBB149_67
	s_branch .LBB149_69
.LBB149_64:
                                        ; implicit-def: $vgpr3
	s_branch .LBB149_70
.LBB149_65:
	v_mov_b32_e32 v3, 0
	s_branch .LBB149_69
.LBB149_66:
	v_mov_b32_e32 v3, 0
	v_mov_b32_e32 v4, v5
	s_and_b32 s6, s25, 3
	s_cmp_eq_u32 s6, 0
	s_cbranch_scc1 .LBB149_69
.LBB149_67:
	s_lshl_b32 s2, s24, 2
	s_add_u32 s2, s20, s2
	s_addc_u32 s3, s21, 0
	s_add_u32 s2, s2, 0xc4
	s_addc_u32 s3, s3, 0
	s_mul_i32 s4, s24, 12
	s_add_u32 s4, s20, s4
	s_addc_u32 s5, s21, 0
.LBB149_68:                             ; =>This Inner Loop Header: Depth=1
	s_waitcnt lgkmcnt(0)
	s_load_dwordx2 s[8:9], s[4:5], 0x4
	s_load_dword s7, s[4:5], 0xc
	s_add_u32 s4, s4, 12
	s_addc_u32 s5, s5, 0
	s_waitcnt lgkmcnt(0)
	v_mul_hi_u32 v6, s9, v4
	s_load_dword s9, s[2:3], 0x0
	s_add_u32 s2, s2, 4
	s_addc_u32 s3, s3, 0
	v_add_u32_e32 v6, v4, v6
	v_lshrrev_b32_e32 v6, s7, v6
	v_mul_lo_u32 v8, v6, s8
	s_add_i32 s6, s6, -1
	s_cmp_lg_u32 s6, 0
	v_sub_u32_e32 v4, v4, v8
	s_waitcnt lgkmcnt(0)
	v_mad_u64_u32 v[3:4], s[8:9], v4, s9, v[3:4]
	v_mov_b32_e32 v4, v6
	s_cbranch_scc1 .LBB149_68
.LBB149_69:
	s_cbranch_execnz .LBB149_72
.LBB149_70:
	s_load_dwordx4 s[4:7], s[20:21], 0x4
	s_load_dword s2, s[20:21], 0xc4
	s_cmp_lt_u32 s33, 2
	s_waitcnt lgkmcnt(0)
	v_mul_hi_u32 v3, s5, v5
	v_add_u32_e32 v3, v5, v3
	v_lshrrev_b32_e32 v4, s6, v3
	v_mul_lo_u32 v3, v4, s4
	v_sub_u32_e32 v3, v5, v3
	v_mul_lo_u32 v3, v3, s2
	s_cbranch_scc1 .LBB149_72
; %bb.71:
	s_load_dwordx4 s[4:7], s[20:21], 0x10
	s_load_dword s2, s[20:21], 0xc8
	s_waitcnt lgkmcnt(0)
	v_mul_hi_u32 v5, s5, v4
	v_add_u32_e32 v5, v4, v5
	v_lshrrev_b32_e32 v5, s6, v5
	v_mul_lo_u32 v5, v5, s4
	v_sub_u32_e32 v4, v4, v5
	v_mad_u64_u32 v[3:4], s[2:3], v4, s2, v[3:4]
.LBB149_72:
	s_and_b64 vcc, exec, s[0:1]
	v_add_u32_e32 v6, 0x200, v7
	s_cbranch_vccnz .LBB149_78
; %bb.73:
	s_cmp_lg_u32 s33, 0
	s_mov_b32 s24, 0
	s_cbranch_scc0 .LBB149_79
; %bb.74:
	s_min_u32 s25, s46, 15
	s_add_i32 s25, s25, 1
	s_cmp_eq_u32 s46, 2
	s_cbranch_scc1 .LBB149_80
; %bb.75:
	s_and_b32 s24, s25, 28
	s_add_u32 s2, s20, 0xc4
	s_addc_u32 s3, s21, 0
	s_waitcnt lgkmcnt(0)
	s_mov_b32 s26, 0
	v_mov_b32_e32 v4, 0
	s_mov_b64 s[22:23], s[20:21]
	v_mov_b32_e32 v5, v6
.LBB149_76:                             ; =>This Inner Loop Header: Depth=1
	s_load_dwordx8 s[4:11], s[22:23], 0x4
	s_load_dwordx4 s[12:15], s[22:23], 0x24
	s_load_dwordx4 s[16:19], s[2:3], 0x0
	s_add_u32 s22, s22, 48
	s_addc_u32 s23, s23, 0
	s_waitcnt lgkmcnt(0)
	v_mul_hi_u32 v8, s5, v5
	s_add_i32 s26, s26, 4
	s_add_u32 s2, s2, 16
	s_addc_u32 s3, s3, 0
	v_add_u32_e32 v8, v5, v8
	v_lshrrev_b32_e32 v8, s6, v8
	v_mul_lo_u32 v10, v8, s4
	v_mul_hi_u32 v11, s8, v8
	s_cmp_lg_u32 s24, s26
	v_sub_u32_e32 v5, v5, v10
	v_add_u32_e32 v10, v8, v11
	v_lshrrev_b32_e32 v10, s9, v10
	v_mul_lo_u32 v11, v5, s16
	v_mul_hi_u32 v5, s11, v10
	v_mul_lo_u32 v13, v10, s7
	v_add_u32_e32 v5, v10, v5
	v_lshrrev_b32_e32 v12, s12, v5
	v_mul_hi_u32 v5, s14, v12
	v_sub_u32_e32 v8, v8, v13
	v_mul_lo_u32 v13, v12, s10
	v_mul_lo_u32 v8, v8, s17
	v_add_u32_e32 v5, v12, v5
	v_lshrrev_b32_e32 v5, s15, v5
	v_mul_lo_u32 v14, v5, s13
	v_sub_u32_e32 v10, v10, v13
	v_mul_lo_u32 v10, v10, s18
	v_add3_u32 v4, v11, v4, v8
	v_sub_u32_e32 v12, v12, v14
	v_mul_lo_u32 v12, v12, s19
	v_add3_u32 v4, v10, v4, v12
	s_cbranch_scc1 .LBB149_76
; %bb.77:
	s_and_b32 s6, s25, 3
	s_cmp_eq_u32 s6, 0
	s_cbranch_scc0 .LBB149_81
	s_branch .LBB149_83
.LBB149_78:
                                        ; implicit-def: $vgpr4
	s_branch .LBB149_84
.LBB149_79:
	v_mov_b32_e32 v4, 0
	s_branch .LBB149_83
.LBB149_80:
	v_mov_b32_e32 v4, 0
	v_mov_b32_e32 v5, v6
	s_and_b32 s6, s25, 3
	s_cmp_eq_u32 s6, 0
	s_cbranch_scc1 .LBB149_83
.LBB149_81:
	s_lshl_b32 s2, s24, 2
	s_add_u32 s2, s20, s2
	s_addc_u32 s3, s21, 0
	s_add_u32 s2, s2, 0xc4
	s_addc_u32 s3, s3, 0
	s_mul_i32 s4, s24, 12
	s_add_u32 s4, s20, s4
	s_addc_u32 s5, s21, 0
.LBB149_82:                             ; =>This Inner Loop Header: Depth=1
	s_waitcnt lgkmcnt(0)
	s_load_dwordx2 s[8:9], s[4:5], 0x4
	s_load_dword s7, s[4:5], 0xc
	s_add_u32 s4, s4, 12
	s_addc_u32 s5, s5, 0
	s_waitcnt lgkmcnt(0)
	v_mul_hi_u32 v8, s9, v5
	s_load_dword s9, s[2:3], 0x0
	s_add_u32 s2, s2, 4
	s_addc_u32 s3, s3, 0
	v_add_u32_e32 v8, v5, v8
	v_lshrrev_b32_e32 v8, s7, v8
	v_mul_lo_u32 v10, v8, s8
	s_add_i32 s6, s6, -1
	s_cmp_lg_u32 s6, 0
	v_sub_u32_e32 v5, v5, v10
	s_waitcnt lgkmcnt(0)
	v_mad_u64_u32 v[4:5], s[8:9], v5, s9, v[4:5]
	v_mov_b32_e32 v5, v8
	s_cbranch_scc1 .LBB149_82
.LBB149_83:
	s_cbranch_execnz .LBB149_86
.LBB149_84:
	s_load_dwordx4 s[4:7], s[20:21], 0x4
	s_load_dword s2, s[20:21], 0xc4
	s_cmp_lt_u32 s33, 2
	s_waitcnt lgkmcnt(0)
	v_mul_hi_u32 v4, s5, v6
	v_add_u32_e32 v4, v6, v4
	v_lshrrev_b32_e32 v5, s6, v4
	v_mul_lo_u32 v4, v5, s4
	v_sub_u32_e32 v4, v6, v4
	v_mul_lo_u32 v4, v4, s2
	s_cbranch_scc1 .LBB149_86
; %bb.85:
	s_load_dwordx4 s[4:7], s[20:21], 0x10
	s_load_dword s2, s[20:21], 0xc8
	s_waitcnt lgkmcnt(0)
	v_mul_hi_u32 v6, s5, v5
	v_add_u32_e32 v6, v5, v6
	v_lshrrev_b32_e32 v6, s6, v6
	v_mul_lo_u32 v6, v6, s4
	v_sub_u32_e32 v5, v5, v6
	v_mad_u64_u32 v[4:5], s[2:3], v5, s2, v[4:5]
.LBB149_86:
	s_and_b64 vcc, exec, s[0:1]
	v_add_u32_e32 v8, 0x280, v7
	s_cbranch_vccnz .LBB149_92
; %bb.87:
	s_cmp_lg_u32 s33, 0
	s_mov_b32 s24, 0
	s_cbranch_scc0 .LBB149_93
; %bb.88:
	s_min_u32 s25, s46, 15
	s_add_i32 s25, s25, 1
	s_cmp_eq_u32 s46, 2
	s_cbranch_scc1 .LBB149_94
; %bb.89:
	s_and_b32 s24, s25, 28
	s_add_u32 s2, s20, 0xc4
	s_addc_u32 s3, s21, 0
	s_waitcnt lgkmcnt(0)
	s_mov_b32 s26, 0
	v_mov_b32_e32 v5, 0
	s_mov_b64 s[22:23], s[20:21]
	v_mov_b32_e32 v6, v8
.LBB149_90:                             ; =>This Inner Loop Header: Depth=1
	s_load_dwordx8 s[4:11], s[22:23], 0x4
	s_load_dwordx4 s[12:15], s[22:23], 0x24
	s_load_dwordx4 s[16:19], s[2:3], 0x0
	s_add_u32 s22, s22, 48
	s_addc_u32 s23, s23, 0
	s_waitcnt lgkmcnt(0)
	v_mul_hi_u32 v10, s5, v6
	s_add_i32 s26, s26, 4
	s_add_u32 s2, s2, 16
	s_addc_u32 s3, s3, 0
	v_add_u32_e32 v10, v6, v10
	v_lshrrev_b32_e32 v10, s6, v10
	v_mul_lo_u32 v11, v10, s4
	v_mul_hi_u32 v12, s8, v10
	s_cmp_lg_u32 s24, s26
	v_sub_u32_e32 v6, v6, v11
	v_add_u32_e32 v11, v10, v12
	v_lshrrev_b32_e32 v11, s9, v11
	v_mul_lo_u32 v12, v6, s16
	v_mul_hi_u32 v6, s11, v11
	v_mul_lo_u32 v14, v11, s7
	v_add_u32_e32 v6, v11, v6
	v_lshrrev_b32_e32 v13, s12, v6
	v_mul_hi_u32 v6, s14, v13
	v_sub_u32_e32 v10, v10, v14
	v_mul_lo_u32 v14, v13, s10
	v_mul_lo_u32 v10, v10, s17
	v_add_u32_e32 v6, v13, v6
	v_lshrrev_b32_e32 v6, s15, v6
	v_mul_lo_u32 v15, v6, s13
	v_sub_u32_e32 v11, v11, v14
	v_mul_lo_u32 v11, v11, s18
	v_add3_u32 v5, v12, v5, v10
	v_sub_u32_e32 v13, v13, v15
	v_mul_lo_u32 v13, v13, s19
	v_add3_u32 v5, v11, v5, v13
	s_cbranch_scc1 .LBB149_90
; %bb.91:
	s_and_b32 s6, s25, 3
	s_cmp_eq_u32 s6, 0
	s_cbranch_scc0 .LBB149_95
	s_branch .LBB149_97
.LBB149_92:
                                        ; implicit-def: $vgpr5
	s_branch .LBB149_98
.LBB149_93:
	v_mov_b32_e32 v5, 0
	s_branch .LBB149_97
.LBB149_94:
	v_mov_b32_e32 v5, 0
	v_mov_b32_e32 v6, v8
	s_and_b32 s6, s25, 3
	s_cmp_eq_u32 s6, 0
	s_cbranch_scc1 .LBB149_97
.LBB149_95:
	s_lshl_b32 s2, s24, 2
	s_add_u32 s2, s20, s2
	s_addc_u32 s3, s21, 0
	s_add_u32 s2, s2, 0xc4
	s_addc_u32 s3, s3, 0
	s_mul_i32 s4, s24, 12
	s_add_u32 s4, s20, s4
	s_addc_u32 s5, s21, 0
.LBB149_96:                             ; =>This Inner Loop Header: Depth=1
	s_waitcnt lgkmcnt(0)
	s_load_dwordx2 s[8:9], s[4:5], 0x4
	s_load_dword s7, s[4:5], 0xc
	s_add_u32 s4, s4, 12
	s_addc_u32 s5, s5, 0
	s_waitcnt lgkmcnt(0)
	v_mul_hi_u32 v10, s9, v6
	s_load_dword s9, s[2:3], 0x0
	s_add_u32 s2, s2, 4
	s_addc_u32 s3, s3, 0
	v_add_u32_e32 v10, v6, v10
	v_lshrrev_b32_e32 v10, s7, v10
	v_mul_lo_u32 v11, v10, s8
	s_add_i32 s6, s6, -1
	s_cmp_lg_u32 s6, 0
	v_sub_u32_e32 v6, v6, v11
	s_waitcnt lgkmcnt(0)
	v_mad_u64_u32 v[5:6], s[8:9], v6, s9, v[5:6]
	v_mov_b32_e32 v6, v10
	s_cbranch_scc1 .LBB149_96
.LBB149_97:
	s_cbranch_execnz .LBB149_100
.LBB149_98:
	s_load_dwordx4 s[4:7], s[20:21], 0x4
	s_load_dword s2, s[20:21], 0xc4
	s_cmp_lt_u32 s33, 2
	s_waitcnt lgkmcnt(0)
	v_mul_hi_u32 v5, s5, v8
	v_add_u32_e32 v5, v8, v5
	v_lshrrev_b32_e32 v6, s6, v5
	v_mul_lo_u32 v5, v6, s4
	v_sub_u32_e32 v5, v8, v5
	v_mul_lo_u32 v5, v5, s2
	s_cbranch_scc1 .LBB149_100
; %bb.99:
	s_load_dwordx4 s[4:7], s[20:21], 0x10
	s_load_dword s2, s[20:21], 0xc8
	s_waitcnt lgkmcnt(0)
	v_mul_hi_u32 v8, s5, v6
	v_add_u32_e32 v8, v6, v8
	v_lshrrev_b32_e32 v8, s6, v8
	v_mul_lo_u32 v8, v8, s4
	v_sub_u32_e32 v6, v6, v8
	v_mad_u64_u32 v[5:6], s[2:3], v6, s2, v[5:6]
.LBB149_100:
	s_and_b64 vcc, exec, s[0:1]
	v_add_u32_e32 v8, 0x300, v7
	s_cbranch_vccnz .LBB149_106
; %bb.101:
	s_cmp_lg_u32 s33, 0
	s_mov_b32 s24, 0
	s_cbranch_scc0 .LBB149_107
; %bb.102:
	s_min_u32 s25, s46, 15
	s_add_i32 s25, s25, 1
	s_cmp_eq_u32 s46, 2
	s_cbranch_scc1 .LBB149_108
; %bb.103:
	s_and_b32 s24, s25, 28
	s_add_u32 s2, s20, 0xc4
	s_addc_u32 s3, s21, 0
	s_waitcnt lgkmcnt(0)
	s_mov_b32 s26, 0
	v_mov_b32_e32 v6, 0
	s_mov_b64 s[22:23], s[20:21]
	v_mov_b32_e32 v7, v8
.LBB149_104:                            ; =>This Inner Loop Header: Depth=1
	s_load_dwordx8 s[4:11], s[22:23], 0x4
	s_load_dwordx4 s[12:15], s[22:23], 0x24
	s_load_dwordx4 s[16:19], s[2:3], 0x0
	s_add_u32 s22, s22, 48
	s_addc_u32 s23, s23, 0
	s_waitcnt lgkmcnt(0)
	v_mul_hi_u32 v10, s5, v7
	s_add_i32 s26, s26, 4
	s_add_u32 s2, s2, 16
	s_addc_u32 s3, s3, 0
	v_add_u32_e32 v10, v7, v10
	v_lshrrev_b32_e32 v10, s6, v10
	v_mul_lo_u32 v11, v10, s4
	v_mul_hi_u32 v12, s8, v10
	s_cmp_lg_u32 s24, s26
	v_sub_u32_e32 v7, v7, v11
	v_add_u32_e32 v11, v10, v12
	v_lshrrev_b32_e32 v11, s9, v11
	v_mul_lo_u32 v12, v7, s16
	v_mul_hi_u32 v7, s11, v11
	v_mul_lo_u32 v14, v11, s7
	v_add_u32_e32 v7, v11, v7
	v_lshrrev_b32_e32 v13, s12, v7
	v_mul_hi_u32 v7, s14, v13
	v_sub_u32_e32 v10, v10, v14
	v_mul_lo_u32 v14, v13, s10
	v_mul_lo_u32 v10, v10, s17
	v_add_u32_e32 v7, v13, v7
	v_lshrrev_b32_e32 v7, s15, v7
	v_mul_lo_u32 v15, v7, s13
	v_sub_u32_e32 v11, v11, v14
	v_mul_lo_u32 v11, v11, s18
	v_add3_u32 v6, v12, v6, v10
	v_sub_u32_e32 v13, v13, v15
	v_mul_lo_u32 v13, v13, s19
	v_add3_u32 v6, v11, v6, v13
	s_cbranch_scc1 .LBB149_104
; %bb.105:
	s_and_b32 s6, s25, 3
	s_cmp_eq_u32 s6, 0
	s_cbranch_scc0 .LBB149_109
	s_branch .LBB149_111
.LBB149_106:
                                        ; implicit-def: $vgpr6
	s_branch .LBB149_112
.LBB149_107:
	v_mov_b32_e32 v6, 0
	s_branch .LBB149_111
.LBB149_108:
	v_mov_b32_e32 v6, 0
	v_mov_b32_e32 v7, v8
	s_and_b32 s6, s25, 3
	s_cmp_eq_u32 s6, 0
	s_cbranch_scc1 .LBB149_111
.LBB149_109:
	s_lshl_b32 s2, s24, 2
	s_add_u32 s2, s20, s2
	s_addc_u32 s3, s21, 0
	s_add_u32 s2, s2, 0xc4
	s_addc_u32 s3, s3, 0
	s_mul_i32 s4, s24, 12
	s_add_u32 s4, s20, s4
	s_addc_u32 s5, s21, 0
.LBB149_110:                            ; =>This Inner Loop Header: Depth=1
	s_waitcnt lgkmcnt(0)
	s_load_dwordx2 s[8:9], s[4:5], 0x4
	s_load_dword s7, s[4:5], 0xc
	s_add_u32 s4, s4, 12
	s_addc_u32 s5, s5, 0
	s_waitcnt lgkmcnt(0)
	v_mul_hi_u32 v10, s9, v7
	s_load_dword s9, s[2:3], 0x0
	s_add_u32 s2, s2, 4
	s_addc_u32 s3, s3, 0
	v_add_u32_e32 v10, v7, v10
	v_lshrrev_b32_e32 v10, s7, v10
	v_mul_lo_u32 v11, v10, s8
	s_add_i32 s6, s6, -1
	s_cmp_lg_u32 s6, 0
	v_sub_u32_e32 v7, v7, v11
	s_waitcnt lgkmcnt(0)
	v_mad_u64_u32 v[6:7], s[8:9], v7, s9, v[6:7]
	v_mov_b32_e32 v7, v10
	s_cbranch_scc1 .LBB149_110
.LBB149_111:
	s_cbranch_execnz .LBB149_114
.LBB149_112:
	s_load_dwordx4 s[4:7], s[20:21], 0x4
	s_load_dword s2, s[20:21], 0xc4
	s_cmp_lt_u32 s33, 2
	s_waitcnt lgkmcnt(0)
	v_mul_hi_u32 v6, s5, v8
	v_add_u32_e32 v6, v8, v6
	v_lshrrev_b32_e32 v7, s6, v6
	v_mul_lo_u32 v6, v7, s4
	v_sub_u32_e32 v6, v8, v6
	v_mul_lo_u32 v6, v6, s2
	s_cbranch_scc1 .LBB149_114
; %bb.113:
	s_load_dwordx4 s[4:7], s[20:21], 0x10
	s_load_dword s2, s[20:21], 0xc8
	s_waitcnt lgkmcnt(0)
	v_mul_hi_u32 v8, s5, v7
	v_add_u32_e32 v8, v7, v8
	v_lshrrev_b32_e32 v8, s6, v8
	v_mul_lo_u32 v8, v8, s4
	v_sub_u32_e32 v7, v7, v8
	v_mad_u64_u32 v[6:7], s[2:3], v7, s2, v[6:7]
.LBB149_114:
	s_and_b64 vcc, exec, s[0:1]
	s_cbranch_vccnz .LBB149_120
; %bb.115:
	s_cmp_lg_u32 s33, 0
	s_mov_b32 s22, 0
	s_cbranch_scc0 .LBB149_121
; %bb.116:
	s_min_u32 s23, s46, 15
	s_add_i32 s23, s23, 1
	s_cmp_eq_u32 s46, 2
	s_cbranch_scc1 .LBB149_122
; %bb.117:
	s_and_b32 s22, s23, 28
	s_add_u32 s16, s20, 0xc4
	s_addc_u32 s17, s21, 0
	s_mov_b32 s24, 0
	v_mov_b32_e32 v7, 0
	s_mov_b64 s[18:19], s[20:21]
	v_mov_b32_e32 v8, v9
.LBB149_118:                            ; =>This Inner Loop Header: Depth=1
	s_load_dwordx8 s[0:7], s[18:19], 0x4
	s_waitcnt lgkmcnt(0)
	s_load_dwordx4 s[8:11], s[18:19], 0x24
	s_load_dwordx4 s[12:15], s[16:17], 0x0
	s_add_u32 s18, s18, 48
	s_addc_u32 s19, s19, 0
	v_mul_hi_u32 v10, s1, v8
	s_add_i32 s24, s24, 4
	s_add_u32 s16, s16, 16
	s_addc_u32 s17, s17, 0
	v_add_u32_e32 v10, v8, v10
	v_lshrrev_b32_e32 v10, s2, v10
	v_mul_lo_u32 v11, v10, s0
	v_mul_hi_u32 v12, s4, v10
	s_cmp_lg_u32 s22, s24
	v_sub_u32_e32 v8, v8, v11
	v_add_u32_e32 v11, v10, v12
	v_lshrrev_b32_e32 v11, s5, v11
	s_waitcnt lgkmcnt(0)
	v_mul_lo_u32 v12, v8, s12
	v_mul_hi_u32 v8, s7, v11
	v_mul_lo_u32 v14, v11, s3
	v_add_u32_e32 v8, v11, v8
	v_lshrrev_b32_e32 v13, s8, v8
	v_mul_hi_u32 v8, s10, v13
	v_sub_u32_e32 v10, v10, v14
	v_mul_lo_u32 v14, v13, s6
	v_mul_lo_u32 v10, v10, s13
	v_add_u32_e32 v8, v13, v8
	v_lshrrev_b32_e32 v8, s11, v8
	v_mul_lo_u32 v15, v8, s9
	v_sub_u32_e32 v11, v11, v14
	v_mul_lo_u32 v11, v11, s14
	v_add3_u32 v7, v12, v7, v10
	v_sub_u32_e32 v13, v13, v15
	v_mul_lo_u32 v13, v13, s15
	v_add3_u32 v7, v11, v7, v13
	s_cbranch_scc1 .LBB149_118
; %bb.119:
	s_and_b32 s4, s23, 3
	s_cmp_eq_u32 s4, 0
	s_cbranch_scc0 .LBB149_123
	s_branch .LBB149_125
.LBB149_120:
                                        ; implicit-def: $vgpr7
	s_branch .LBB149_126
.LBB149_121:
	v_mov_b32_e32 v7, 0
	s_branch .LBB149_125
.LBB149_122:
	v_mov_b32_e32 v7, 0
	v_mov_b32_e32 v8, v9
	s_and_b32 s4, s23, 3
	s_cmp_eq_u32 s4, 0
	s_cbranch_scc1 .LBB149_125
.LBB149_123:
	s_lshl_b32 s0, s22, 2
	s_add_u32 s0, s20, s0
	s_addc_u32 s1, s21, 0
	s_add_u32 s0, s0, 0xc4
	s_addc_u32 s1, s1, 0
	s_mul_i32 s2, s22, 12
	s_add_u32 s2, s20, s2
	s_addc_u32 s3, s21, 0
.LBB149_124:                            ; =>This Inner Loop Header: Depth=1
	s_load_dwordx2 s[6:7], s[2:3], 0x4
	s_load_dword s5, s[2:3], 0xc
	s_add_u32 s2, s2, 12
	s_addc_u32 s3, s3, 0
	s_waitcnt lgkmcnt(0)
	v_mul_hi_u32 v10, s7, v8
	s_load_dword s7, s[0:1], 0x0
	s_add_u32 s0, s0, 4
	s_addc_u32 s1, s1, 0
	v_add_u32_e32 v10, v8, v10
	v_lshrrev_b32_e32 v10, s5, v10
	v_mul_lo_u32 v11, v10, s6
	s_add_i32 s4, s4, -1
	s_cmp_lg_u32 s4, 0
	v_sub_u32_e32 v8, v8, v11
	s_waitcnt lgkmcnt(0)
	v_mad_u64_u32 v[7:8], s[6:7], v8, s7, v[7:8]
	v_mov_b32_e32 v8, v10
	s_cbranch_scc1 .LBB149_124
.LBB149_125:
	s_cbranch_execnz .LBB149_128
.LBB149_126:
	s_load_dwordx4 s[0:3], s[20:21], 0x4
	s_waitcnt lgkmcnt(0)
	s_load_dword s3, s[20:21], 0xc4
	s_cmp_lt_u32 s33, 2
	v_mul_hi_u32 v7, s1, v9
	v_add_u32_e32 v7, v9, v7
	v_lshrrev_b32_e32 v8, s2, v7
	v_mul_lo_u32 v7, v8, s0
	v_sub_u32_e32 v7, v9, v7
	s_waitcnt lgkmcnt(0)
	v_mul_lo_u32 v7, v7, s3
	s_cbranch_scc1 .LBB149_128
; %bb.127:
	s_load_dwordx4 s[0:3], s[20:21], 0x10
	s_waitcnt lgkmcnt(0)
	s_load_dword s3, s[20:21], 0xc8
	v_mul_hi_u32 v9, s1, v8
	v_add_u32_e32 v9, v8, v9
	v_lshrrev_b32_e32 v9, s2, v9
	v_mul_lo_u32 v9, v9, s0
	v_sub_u32_e32 v8, v8, v9
	s_waitcnt lgkmcnt(0)
	v_mad_u64_u32 v[7:8], s[0:1], v8, s3, v[7:8]
.LBB149_128:
	s_load_dword s2, s[20:21], 0x110
	s_load_dwordx2 s[0:1], s[20:21], 0x108
	s_waitcnt lgkmcnt(0)
	v_mov_b32_e32 v8, s2
	s_nop 0
	global_store_byte v0, v8, s[0:1]
	global_store_byte v1, v8, s[0:1]
	global_store_byte v2, v8, s[0:1]
	global_store_byte v3, v8, s[0:1]
	global_store_byte v4, v8, s[0:1]
	global_store_byte v5, v8, s[0:1]
	global_store_byte v6, v8, s[0:1]
	global_store_byte v7, v8, s[0:1]
	s_endpgm
.LBB149_129:
	v_mov_b32_e32 v0, 0
	s_branch .LBB149_135
.LBB149_130:
	v_mov_b32_e32 v0, 0
	s_branch .LBB149_151
.LBB149_131:
	v_mov_b32_e32 v0, 0
	s_mov_b32 s50, 0
	v_mov_b32_e32 v1, v7
.LBB149_132:
	s_and_b32 s4, s51, 3
	s_cmp_eq_u32 s4, 0
	s_cbranch_scc1 .LBB149_135
; %bb.133:
	s_lshl_b32 s0, s50, 2
	s_add_u32 s0, s20, s0
	s_addc_u32 s1, s21, 0
	s_add_u32 s0, s0, 0xc4
	s_addc_u32 s1, s1, 0
	s_mul_i32 s2, s50, 12
	s_add_u32 s2, s20, s2
	s_addc_u32 s3, s21, 0
.LBB149_134:                            ; =>This Inner Loop Header: Depth=1
	s_load_dwordx2 s[6:7], s[2:3], 0x4
	s_load_dword s5, s[2:3], 0xc
	s_add_u32 s2, s2, 12
	s_addc_u32 s3, s3, 0
	s_waitcnt lgkmcnt(0)
	v_mul_hi_u32 v2, s7, v1
	s_load_dword s7, s[0:1], 0x0
	s_add_u32 s0, s0, 4
	s_addc_u32 s1, s1, 0
	v_add_u32_e32 v2, v1, v2
	v_lshrrev_b32_e32 v2, s5, v2
	v_mul_lo_u32 v3, v2, s6
	s_add_i32 s4, s4, -1
	s_cmp_lg_u32 s4, 0
	v_sub_u32_e32 v1, v1, v3
	s_waitcnt lgkmcnt(0)
	v_mad_u64_u32 v[0:1], s[6:7], v1, s7, v[0:1]
	v_mov_b32_e32 v1, v2
	s_cbranch_scc1 .LBB149_134
.LBB149_135:
	s_cbranch_execnz .LBB149_138
.LBB149_136:
	s_waitcnt lgkmcnt(0)
	v_mul_hi_u32 v0, s9, v7
	s_andn2_b64 vcc, exec, s[34:35]
	v_add_u32_e32 v0, v7, v0
	v_lshrrev_b32_e32 v1, s10, v0
	v_mul_lo_u32 v0, v1, s8
	v_sub_u32_e32 v0, v7, v0
	v_mul_lo_u32 v0, v0, s28
	s_cbranch_vccnz .LBB149_138
; %bb.137:
	v_mul_hi_u32 v2, s30, v1
	v_add_u32_e32 v2, v1, v2
	v_lshrrev_b32_e32 v2, s31, v2
	v_mul_lo_u32 v2, v2, s11
	v_sub_u32_e32 v1, v1, v2
	v_mad_u64_u32 v[0:1], s[0:1], v1, s29, v[0:1]
.LBB149_138:
	s_waitcnt lgkmcnt(0)
	v_mov_b32_e32 v1, s47
	v_add_u32_e32 v7, 0x80, v7
	global_store_byte v0, v1, s[26:27]
	s_or_b64 exec, exec, s[40:41]
	v_cmp_gt_i32_e32 vcc, s48, v7
	s_and_saveexec_b64 s[40:41], vcc
	s_cbranch_execnz .LBB149_15
.LBB149_139:
	s_or_b64 exec, exec, s[40:41]
	v_cmp_gt_i32_e32 vcc, s48, v7
	s_and_saveexec_b64 s[40:41], vcc
	s_cbranch_execz .LBB149_155
.LBB149_140:
	s_andn2_b64 vcc, exec, s[22:23]
	s_cbranch_vccnz .LBB149_145
; %bb.141:
	s_andn2_b64 vcc, exec, s[38:39]
	s_cbranch_vccnz .LBB149_146
; %bb.142:
	s_add_i32 s51, s49, 1
	s_cmp_eq_u32 s46, 2
	s_cbranch_scc1 .LBB149_163
; %bb.143:
	s_and_b32 s50, s51, 28
	s_mov_b32 s52, 0
	v_mov_b32_e32 v0, 0
	s_mov_b64 s[42:43], s[20:21]
	s_mov_b64 s[44:45], s[36:37]
	v_mov_b32_e32 v1, v7
.LBB149_144:                            ; =>This Inner Loop Header: Depth=1
	s_load_dwordx8 s[0:7], s[42:43], 0x4
	s_load_dwordx4 s[12:15], s[42:43], 0x24
	s_load_dwordx4 s[16:19], s[44:45], 0x0
	s_add_u32 s42, s42, 48
	s_addc_u32 s43, s43, 0
	s_waitcnt lgkmcnt(0)
	v_mul_hi_u32 v2, s1, v1
	s_add_i32 s52, s52, 4
	s_add_u32 s44, s44, 16
	s_addc_u32 s45, s45, 0
	v_add_u32_e32 v2, v1, v2
	v_lshrrev_b32_e32 v2, s2, v2
	v_mul_lo_u32 v3, v2, s0
	v_mul_hi_u32 v4, s4, v2
	s_cmp_eq_u32 s50, s52
	v_sub_u32_e32 v1, v1, v3
	v_add_u32_e32 v3, v2, v4
	v_lshrrev_b32_e32 v3, s5, v3
	v_mul_lo_u32 v4, v1, s16
	v_mul_hi_u32 v1, s7, v3
	v_mul_lo_u32 v6, v3, s3
	v_add_u32_e32 v1, v3, v1
	v_lshrrev_b32_e32 v5, s12, v1
	v_mul_hi_u32 v1, s14, v5
	v_sub_u32_e32 v2, v2, v6
	v_mul_lo_u32 v6, v5, s6
	v_mul_lo_u32 v2, v2, s17
	v_add_u32_e32 v1, v5, v1
	v_lshrrev_b32_e32 v1, s15, v1
	v_mul_lo_u32 v8, v1, s13
	v_sub_u32_e32 v3, v3, v6
	v_mul_lo_u32 v3, v3, s18
	v_add3_u32 v0, v4, v0, v2
	v_sub_u32_e32 v5, v5, v8
	v_mul_lo_u32 v5, v5, s19
	v_add3_u32 v0, v3, v0, v5
	s_cbranch_scc0 .LBB149_144
	s_branch .LBB149_164
.LBB149_145:
                                        ; implicit-def: $vgpr0
	s_branch .LBB149_168
.LBB149_146:
	v_mov_b32_e32 v0, 0
	s_branch .LBB149_167
.LBB149_147:
	v_mov_b32_e32 v0, 0
	s_mov_b32 s50, 0
	v_mov_b32_e32 v1, v7
.LBB149_148:
	s_and_b32 s4, s51, 3
	s_cmp_eq_u32 s4, 0
	s_cbranch_scc1 .LBB149_151
; %bb.149:
	s_lshl_b32 s0, s50, 2
	s_add_u32 s0, s20, s0
	s_addc_u32 s1, s21, 0
	s_add_u32 s0, s0, 0xc4
	s_addc_u32 s1, s1, 0
	s_mul_i32 s2, s50, 12
	s_add_u32 s2, s20, s2
	s_addc_u32 s3, s21, 0
.LBB149_150:                            ; =>This Inner Loop Header: Depth=1
	s_load_dwordx2 s[6:7], s[2:3], 0x4
	s_load_dword s5, s[2:3], 0xc
	s_add_u32 s2, s2, 12
	s_addc_u32 s3, s3, 0
	s_waitcnt lgkmcnt(0)
	v_mul_hi_u32 v2, s7, v1
	s_load_dword s7, s[0:1], 0x0
	s_add_u32 s0, s0, 4
	s_addc_u32 s1, s1, 0
	v_add_u32_e32 v2, v1, v2
	v_lshrrev_b32_e32 v2, s5, v2
	v_mul_lo_u32 v3, v2, s6
	s_add_i32 s4, s4, -1
	s_cmp_lg_u32 s4, 0
	v_sub_u32_e32 v1, v1, v3
	s_waitcnt lgkmcnt(0)
	v_mad_u64_u32 v[0:1], s[6:7], v1, s7, v[0:1]
	v_mov_b32_e32 v1, v2
	s_cbranch_scc1 .LBB149_150
.LBB149_151:
	s_cbranch_execnz .LBB149_154
.LBB149_152:
	s_waitcnt lgkmcnt(0)
	v_mul_hi_u32 v0, s9, v7
	s_andn2_b64 vcc, exec, s[34:35]
	v_add_u32_e32 v0, v7, v0
	v_lshrrev_b32_e32 v1, s10, v0
	v_mul_lo_u32 v0, v1, s8
	v_sub_u32_e32 v0, v7, v0
	v_mul_lo_u32 v0, v0, s28
	s_cbranch_vccnz .LBB149_154
; %bb.153:
	v_mul_hi_u32 v2, s30, v1
	v_add_u32_e32 v2, v1, v2
	v_lshrrev_b32_e32 v2, s31, v2
	v_mul_lo_u32 v2, v2, s11
	v_sub_u32_e32 v1, v1, v2
	v_mad_u64_u32 v[0:1], s[0:1], v1, s29, v[0:1]
.LBB149_154:
	s_waitcnt lgkmcnt(0)
	v_mov_b32_e32 v1, s47
	v_add_u32_e32 v7, 0x80, v7
	global_store_byte v0, v1, s[26:27]
	s_or_b64 exec, exec, s[40:41]
	v_cmp_gt_i32_e32 vcc, s48, v7
	s_and_saveexec_b64 s[40:41], vcc
	s_cbranch_execnz .LBB149_140
.LBB149_155:
	s_or_b64 exec, exec, s[40:41]
	v_cmp_gt_i32_e32 vcc, s48, v7
	s_and_saveexec_b64 s[40:41], vcc
	s_cbranch_execz .LBB149_171
.LBB149_156:
	s_andn2_b64 vcc, exec, s[22:23]
	s_cbranch_vccnz .LBB149_161
; %bb.157:
	s_andn2_b64 vcc, exec, s[38:39]
	s_cbranch_vccnz .LBB149_162
; %bb.158:
	s_add_i32 s51, s49, 1
	s_cmp_eq_u32 s46, 2
	s_cbranch_scc1 .LBB149_179
; %bb.159:
	s_and_b32 s50, s51, 28
	s_mov_b32 s52, 0
	v_mov_b32_e32 v0, 0
	s_mov_b64 s[42:43], s[20:21]
	s_mov_b64 s[44:45], s[36:37]
	v_mov_b32_e32 v1, v7
.LBB149_160:                            ; =>This Inner Loop Header: Depth=1
	s_load_dwordx8 s[0:7], s[42:43], 0x4
	s_load_dwordx4 s[12:15], s[42:43], 0x24
	s_load_dwordx4 s[16:19], s[44:45], 0x0
	s_add_u32 s42, s42, 48
	s_addc_u32 s43, s43, 0
	s_waitcnt lgkmcnt(0)
	v_mul_hi_u32 v2, s1, v1
	s_add_i32 s52, s52, 4
	s_add_u32 s44, s44, 16
	s_addc_u32 s45, s45, 0
	v_add_u32_e32 v2, v1, v2
	v_lshrrev_b32_e32 v2, s2, v2
	v_mul_lo_u32 v3, v2, s0
	v_mul_hi_u32 v4, s4, v2
	s_cmp_eq_u32 s50, s52
	v_sub_u32_e32 v1, v1, v3
	v_add_u32_e32 v3, v2, v4
	v_lshrrev_b32_e32 v3, s5, v3
	v_mul_lo_u32 v4, v1, s16
	v_mul_hi_u32 v1, s7, v3
	v_mul_lo_u32 v6, v3, s3
	v_add_u32_e32 v1, v3, v1
	v_lshrrev_b32_e32 v5, s12, v1
	v_mul_hi_u32 v1, s14, v5
	v_sub_u32_e32 v2, v2, v6
	v_mul_lo_u32 v6, v5, s6
	v_mul_lo_u32 v2, v2, s17
	v_add_u32_e32 v1, v5, v1
	v_lshrrev_b32_e32 v1, s15, v1
	v_mul_lo_u32 v8, v1, s13
	v_sub_u32_e32 v3, v3, v6
	v_mul_lo_u32 v3, v3, s18
	v_add3_u32 v0, v4, v0, v2
	v_sub_u32_e32 v5, v5, v8
	v_mul_lo_u32 v5, v5, s19
	v_add3_u32 v0, v3, v0, v5
	s_cbranch_scc0 .LBB149_160
	s_branch .LBB149_180
.LBB149_161:
                                        ; implicit-def: $vgpr0
	s_branch .LBB149_184
.LBB149_162:
	v_mov_b32_e32 v0, 0
	s_branch .LBB149_183
.LBB149_163:
	v_mov_b32_e32 v0, 0
	s_mov_b32 s50, 0
	v_mov_b32_e32 v1, v7
.LBB149_164:
	s_and_b32 s4, s51, 3
	s_cmp_eq_u32 s4, 0
	s_cbranch_scc1 .LBB149_167
; %bb.165:
	s_lshl_b32 s0, s50, 2
	s_add_u32 s0, s20, s0
	s_addc_u32 s1, s21, 0
	s_add_u32 s0, s0, 0xc4
	s_addc_u32 s1, s1, 0
	s_mul_i32 s2, s50, 12
	s_add_u32 s2, s20, s2
	s_addc_u32 s3, s21, 0
.LBB149_166:                            ; =>This Inner Loop Header: Depth=1
	s_load_dwordx2 s[6:7], s[2:3], 0x4
	s_load_dword s5, s[2:3], 0xc
	s_add_u32 s2, s2, 12
	s_addc_u32 s3, s3, 0
	s_waitcnt lgkmcnt(0)
	v_mul_hi_u32 v2, s7, v1
	s_load_dword s7, s[0:1], 0x0
	s_add_u32 s0, s0, 4
	s_addc_u32 s1, s1, 0
	v_add_u32_e32 v2, v1, v2
	v_lshrrev_b32_e32 v2, s5, v2
	v_mul_lo_u32 v3, v2, s6
	s_add_i32 s4, s4, -1
	s_cmp_lg_u32 s4, 0
	v_sub_u32_e32 v1, v1, v3
	s_waitcnt lgkmcnt(0)
	v_mad_u64_u32 v[0:1], s[6:7], v1, s7, v[0:1]
	v_mov_b32_e32 v1, v2
	s_cbranch_scc1 .LBB149_166
.LBB149_167:
	s_cbranch_execnz .LBB149_170
.LBB149_168:
	s_waitcnt lgkmcnt(0)
	v_mul_hi_u32 v0, s9, v7
	s_andn2_b64 vcc, exec, s[34:35]
	v_add_u32_e32 v0, v7, v0
	v_lshrrev_b32_e32 v1, s10, v0
	v_mul_lo_u32 v0, v1, s8
	v_sub_u32_e32 v0, v7, v0
	v_mul_lo_u32 v0, v0, s28
	s_cbranch_vccnz .LBB149_170
; %bb.169:
	v_mul_hi_u32 v2, s30, v1
	v_add_u32_e32 v2, v1, v2
	v_lshrrev_b32_e32 v2, s31, v2
	v_mul_lo_u32 v2, v2, s11
	v_sub_u32_e32 v1, v1, v2
	v_mad_u64_u32 v[0:1], s[0:1], v1, s29, v[0:1]
.LBB149_170:
	s_waitcnt lgkmcnt(0)
	v_mov_b32_e32 v1, s47
	v_add_u32_e32 v7, 0x80, v7
	global_store_byte v0, v1, s[26:27]
	s_or_b64 exec, exec, s[40:41]
	v_cmp_gt_i32_e32 vcc, s48, v7
	s_and_saveexec_b64 s[40:41], vcc
	s_cbranch_execnz .LBB149_156
.LBB149_171:
	s_or_b64 exec, exec, s[40:41]
	v_cmp_gt_i32_e32 vcc, s48, v7
	s_and_saveexec_b64 s[40:41], vcc
	s_cbranch_execz .LBB149_187
.LBB149_172:
	s_andn2_b64 vcc, exec, s[22:23]
	s_cbranch_vccnz .LBB149_177
; %bb.173:
	s_andn2_b64 vcc, exec, s[38:39]
	s_cbranch_vccnz .LBB149_178
; %bb.174:
	s_add_i32 s51, s49, 1
	s_cmp_eq_u32 s46, 2
	s_cbranch_scc1 .LBB149_195
; %bb.175:
	s_and_b32 s50, s51, 28
	s_mov_b32 s52, 0
	v_mov_b32_e32 v0, 0
	s_mov_b64 s[42:43], s[20:21]
	s_mov_b64 s[44:45], s[36:37]
	v_mov_b32_e32 v1, v7
.LBB149_176:                            ; =>This Inner Loop Header: Depth=1
	s_load_dwordx8 s[0:7], s[42:43], 0x4
	s_load_dwordx4 s[12:15], s[42:43], 0x24
	s_load_dwordx4 s[16:19], s[44:45], 0x0
	s_add_u32 s42, s42, 48
	s_addc_u32 s43, s43, 0
	s_waitcnt lgkmcnt(0)
	v_mul_hi_u32 v2, s1, v1
	s_add_i32 s52, s52, 4
	s_add_u32 s44, s44, 16
	s_addc_u32 s45, s45, 0
	v_add_u32_e32 v2, v1, v2
	v_lshrrev_b32_e32 v2, s2, v2
	v_mul_lo_u32 v3, v2, s0
	v_mul_hi_u32 v4, s4, v2
	s_cmp_eq_u32 s50, s52
	v_sub_u32_e32 v1, v1, v3
	v_add_u32_e32 v3, v2, v4
	v_lshrrev_b32_e32 v3, s5, v3
	v_mul_lo_u32 v4, v1, s16
	v_mul_hi_u32 v1, s7, v3
	v_mul_lo_u32 v6, v3, s3
	v_add_u32_e32 v1, v3, v1
	v_lshrrev_b32_e32 v5, s12, v1
	v_mul_hi_u32 v1, s14, v5
	v_sub_u32_e32 v2, v2, v6
	v_mul_lo_u32 v6, v5, s6
	v_mul_lo_u32 v2, v2, s17
	v_add_u32_e32 v1, v5, v1
	v_lshrrev_b32_e32 v1, s15, v1
	v_mul_lo_u32 v8, v1, s13
	v_sub_u32_e32 v3, v3, v6
	v_mul_lo_u32 v3, v3, s18
	v_add3_u32 v0, v4, v0, v2
	v_sub_u32_e32 v5, v5, v8
	v_mul_lo_u32 v5, v5, s19
	v_add3_u32 v0, v3, v0, v5
	s_cbranch_scc0 .LBB149_176
	s_branch .LBB149_196
.LBB149_177:
                                        ; implicit-def: $vgpr0
	s_branch .LBB149_200
.LBB149_178:
	v_mov_b32_e32 v0, 0
	s_branch .LBB149_199
.LBB149_179:
	v_mov_b32_e32 v0, 0
	s_mov_b32 s50, 0
	v_mov_b32_e32 v1, v7
.LBB149_180:
	s_and_b32 s4, s51, 3
	s_cmp_eq_u32 s4, 0
	s_cbranch_scc1 .LBB149_183
; %bb.181:
	s_lshl_b32 s0, s50, 2
	s_add_u32 s0, s20, s0
	s_addc_u32 s1, s21, 0
	s_add_u32 s0, s0, 0xc4
	s_addc_u32 s1, s1, 0
	s_mul_i32 s2, s50, 12
	s_add_u32 s2, s20, s2
	s_addc_u32 s3, s21, 0
.LBB149_182:                            ; =>This Inner Loop Header: Depth=1
	s_load_dwordx2 s[6:7], s[2:3], 0x4
	s_load_dword s5, s[2:3], 0xc
	s_add_u32 s2, s2, 12
	s_addc_u32 s3, s3, 0
	s_waitcnt lgkmcnt(0)
	v_mul_hi_u32 v2, s7, v1
	s_load_dword s7, s[0:1], 0x0
	s_add_u32 s0, s0, 4
	s_addc_u32 s1, s1, 0
	v_add_u32_e32 v2, v1, v2
	v_lshrrev_b32_e32 v2, s5, v2
	v_mul_lo_u32 v3, v2, s6
	s_add_i32 s4, s4, -1
	s_cmp_lg_u32 s4, 0
	v_sub_u32_e32 v1, v1, v3
	s_waitcnt lgkmcnt(0)
	v_mad_u64_u32 v[0:1], s[6:7], v1, s7, v[0:1]
	v_mov_b32_e32 v1, v2
	s_cbranch_scc1 .LBB149_182
.LBB149_183:
	s_cbranch_execnz .LBB149_186
.LBB149_184:
	s_waitcnt lgkmcnt(0)
	v_mul_hi_u32 v0, s9, v7
	s_andn2_b64 vcc, exec, s[34:35]
	v_add_u32_e32 v0, v7, v0
	v_lshrrev_b32_e32 v1, s10, v0
	v_mul_lo_u32 v0, v1, s8
	v_sub_u32_e32 v0, v7, v0
	v_mul_lo_u32 v0, v0, s28
	s_cbranch_vccnz .LBB149_186
; %bb.185:
	v_mul_hi_u32 v2, s30, v1
	v_add_u32_e32 v2, v1, v2
	v_lshrrev_b32_e32 v2, s31, v2
	v_mul_lo_u32 v2, v2, s11
	v_sub_u32_e32 v1, v1, v2
	v_mad_u64_u32 v[0:1], s[0:1], v1, s29, v[0:1]
.LBB149_186:
	s_waitcnt lgkmcnt(0)
	v_mov_b32_e32 v1, s47
	v_add_u32_e32 v7, 0x80, v7
	global_store_byte v0, v1, s[26:27]
	s_or_b64 exec, exec, s[40:41]
	v_cmp_gt_i32_e32 vcc, s48, v7
	s_and_saveexec_b64 s[40:41], vcc
	s_cbranch_execnz .LBB149_172
.LBB149_187:
	s_or_b64 exec, exec, s[40:41]
	v_cmp_gt_i32_e32 vcc, s48, v7
	s_and_saveexec_b64 s[40:41], vcc
	s_cbranch_execz .LBB149_203
.LBB149_188:
	s_andn2_b64 vcc, exec, s[22:23]
	s_cbranch_vccnz .LBB149_193
; %bb.189:
	s_andn2_b64 vcc, exec, s[38:39]
	s_cbranch_vccnz .LBB149_194
; %bb.190:
	s_add_i32 s51, s49, 1
	s_cmp_eq_u32 s46, 2
	s_cbranch_scc1 .LBB149_211
; %bb.191:
	s_and_b32 s50, s51, 28
	s_mov_b32 s52, 0
	v_mov_b32_e32 v0, 0
	s_mov_b64 s[42:43], s[20:21]
	s_mov_b64 s[44:45], s[36:37]
	v_mov_b32_e32 v1, v7
.LBB149_192:                            ; =>This Inner Loop Header: Depth=1
	s_load_dwordx8 s[0:7], s[42:43], 0x4
	s_load_dwordx4 s[12:15], s[42:43], 0x24
	s_load_dwordx4 s[16:19], s[44:45], 0x0
	s_add_u32 s42, s42, 48
	s_addc_u32 s43, s43, 0
	s_waitcnt lgkmcnt(0)
	v_mul_hi_u32 v2, s1, v1
	s_add_i32 s52, s52, 4
	s_add_u32 s44, s44, 16
	s_addc_u32 s45, s45, 0
	v_add_u32_e32 v2, v1, v2
	v_lshrrev_b32_e32 v2, s2, v2
	v_mul_lo_u32 v3, v2, s0
	v_mul_hi_u32 v4, s4, v2
	s_cmp_eq_u32 s50, s52
	v_sub_u32_e32 v1, v1, v3
	v_add_u32_e32 v3, v2, v4
	v_lshrrev_b32_e32 v3, s5, v3
	v_mul_lo_u32 v4, v1, s16
	v_mul_hi_u32 v1, s7, v3
	v_mul_lo_u32 v6, v3, s3
	v_add_u32_e32 v1, v3, v1
	v_lshrrev_b32_e32 v5, s12, v1
	v_mul_hi_u32 v1, s14, v5
	v_sub_u32_e32 v2, v2, v6
	v_mul_lo_u32 v6, v5, s6
	v_mul_lo_u32 v2, v2, s17
	v_add_u32_e32 v1, v5, v1
	v_lshrrev_b32_e32 v1, s15, v1
	v_mul_lo_u32 v8, v1, s13
	v_sub_u32_e32 v3, v3, v6
	v_mul_lo_u32 v3, v3, s18
	v_add3_u32 v0, v4, v0, v2
	v_sub_u32_e32 v5, v5, v8
	v_mul_lo_u32 v5, v5, s19
	v_add3_u32 v0, v3, v0, v5
	s_cbranch_scc0 .LBB149_192
	s_branch .LBB149_212
.LBB149_193:
                                        ; implicit-def: $vgpr0
	s_branch .LBB149_216
.LBB149_194:
	v_mov_b32_e32 v0, 0
	s_branch .LBB149_215
.LBB149_195:
	v_mov_b32_e32 v0, 0
	s_mov_b32 s50, 0
	v_mov_b32_e32 v1, v7
.LBB149_196:
	s_and_b32 s4, s51, 3
	s_cmp_eq_u32 s4, 0
	s_cbranch_scc1 .LBB149_199
; %bb.197:
	s_lshl_b32 s0, s50, 2
	s_add_u32 s0, s20, s0
	s_addc_u32 s1, s21, 0
	s_add_u32 s0, s0, 0xc4
	s_addc_u32 s1, s1, 0
	s_mul_i32 s2, s50, 12
	s_add_u32 s2, s20, s2
	s_addc_u32 s3, s21, 0
.LBB149_198:                            ; =>This Inner Loop Header: Depth=1
	s_load_dwordx2 s[6:7], s[2:3], 0x4
	s_load_dword s5, s[2:3], 0xc
	s_add_u32 s2, s2, 12
	s_addc_u32 s3, s3, 0
	s_waitcnt lgkmcnt(0)
	v_mul_hi_u32 v2, s7, v1
	s_load_dword s7, s[0:1], 0x0
	s_add_u32 s0, s0, 4
	s_addc_u32 s1, s1, 0
	v_add_u32_e32 v2, v1, v2
	v_lshrrev_b32_e32 v2, s5, v2
	v_mul_lo_u32 v3, v2, s6
	s_add_i32 s4, s4, -1
	s_cmp_lg_u32 s4, 0
	v_sub_u32_e32 v1, v1, v3
	s_waitcnt lgkmcnt(0)
	v_mad_u64_u32 v[0:1], s[6:7], v1, s7, v[0:1]
	v_mov_b32_e32 v1, v2
	s_cbranch_scc1 .LBB149_198
.LBB149_199:
	s_cbranch_execnz .LBB149_202
.LBB149_200:
	s_waitcnt lgkmcnt(0)
	v_mul_hi_u32 v0, s9, v7
	s_andn2_b64 vcc, exec, s[34:35]
	v_add_u32_e32 v0, v7, v0
	v_lshrrev_b32_e32 v1, s10, v0
	v_mul_lo_u32 v0, v1, s8
	v_sub_u32_e32 v0, v7, v0
	v_mul_lo_u32 v0, v0, s28
	s_cbranch_vccnz .LBB149_202
; %bb.201:
	v_mul_hi_u32 v2, s30, v1
	v_add_u32_e32 v2, v1, v2
	v_lshrrev_b32_e32 v2, s31, v2
	v_mul_lo_u32 v2, v2, s11
	v_sub_u32_e32 v1, v1, v2
	v_mad_u64_u32 v[0:1], s[0:1], v1, s29, v[0:1]
.LBB149_202:
	s_waitcnt lgkmcnt(0)
	v_mov_b32_e32 v1, s47
	v_add_u32_e32 v7, 0x80, v7
	global_store_byte v0, v1, s[26:27]
	s_or_b64 exec, exec, s[40:41]
	v_cmp_gt_i32_e32 vcc, s48, v7
	s_and_saveexec_b64 s[40:41], vcc
	s_cbranch_execnz .LBB149_188
.LBB149_203:
	s_or_b64 exec, exec, s[40:41]
	v_cmp_gt_i32_e32 vcc, s48, v7
	s_and_saveexec_b64 s[40:41], vcc
	s_cbranch_execz .LBB149_219
.LBB149_204:
	s_andn2_b64 vcc, exec, s[22:23]
	s_cbranch_vccnz .LBB149_209
; %bb.205:
	s_andn2_b64 vcc, exec, s[38:39]
	s_cbranch_vccnz .LBB149_210
; %bb.206:
	s_add_i32 s51, s49, 1
	s_cmp_eq_u32 s46, 2
	s_cbranch_scc1 .LBB149_222
; %bb.207:
	s_and_b32 s50, s51, 28
	s_mov_b32 s52, 0
	v_mov_b32_e32 v0, 0
	s_mov_b64 s[42:43], s[20:21]
	s_mov_b64 s[44:45], s[36:37]
	v_mov_b32_e32 v1, v7
.LBB149_208:                            ; =>This Inner Loop Header: Depth=1
	s_load_dwordx8 s[0:7], s[42:43], 0x4
	s_load_dwordx4 s[12:15], s[42:43], 0x24
	s_load_dwordx4 s[16:19], s[44:45], 0x0
	s_add_u32 s42, s42, 48
	s_addc_u32 s43, s43, 0
	s_waitcnt lgkmcnt(0)
	v_mul_hi_u32 v2, s1, v1
	s_add_i32 s52, s52, 4
	s_add_u32 s44, s44, 16
	s_addc_u32 s45, s45, 0
	v_add_u32_e32 v2, v1, v2
	v_lshrrev_b32_e32 v2, s2, v2
	v_mul_lo_u32 v3, v2, s0
	v_mul_hi_u32 v4, s4, v2
	s_cmp_eq_u32 s50, s52
	v_sub_u32_e32 v1, v1, v3
	v_add_u32_e32 v3, v2, v4
	v_lshrrev_b32_e32 v3, s5, v3
	v_mul_lo_u32 v4, v1, s16
	v_mul_hi_u32 v1, s7, v3
	v_mul_lo_u32 v6, v3, s3
	v_add_u32_e32 v1, v3, v1
	v_lshrrev_b32_e32 v5, s12, v1
	v_mul_hi_u32 v1, s14, v5
	v_sub_u32_e32 v2, v2, v6
	v_mul_lo_u32 v6, v5, s6
	v_mul_lo_u32 v2, v2, s17
	v_add_u32_e32 v1, v5, v1
	v_lshrrev_b32_e32 v1, s15, v1
	v_mul_lo_u32 v8, v1, s13
	v_sub_u32_e32 v3, v3, v6
	v_mul_lo_u32 v3, v3, s18
	v_add3_u32 v0, v4, v0, v2
	v_sub_u32_e32 v5, v5, v8
	v_mul_lo_u32 v5, v5, s19
	v_add3_u32 v0, v3, v0, v5
	s_cbranch_scc0 .LBB149_208
	s_branch .LBB149_223
.LBB149_209:
                                        ; implicit-def: $vgpr0
	s_branch .LBB149_227
.LBB149_210:
	v_mov_b32_e32 v0, 0
	s_branch .LBB149_226
.LBB149_211:
	v_mov_b32_e32 v0, 0
	s_mov_b32 s50, 0
	v_mov_b32_e32 v1, v7
.LBB149_212:
	s_and_b32 s4, s51, 3
	s_cmp_eq_u32 s4, 0
	s_cbranch_scc1 .LBB149_215
; %bb.213:
	s_lshl_b32 s0, s50, 2
	s_add_u32 s0, s20, s0
	s_addc_u32 s1, s21, 0
	s_add_u32 s0, s0, 0xc4
	s_addc_u32 s1, s1, 0
	s_mul_i32 s2, s50, 12
	s_add_u32 s2, s20, s2
	s_addc_u32 s3, s21, 0
.LBB149_214:                            ; =>This Inner Loop Header: Depth=1
	s_load_dwordx2 s[6:7], s[2:3], 0x4
	s_load_dword s5, s[2:3], 0xc
	s_add_u32 s2, s2, 12
	s_addc_u32 s3, s3, 0
	s_waitcnt lgkmcnt(0)
	v_mul_hi_u32 v2, s7, v1
	s_load_dword s7, s[0:1], 0x0
	s_add_u32 s0, s0, 4
	s_addc_u32 s1, s1, 0
	v_add_u32_e32 v2, v1, v2
	v_lshrrev_b32_e32 v2, s5, v2
	v_mul_lo_u32 v3, v2, s6
	s_add_i32 s4, s4, -1
	s_cmp_lg_u32 s4, 0
	v_sub_u32_e32 v1, v1, v3
	s_waitcnt lgkmcnt(0)
	v_mad_u64_u32 v[0:1], s[6:7], v1, s7, v[0:1]
	v_mov_b32_e32 v1, v2
	s_cbranch_scc1 .LBB149_214
.LBB149_215:
	s_cbranch_execnz .LBB149_218
.LBB149_216:
	s_waitcnt lgkmcnt(0)
	v_mul_hi_u32 v0, s9, v7
	s_andn2_b64 vcc, exec, s[34:35]
	v_add_u32_e32 v0, v7, v0
	v_lshrrev_b32_e32 v1, s10, v0
	v_mul_lo_u32 v0, v1, s8
	v_sub_u32_e32 v0, v7, v0
	v_mul_lo_u32 v0, v0, s28
	s_cbranch_vccnz .LBB149_218
; %bb.217:
	v_mul_hi_u32 v2, s30, v1
	v_add_u32_e32 v2, v1, v2
	v_lshrrev_b32_e32 v2, s31, v2
	v_mul_lo_u32 v2, v2, s11
	v_sub_u32_e32 v1, v1, v2
	v_mad_u64_u32 v[0:1], s[0:1], v1, s29, v[0:1]
.LBB149_218:
	s_waitcnt lgkmcnt(0)
	v_mov_b32_e32 v1, s47
	v_add_u32_e32 v7, 0x80, v7
	global_store_byte v0, v1, s[26:27]
	s_or_b64 exec, exec, s[40:41]
	v_cmp_gt_i32_e32 vcc, s48, v7
	s_and_saveexec_b64 s[40:41], vcc
	s_cbranch_execnz .LBB149_204
.LBB149_219:
	s_or_b64 exec, exec, s[40:41]
	v_cmp_gt_i32_e32 vcc, s48, v7
	s_and_saveexec_b64 s[40:41], vcc
	s_cbranch_execnz .LBB149_230
.LBB149_220:
	s_or_b64 exec, exec, s[40:41]
                                        ; implicit-def: $vgpr9
                                        ; implicit-def: $vgpr7
	s_andn2_saveexec_b64 s[0:1], s[24:25]
	s_cbranch_execnz .LBB149_8
.LBB149_221:
	s_endpgm
.LBB149_222:
	v_mov_b32_e32 v0, 0
	s_mov_b32 s50, 0
	v_mov_b32_e32 v1, v7
.LBB149_223:
	s_and_b32 s4, s51, 3
	s_cmp_eq_u32 s4, 0
	s_cbranch_scc1 .LBB149_226
; %bb.224:
	s_lshl_b32 s0, s50, 2
	s_add_u32 s0, s20, s0
	s_addc_u32 s1, s21, 0
	s_add_u32 s0, s0, 0xc4
	s_addc_u32 s1, s1, 0
	s_mul_i32 s2, s50, 12
	s_add_u32 s2, s20, s2
	s_addc_u32 s3, s21, 0
.LBB149_225:                            ; =>This Inner Loop Header: Depth=1
	s_load_dwordx2 s[6:7], s[2:3], 0x4
	s_load_dword s5, s[2:3], 0xc
	s_add_u32 s2, s2, 12
	s_addc_u32 s3, s3, 0
	s_waitcnt lgkmcnt(0)
	v_mul_hi_u32 v2, s7, v1
	s_load_dword s7, s[0:1], 0x0
	s_add_u32 s0, s0, 4
	s_addc_u32 s1, s1, 0
	v_add_u32_e32 v2, v1, v2
	v_lshrrev_b32_e32 v2, s5, v2
	v_mul_lo_u32 v3, v2, s6
	s_add_i32 s4, s4, -1
	s_cmp_lg_u32 s4, 0
	v_sub_u32_e32 v1, v1, v3
	s_waitcnt lgkmcnt(0)
	v_mad_u64_u32 v[0:1], s[6:7], v1, s7, v[0:1]
	v_mov_b32_e32 v1, v2
	s_cbranch_scc1 .LBB149_225
.LBB149_226:
	s_cbranch_execnz .LBB149_229
.LBB149_227:
	s_waitcnt lgkmcnt(0)
	v_mul_hi_u32 v0, s9, v7
	s_andn2_b64 vcc, exec, s[34:35]
	v_add_u32_e32 v0, v7, v0
	v_lshrrev_b32_e32 v1, s10, v0
	v_mul_lo_u32 v0, v1, s8
	v_sub_u32_e32 v0, v7, v0
	v_mul_lo_u32 v0, v0, s28
	s_cbranch_vccnz .LBB149_229
; %bb.228:
	v_mul_hi_u32 v2, s30, v1
	v_add_u32_e32 v2, v1, v2
	v_lshrrev_b32_e32 v2, s31, v2
	v_mul_lo_u32 v2, v2, s11
	v_sub_u32_e32 v1, v1, v2
	v_mad_u64_u32 v[0:1], s[0:1], v1, s29, v[0:1]
.LBB149_229:
	s_waitcnt lgkmcnt(0)
	v_mov_b32_e32 v1, s47
	v_add_u32_e32 v7, 0x80, v7
	global_store_byte v0, v1, s[26:27]
	s_or_b64 exec, exec, s[40:41]
	v_cmp_gt_i32_e32 vcc, s48, v7
	s_and_saveexec_b64 s[40:41], vcc
	s_cbranch_execz .LBB149_220
.LBB149_230:
	s_andn2_b64 vcc, exec, s[22:23]
	s_cbranch_vccnz .LBB149_235
; %bb.231:
	s_andn2_b64 vcc, exec, s[38:39]
	s_cbranch_vccnz .LBB149_236
; %bb.232:
	s_add_i32 s49, s49, 1
	s_cmp_eq_u32 s46, 2
	s_cbranch_scc1 .LBB149_237
; %bb.233:
	s_and_b32 s42, s49, 28
	s_mov_b32 s43, 0
	v_mov_b32_e32 v0, 0
	s_mov_b64 s[38:39], s[20:21]
	v_mov_b32_e32 v1, v7
.LBB149_234:                            ; =>This Inner Loop Header: Depth=1
	s_load_dwordx8 s[0:7], s[38:39], 0x4
	s_load_dwordx4 s[12:15], s[38:39], 0x24
	s_load_dwordx4 s[16:19], s[36:37], 0x0
	s_add_u32 s38, s38, 48
	s_addc_u32 s39, s39, 0
	s_waitcnt lgkmcnt(0)
	v_mul_hi_u32 v2, s1, v1
	s_add_i32 s43, s43, 4
	s_add_u32 s36, s36, 16
	s_addc_u32 s37, s37, 0
	v_add_u32_e32 v2, v1, v2
	v_lshrrev_b32_e32 v2, s2, v2
	v_mul_lo_u32 v3, v2, s0
	v_mul_hi_u32 v4, s4, v2
	s_cmp_eq_u32 s42, s43
	v_sub_u32_e32 v1, v1, v3
	v_add_u32_e32 v3, v2, v4
	v_lshrrev_b32_e32 v3, s5, v3
	v_mul_lo_u32 v4, v1, s16
	v_mul_hi_u32 v1, s7, v3
	v_mul_lo_u32 v6, v3, s3
	v_add_u32_e32 v1, v3, v1
	v_lshrrev_b32_e32 v5, s12, v1
	v_mul_hi_u32 v1, s14, v5
	v_sub_u32_e32 v2, v2, v6
	v_mul_lo_u32 v6, v5, s6
	v_mul_lo_u32 v2, v2, s17
	v_add_u32_e32 v1, v5, v1
	v_lshrrev_b32_e32 v1, s15, v1
	v_mul_lo_u32 v8, v1, s13
	v_sub_u32_e32 v3, v3, v6
	v_mul_lo_u32 v3, v3, s18
	v_add3_u32 v0, v4, v0, v2
	v_sub_u32_e32 v5, v5, v8
	v_mul_lo_u32 v5, v5, s19
	v_add3_u32 v0, v3, v0, v5
	s_cbranch_scc0 .LBB149_234
	s_branch .LBB149_238
.LBB149_235:
                                        ; implicit-def: $vgpr0
	s_branch .LBB149_242
.LBB149_236:
	v_mov_b32_e32 v0, 0
	s_branch .LBB149_241
.LBB149_237:
	v_mov_b32_e32 v0, 0
	s_mov_b32 s42, 0
	v_mov_b32_e32 v1, v7
.LBB149_238:
	s_and_b32 s4, s49, 3
	s_cmp_eq_u32 s4, 0
	s_cbranch_scc1 .LBB149_241
; %bb.239:
	s_lshl_b32 s0, s42, 2
	s_add_u32 s0, s20, s0
	s_addc_u32 s1, s21, 0
	s_add_u32 s0, s0, 0xc4
	s_addc_u32 s1, s1, 0
	s_mul_i32 s2, s42, 12
	s_add_u32 s2, s20, s2
	s_addc_u32 s3, s21, 0
.LBB149_240:                            ; =>This Inner Loop Header: Depth=1
	s_load_dwordx2 s[6:7], s[2:3], 0x4
	s_load_dword s5, s[2:3], 0xc
	s_add_u32 s2, s2, 12
	s_addc_u32 s3, s3, 0
	s_waitcnt lgkmcnt(0)
	v_mul_hi_u32 v2, s7, v1
	s_load_dword s7, s[0:1], 0x0
	s_add_u32 s0, s0, 4
	s_addc_u32 s1, s1, 0
	v_add_u32_e32 v2, v1, v2
	v_lshrrev_b32_e32 v2, s5, v2
	v_mul_lo_u32 v3, v2, s6
	s_add_i32 s4, s4, -1
	s_cmp_lg_u32 s4, 0
	v_sub_u32_e32 v1, v1, v3
	s_waitcnt lgkmcnt(0)
	v_mad_u64_u32 v[0:1], s[6:7], v1, s7, v[0:1]
	v_mov_b32_e32 v1, v2
	s_cbranch_scc1 .LBB149_240
.LBB149_241:
	s_cbranch_execnz .LBB149_244
.LBB149_242:
	s_waitcnt lgkmcnt(0)
	v_mul_hi_u32 v0, s9, v7
	s_andn2_b64 vcc, exec, s[34:35]
	v_add_u32_e32 v0, v7, v0
	v_lshrrev_b32_e32 v1, s10, v0
	v_mul_lo_u32 v0, v1, s8
	v_sub_u32_e32 v0, v7, v0
	v_mul_lo_u32 v0, v0, s28
	s_cbranch_vccnz .LBB149_244
; %bb.243:
	v_mul_hi_u32 v2, s30, v1
	v_add_u32_e32 v2, v1, v2
	v_lshrrev_b32_e32 v2, s31, v2
	v_mul_lo_u32 v2, v2, s11
	v_sub_u32_e32 v1, v1, v2
	v_mad_u64_u32 v[0:1], s[0:1], v1, s29, v[0:1]
.LBB149_244:
	s_waitcnt lgkmcnt(0)
	v_mov_b32_e32 v1, s47
	global_store_byte v0, v1, s[26:27]
	s_or_b64 exec, exec, s[40:41]
                                        ; implicit-def: $vgpr9
                                        ; implicit-def: $vgpr7
	s_andn2_saveexec_b64 s[0:1], s[24:25]
	s_cbranch_execz .LBB149_221
	s_branch .LBB149_8
	.section	.rodata,"a",@progbits
	.p2align	6, 0x0
	.amdhsa_kernel _ZN2at6native32elementwise_kernel_manual_unrollILi128ELi8EZNS0_22gpu_kernel_impl_nocastINS0_11FillFunctorIN3c1014Float8_e8m0fnuEEEEEvRNS_18TensorIteratorBaseERKT_EUlibE_EEviT1_
		.amdhsa_group_segment_fixed_size 0
		.amdhsa_private_segment_fixed_size 0
		.amdhsa_kernarg_size 288
		.amdhsa_user_sgpr_count 6
		.amdhsa_user_sgpr_private_segment_buffer 1
		.amdhsa_user_sgpr_dispatch_ptr 0
		.amdhsa_user_sgpr_queue_ptr 0
		.amdhsa_user_sgpr_kernarg_segment_ptr 1
		.amdhsa_user_sgpr_dispatch_id 0
		.amdhsa_user_sgpr_flat_scratch_init 0
		.amdhsa_user_sgpr_private_segment_size 0
		.amdhsa_uses_dynamic_stack 0
		.amdhsa_system_sgpr_private_segment_wavefront_offset 0
		.amdhsa_system_sgpr_workgroup_id_x 1
		.amdhsa_system_sgpr_workgroup_id_y 0
		.amdhsa_system_sgpr_workgroup_id_z 0
		.amdhsa_system_sgpr_workgroup_info 0
		.amdhsa_system_vgpr_workitem_id 0
		.amdhsa_next_free_vgpr 16
		.amdhsa_next_free_sgpr 53
		.amdhsa_reserve_vcc 1
		.amdhsa_reserve_flat_scratch 0
		.amdhsa_float_round_mode_32 0
		.amdhsa_float_round_mode_16_64 0
		.amdhsa_float_denorm_mode_32 3
		.amdhsa_float_denorm_mode_16_64 3
		.amdhsa_dx10_clamp 1
		.amdhsa_ieee_mode 1
		.amdhsa_fp16_overflow 0
		.amdhsa_exception_fp_ieee_invalid_op 0
		.amdhsa_exception_fp_denorm_src 0
		.amdhsa_exception_fp_ieee_div_zero 0
		.amdhsa_exception_fp_ieee_overflow 0
		.amdhsa_exception_fp_ieee_underflow 0
		.amdhsa_exception_fp_ieee_inexact 0
		.amdhsa_exception_int_div_zero 0
	.end_amdhsa_kernel
	.section	.text._ZN2at6native32elementwise_kernel_manual_unrollILi128ELi8EZNS0_22gpu_kernel_impl_nocastINS0_11FillFunctorIN3c1014Float8_e8m0fnuEEEEEvRNS_18TensorIteratorBaseERKT_EUlibE_EEviT1_,"axG",@progbits,_ZN2at6native32elementwise_kernel_manual_unrollILi128ELi8EZNS0_22gpu_kernel_impl_nocastINS0_11FillFunctorIN3c1014Float8_e8m0fnuEEEEEvRNS_18TensorIteratorBaseERKT_EUlibE_EEviT1_,comdat
.Lfunc_end149:
	.size	_ZN2at6native32elementwise_kernel_manual_unrollILi128ELi8EZNS0_22gpu_kernel_impl_nocastINS0_11FillFunctorIN3c1014Float8_e8m0fnuEEEEEvRNS_18TensorIteratorBaseERKT_EUlibE_EEviT1_, .Lfunc_end149-_ZN2at6native32elementwise_kernel_manual_unrollILi128ELi8EZNS0_22gpu_kernel_impl_nocastINS0_11FillFunctorIN3c1014Float8_e8m0fnuEEEEEvRNS_18TensorIteratorBaseERKT_EUlibE_EEviT1_
                                        ; -- End function
	.set _ZN2at6native32elementwise_kernel_manual_unrollILi128ELi8EZNS0_22gpu_kernel_impl_nocastINS0_11FillFunctorIN3c1014Float8_e8m0fnuEEEEEvRNS_18TensorIteratorBaseERKT_EUlibE_EEviT1_.num_vgpr, 16
	.set _ZN2at6native32elementwise_kernel_manual_unrollILi128ELi8EZNS0_22gpu_kernel_impl_nocastINS0_11FillFunctorIN3c1014Float8_e8m0fnuEEEEEvRNS_18TensorIteratorBaseERKT_EUlibE_EEviT1_.num_agpr, 0
	.set _ZN2at6native32elementwise_kernel_manual_unrollILi128ELi8EZNS0_22gpu_kernel_impl_nocastINS0_11FillFunctorIN3c1014Float8_e8m0fnuEEEEEvRNS_18TensorIteratorBaseERKT_EUlibE_EEviT1_.numbered_sgpr, 53
	.set _ZN2at6native32elementwise_kernel_manual_unrollILi128ELi8EZNS0_22gpu_kernel_impl_nocastINS0_11FillFunctorIN3c1014Float8_e8m0fnuEEEEEvRNS_18TensorIteratorBaseERKT_EUlibE_EEviT1_.num_named_barrier, 0
	.set _ZN2at6native32elementwise_kernel_manual_unrollILi128ELi8EZNS0_22gpu_kernel_impl_nocastINS0_11FillFunctorIN3c1014Float8_e8m0fnuEEEEEvRNS_18TensorIteratorBaseERKT_EUlibE_EEviT1_.private_seg_size, 0
	.set _ZN2at6native32elementwise_kernel_manual_unrollILi128ELi8EZNS0_22gpu_kernel_impl_nocastINS0_11FillFunctorIN3c1014Float8_e8m0fnuEEEEEvRNS_18TensorIteratorBaseERKT_EUlibE_EEviT1_.uses_vcc, 1
	.set _ZN2at6native32elementwise_kernel_manual_unrollILi128ELi8EZNS0_22gpu_kernel_impl_nocastINS0_11FillFunctorIN3c1014Float8_e8m0fnuEEEEEvRNS_18TensorIteratorBaseERKT_EUlibE_EEviT1_.uses_flat_scratch, 0
	.set _ZN2at6native32elementwise_kernel_manual_unrollILi128ELi8EZNS0_22gpu_kernel_impl_nocastINS0_11FillFunctorIN3c1014Float8_e8m0fnuEEEEEvRNS_18TensorIteratorBaseERKT_EUlibE_EEviT1_.has_dyn_sized_stack, 0
	.set _ZN2at6native32elementwise_kernel_manual_unrollILi128ELi8EZNS0_22gpu_kernel_impl_nocastINS0_11FillFunctorIN3c1014Float8_e8m0fnuEEEEEvRNS_18TensorIteratorBaseERKT_EUlibE_EEviT1_.has_recursion, 0
	.set _ZN2at6native32elementwise_kernel_manual_unrollILi128ELi8EZNS0_22gpu_kernel_impl_nocastINS0_11FillFunctorIN3c1014Float8_e8m0fnuEEEEEvRNS_18TensorIteratorBaseERKT_EUlibE_EEviT1_.has_indirect_call, 0
	.section	.AMDGPU.csdata,"",@progbits
; Kernel info:
; codeLenInByte = 9820
; TotalNumSgprs: 57
; NumVgprs: 16
; ScratchSize: 0
; MemoryBound: 0
; FloatMode: 240
; IeeeMode: 1
; LDSByteSize: 0 bytes/workgroup (compile time only)
; SGPRBlocks: 7
; VGPRBlocks: 3
; NumSGPRsForWavesPerEU: 57
; NumVGPRsForWavesPerEU: 16
; Occupancy: 10
; WaveLimiterHint : 1
; COMPUTE_PGM_RSRC2:SCRATCH_EN: 0
; COMPUTE_PGM_RSRC2:USER_SGPR: 6
; COMPUTE_PGM_RSRC2:TRAP_HANDLER: 0
; COMPUTE_PGM_RSRC2:TGID_X_EN: 1
; COMPUTE_PGM_RSRC2:TGID_Y_EN: 0
; COMPUTE_PGM_RSRC2:TGID_Z_EN: 0
; COMPUTE_PGM_RSRC2:TIDIG_COMP_CNT: 0
	.section	.text._ZN2at6native32elementwise_kernel_manual_unrollILi128ELi4EZNS0_15gpu_kernel_implINS0_11FillFunctorIN3c1014Float8_e8m0fnuEEEEEvRNS_18TensorIteratorBaseERKT_EUlibE_EEviT1_,"axG",@progbits,_ZN2at6native32elementwise_kernel_manual_unrollILi128ELi4EZNS0_15gpu_kernel_implINS0_11FillFunctorIN3c1014Float8_e8m0fnuEEEEEvRNS_18TensorIteratorBaseERKT_EUlibE_EEviT1_,comdat
	.protected	_ZN2at6native32elementwise_kernel_manual_unrollILi128ELi4EZNS0_15gpu_kernel_implINS0_11FillFunctorIN3c1014Float8_e8m0fnuEEEEEvRNS_18TensorIteratorBaseERKT_EUlibE_EEviT1_ ; -- Begin function _ZN2at6native32elementwise_kernel_manual_unrollILi128ELi4EZNS0_15gpu_kernel_implINS0_11FillFunctorIN3c1014Float8_e8m0fnuEEEEEvRNS_18TensorIteratorBaseERKT_EUlibE_EEviT1_
	.globl	_ZN2at6native32elementwise_kernel_manual_unrollILi128ELi4EZNS0_15gpu_kernel_implINS0_11FillFunctorIN3c1014Float8_e8m0fnuEEEEEvRNS_18TensorIteratorBaseERKT_EUlibE_EEviT1_
	.p2align	8
	.type	_ZN2at6native32elementwise_kernel_manual_unrollILi128ELi4EZNS0_15gpu_kernel_implINS0_11FillFunctorIN3c1014Float8_e8m0fnuEEEEEvRNS_18TensorIteratorBaseERKT_EUlibE_EEviT1_,@function
_ZN2at6native32elementwise_kernel_manual_unrollILi128ELi4EZNS0_15gpu_kernel_implINS0_11FillFunctorIN3c1014Float8_e8m0fnuEEEEEvRNS_18TensorIteratorBaseERKT_EUlibE_EEviT1_: ; @_ZN2at6native32elementwise_kernel_manual_unrollILi128ELi4EZNS0_15gpu_kernel_implINS0_11FillFunctorIN3c1014Float8_e8m0fnuEEEEEvRNS_18TensorIteratorBaseERKT_EUlibE_EEviT1_
; %bb.0:
	s_load_dwordx4 s[16:19], s[4:5], 0x8
	s_load_dword s46, s[4:5], 0x0
	v_lshl_or_b32 v25, s6, 9, v0
	v_or_b32_e32 v0, 0x180, v25
	s_mov_b64 s[20:21], 0
	s_waitcnt lgkmcnt(0)
	s_bfe_u32 s33, s19, 0x80008
	v_cmp_le_i32_e32 vcc, s46, v0
	s_mov_b64 s[0:1], 0
	s_and_saveexec_b64 s[2:3], vcc
	s_xor_b64 s[22:23], exec, s[2:3]
	s_cbranch_execz .LBB150_404
; %bb.1:
	s_and_b32 s2, s19, 0xff
	s_lshl_b32 s3, s2, 23
	v_trunc_f32_e32 v2, s3
	s_mov_b32 s0, 0x2f800000
	v_mul_f32_e64 v0, |v2|, s0
	v_floor_f32_e32 v0, v0
	s_mov_b32 s0, 0xcf800000
	v_fma_f32 v1, v0, s0, |v2|
	v_cvt_u32_f32_e32 v1, v1
	v_cvt_u32_f32_e32 v0, v0
	v_ashrrev_i32_e32 v4, 31, v2
	s_cmp_eq_u32 s2, 0
	v_xor_b32_e32 v1, v1, v4
	v_xor_b32_e32 v0, v0, v4
	v_sub_co_u32_e32 v1, vcc, v1, v4
	v_subb_co_u32_e32 v0, vcc, v0, v4, vcc
	v_cvt_i32_f32_e32 v6, s3
	s_cselect_b64 s[0:1], -1, 0
	v_cndmask_b32_e64 v4, v1, 0, s[0:1]
	v_cndmask_b32_e64 v5, v0, 0, s[0:1]
	v_cvt_f64_f32_e32 v[0:1], s3
	v_cvt_f16_f32_e32 v3, s3
	s_cmpk_eq_i32 s2, 0xff
	v_cndmask_b32_e64 v10, v6, 0, s[0:1]
	v_mov_b32_e32 v6, 0x7ff80000
	s_cselect_b64 vcc, -1, 0
	v_cndmask_b32_e32 v1, v1, v6, vcc
	v_bfrev_b32_e32 v6, 4
	v_cndmask_b32_e32 v0, v0, v6, vcc
	v_mov_b32_e32 v6, 0x7e00
	v_cndmask_b32_e32 v3, v3, v6, vcc
	v_mul_f32_e32 v6, 0x2f800000, v2
	v_floor_f32_e32 v6, v6
	v_fmac_f32_e32 v2, 0xcf800000, v6
	v_cvt_u32_f32_e32 v6, v6
	v_cvt_u32_f32_e32 v2, v2
	;; [unrolled: 1-line block ×3, first 2 shown]
	s_and_b64 s[0:1], vcc, exec
	s_cselect_b32 s4, 0x7f800001, s3
	s_cmp_eq_u32 s2, 0
	s_cselect_b64 s[0:1], -1, 0
	v_cndmask_b32_e64 v7, v6, 0, s[0:1]
	v_cndmask_b32_e64 v6, v2, 0, s[0:1]
	;; [unrolled: 1-line block ×3, first 2 shown]
	v_mov_b32_e32 v2, s3
	v_mov_b32_e32 v8, 0x7f800001
	v_cndmask_b32_e32 v2, v2, v8, vcc
	v_mov_b32_e32 v8, 0x400000
	v_cndmask_b32_e64 v12, v2, v8, s[0:1]
	v_bfrev_b32_e32 v2, 28
	v_cndmask_b32_e64 v0, v0, 0, s[0:1]
	v_cndmask_b32_e64 v1, v1, v2, s[0:1]
	s_and_b64 s[2:3], s[0:1], exec
	v_cndmask_b32_e64 v11, v3, 0, s[0:1]
	s_mov_b32 s0, 0x43800000
	v_add_u32_e32 v2, 0x487ffff, v12
	v_cmp_gt_u32_e64 s[14:15], s0, v12
	s_mov_b32 s0, 0x3bffffff
	v_lshrrev_b32_e32 v22, 20, v2
	v_add_f32_e32 v23, 0x46000000, v12
	v_add_u32_e32 v2, 0x407ffff, v12
	v_cmp_lt_u32_e64 s[12:13], s0, v12
	v_readfirstlane_b32 s0, v23
	v_lshrrev_b32_e32 v3, 20, v2
	v_and_b32_e32 v2, 0xfc00000, v2
	s_mov_b32 s6, 0x7f00000
	s_cselect_b32 s50, 0x400000, s4
	s_and_b32 s0, s0, 0xff
	v_mov_b32_e32 v8, 0x7e
	v_cmp_ne_u32_e32 vcc, s6, v2
	s_mov_b32 s6, 0x7f800000
	v_add_f32_e32 v20, 0x42800000, v12
	s_cmp_lg_u32 s0, 0
	v_cndmask_b32_e32 v15, v8, v3, vcc
	v_cmp_lt_u32_e32 vcc, s6, v12
	v_readfirstlane_b32 s6, v20
	s_cselect_b64 s[26:27], -1, 0
	v_mov_b32_e32 v2, 0x7f
	v_mov_b32_e32 v3, 0x7c
	s_and_b32 s6, s6, 0xff
	v_cndmask_b32_e32 v16, v8, v2, vcc
	v_cndmask_b32_e32 v14, v3, v2, vcc
	v_cmp_o_f32_e32 vcc, v12, v12
	v_add_u32_e32 v2, 0x7fff, v12
	v_mov_b32_e32 v3, 0x7fc0
	s_cmp_lg_u32 s6, 0
	s_mov_b32 s6, 0x43efffff
	s_mov_b32 s2, 0x47800000
	v_cndmask_b32_sdwa v13, v3, v2, vcc dst_sel:DWORD dst_unused:UNUSED_PAD src0_sel:DWORD src1_sel:WORD_1
	v_add_u32_e32 v2, 0x88fffff, v12
	v_cmp_lt_u32_e64 s[8:9], s6, v12
	s_mov_b32 s6, 0x3c800000
	s_mov_b32 s0, 0x477fffff
	v_cmp_gt_u32_e64 s[4:5], s2, v12
	s_mov_b32 s2, 0x37ffffff
	v_lshrrev_b32_e32 v19, 21, v2
	v_cmp_gt_u32_e64 s[10:11], s6, v12
	s_mov_b32 s6, 0x38800000
	v_add_u32_e32 v2, 0x80fffff, v12
	v_cmp_lt_u32_e64 s[0:1], s0, v12
	v_cmp_lt_u32_e64 s[2:3], s2, v12
	s_cselect_b64 s[24:25], -1, 0
	v_cmp_gt_u32_e64 s[6:7], s6, v12
	v_lshrrev_b32_e32 v17, 21, v2
	v_cmp_gt_i32_e32 vcc, s46, v25
	s_mov_b64 s[34:35], -1
	s_mov_b64 s[36:37], 0
	s_mov_b64 s[28:29], 0
	v_add_f32_e32 v21, 0x46800000, v12
	v_add_f32_e32 v18, 0x43000000, v12
	s_and_saveexec_b64 s[30:31], vcc
	s_cbranch_execz .LBB150_100
; %bb.2:
	v_mul_lo_u32 v2, v25, s18
	v_mov_b32_e32 v3, s17
	s_and_b32 s40, 0xffff, s33
	s_cmp_lt_i32 s40, 11
	v_ashrrev_i32_e32 v9, 31, v2
	v_add_co_u32_e32 v8, vcc, s16, v2
	v_addc_co_u32_e32 v9, vcc, v3, v9, vcc
	s_cbranch_scc1 .LBB150_9
; %bb.3:
	s_cmp_gt_i32 s40, 25
	s_cbranch_scc0 .LBB150_12
; %bb.4:
	s_cmp_gt_i32 s40, 28
	s_cbranch_scc0 .LBB150_13
	;; [unrolled: 3-line block ×4, first 2 shown]
; %bb.7:
	s_mov_b64 s[38:39], 0
	s_mov_b64 s[28:29], -1
	s_cmp_eq_u32 s40, 46
	s_mov_b64 s[34:35], 0
	s_cbranch_scc0 .LBB150_16
; %bb.8:
	global_store_dword v[8:9], v13, off
	s_mov_b64 s[34:35], -1
	s_mov_b64 s[28:29], 0
	s_branch .LBB150_16
.LBB150_9:
	s_mov_b64 s[34:35], 0
	s_cbranch_execnz .LBB150_60
.LBB150_10:
	s_andn2_b64 vcc, exec, s[34:35]
	s_cbranch_vccnz .LBB150_98
.LBB150_11:
	v_add_u32_e32 v25, 0x80, v25
	s_mov_b64 s[34:35], -1
	s_branch .LBB150_99
.LBB150_12:
	s_mov_b64 s[34:35], 0
	s_cbranch_execnz .LBB150_38
	s_branch .LBB150_59
.LBB150_13:
	s_mov_b64 s[38:39], -1
	s_mov_b64 s[34:35], 0
	s_branch .LBB150_24
.LBB150_14:
	s_mov_b64 s[38:39], -1
	s_mov_b64 s[34:35], 0
	s_branch .LBB150_20
.LBB150_15:
	s_mov_b64 s[38:39], -1
	s_mov_b64 s[34:35], 0
.LBB150_16:
	s_and_b64 vcc, exec, s[38:39]
	s_cbranch_vccz .LBB150_19
; %bb.17:
	s_cmp_eq_u32 s40, 44
	s_mov_b64 s[28:29], -1
	s_cbranch_scc0 .LBB150_19
; %bb.18:
	v_mov_b32_e32 v2, s19
	global_store_byte v[8:9], v2, off
	s_mov_b64 s[34:35], -1
	s_mov_b64 s[28:29], 0
.LBB150_19:
	s_mov_b64 s[38:39], 0
.LBB150_20:
	s_and_b64 vcc, exec, s[38:39]
	s_cbranch_vccz .LBB150_23
; %bb.21:
	s_cmp_eq_u32 s40, 29
	s_mov_b64 s[28:29], -1
	s_cbranch_scc0 .LBB150_23
; %bb.22:
	global_store_dwordx2 v[8:9], v[6:7], off
	s_mov_b64 s[34:35], -1
	s_mov_b64 s[28:29], 0
.LBB150_23:
	s_mov_b64 s[38:39], 0
.LBB150_24:
	s_and_b64 vcc, exec, s[38:39]
	s_cbranch_vccz .LBB150_37
; %bb.25:
	s_cmp_lt_i32 s40, 27
	s_mov_b64 s[34:35], -1
	s_cbranch_scc1 .LBB150_31
; %bb.26:
	s_cmp_gt_i32 s40, 27
	s_cbranch_scc0 .LBB150_28
; %bb.27:
	s_mov_b64 s[34:35], 0
	global_store_dword v[8:9], v24, off
.LBB150_28:
	s_andn2_b64 vcc, exec, s[34:35]
	s_cbranch_vccnz .LBB150_30
; %bb.29:
	global_store_short v[8:9], v24, off
.LBB150_30:
	s_mov_b64 s[34:35], 0
.LBB150_31:
	s_andn2_b64 vcc, exec, s[34:35]
	s_cbranch_vccnz .LBB150_36
; %bb.32:
	s_andn2_b64 vcc, exec, s[14:15]
	v_mov_b32_e32 v2, 0x80
	s_cbranch_vccnz .LBB150_35
; %bb.33:
	s_or_b64 s[34:35], s[12:13], s[26:27]
	s_andn2_b64 vcc, exec, s[34:35]
	v_mov_b32_e32 v2, 0
	s_cbranch_vccnz .LBB150_35
; %bb.34:
	v_cndmask_b32_e64 v2, v23, v22, s[12:13]
.LBB150_35:
	global_store_byte v[8:9], v2, off
.LBB150_36:
	s_mov_b64 s[34:35], -1
.LBB150_37:
	s_branch .LBB150_59
.LBB150_38:
	s_cmp_gt_i32 s40, 22
	s_mov_b64 s[38:39], -1
	s_cbranch_scc0 .LBB150_51
; %bb.39:
	s_cmp_lt_i32 s40, 24
	s_mov_b64 s[34:35], -1
	s_cbranch_scc1 .LBB150_48
; %bb.40:
	s_cmp_gt_i32 s40, 24
	s_cbranch_scc0 .LBB150_45
; %bb.41:
	s_andn2_b64 vcc, exec, s[4:5]
	v_mov_b32_e32 v2, 0x80
	s_cbranch_vccnz .LBB150_44
; %bb.42:
	s_or_b64 s[34:35], s[2:3], s[24:25]
	s_andn2_b64 vcc, exec, s[34:35]
	v_mov_b32_e32 v2, 0
	s_cbranch_vccnz .LBB150_44
; %bb.43:
	v_cndmask_b32_e64 v2, v20, v19, s[2:3]
.LBB150_44:
	s_mov_b64 s[34:35], 0
	global_store_byte v[8:9], v2, off
.LBB150_45:
	s_and_b64 vcc, exec, s[34:35]
	s_cbranch_vccz .LBB150_47
; %bb.46:
	v_cndmask_b32_e64 v2, v15, v21, s[10:11]
	v_cndmask_b32_e64 v2, v2, v16, s[8:9]
	global_store_byte v[8:9], v2, off
.LBB150_47:
	s_mov_b64 s[34:35], 0
.LBB150_48:
	s_andn2_b64 vcc, exec, s[34:35]
	s_cbranch_vccnz .LBB150_50
; %bb.49:
	v_cndmask_b32_e64 v2, v17, v18, s[6:7]
	v_cndmask_b32_e64 v2, v2, v14, s[0:1]
	global_store_byte v[8:9], v2, off
.LBB150_50:
	s_mov_b64 s[38:39], 0
	s_mov_b64 s[34:35], -1
.LBB150_51:
	s_andn2_b64 vcc, exec, s[38:39]
	s_cbranch_vccnz .LBB150_59
; %bb.52:
	s_cmp_gt_i32 s40, 14
	s_mov_b64 s[38:39], -1
	s_cbranch_scc0 .LBB150_56
; %bb.53:
	s_cmp_eq_u32 s40, 15
	s_mov_b64 s[28:29], -1
	s_cbranch_scc0 .LBB150_55
; %bb.54:
	global_store_short v[8:9], v13, off
	s_mov_b64 s[34:35], -1
	s_mov_b64 s[28:29], 0
.LBB150_55:
	s_mov_b64 s[38:39], 0
.LBB150_56:
	s_and_b64 vcc, exec, s[38:39]
	s_cbranch_vccz .LBB150_59
; %bb.57:
	s_cmp_eq_u32 s40, 11
	s_mov_b64 s[28:29], -1
	s_cbranch_scc0 .LBB150_59
; %bb.58:
	v_mov_b32_e32 v2, 1
	s_mov_b64 s[34:35], -1
	s_mov_b64 s[28:29], 0
	global_store_byte v[8:9], v2, off
.LBB150_59:
	s_branch .LBB150_10
.LBB150_60:
	s_cmp_lt_i32 s40, 5
	s_mov_b64 s[34:35], -1
	s_cbranch_scc1 .LBB150_81
; %bb.61:
	s_cmp_lt_i32 s40, 8
	s_cbranch_scc1 .LBB150_71
; %bb.62:
	s_cmp_lt_i32 s40, 9
	s_cbranch_scc1 .LBB150_68
; %bb.63:
	s_cmp_gt_i32 s40, 9
	s_cbranch_scc0 .LBB150_65
; %bb.64:
	v_mov_b32_e32 v2, 0
	v_mov_b32_e32 v3, v2
	global_store_dwordx4 v[8:9], v[0:3], off
	s_mov_b64 s[34:35], 0
.LBB150_65:
	s_andn2_b64 vcc, exec, s[34:35]
	s_cbranch_vccnz .LBB150_67
; %bb.66:
	v_mov_b32_e32 v2, s50
	v_mov_b32_e32 v3, 0
	global_store_dwordx2 v[8:9], v[2:3], off
.LBB150_67:
	s_mov_b64 s[34:35], 0
.LBB150_68:
	s_andn2_b64 vcc, exec, s[34:35]
	s_cbranch_vccnz .LBB150_70
; %bb.69:
	global_store_dword v[8:9], v11, off
.LBB150_70:
	s_mov_b64 s[34:35], 0
.LBB150_71:
	s_andn2_b64 vcc, exec, s[34:35]
	s_cbranch_vccnz .LBB150_80
; %bb.72:
	s_cmp_lt_i32 s40, 6
	s_mov_b64 s[34:35], -1
	s_cbranch_scc1 .LBB150_78
; %bb.73:
	s_cmp_gt_i32 s40, 6
	s_cbranch_scc0 .LBB150_75
; %bb.74:
	global_store_dwordx2 v[8:9], v[0:1], off
	s_mov_b64 s[34:35], 0
.LBB150_75:
	s_andn2_b64 vcc, exec, s[34:35]
	s_cbranch_vccnz .LBB150_77
; %bb.76:
	global_store_dword v[8:9], v12, off
.LBB150_77:
	s_mov_b64 s[34:35], 0
.LBB150_78:
	s_andn2_b64 vcc, exec, s[34:35]
	s_cbranch_vccnz .LBB150_80
; %bb.79:
	global_store_short v[8:9], v11, off
.LBB150_80:
	s_mov_b64 s[34:35], 0
.LBB150_81:
	s_andn2_b64 vcc, exec, s[34:35]
	s_cbranch_vccnz .LBB150_97
; %bb.82:
	s_cmp_lt_i32 s40, 2
	s_mov_b64 s[34:35], -1
	s_cbranch_scc1 .LBB150_92
; %bb.83:
	s_cmp_lt_i32 s40, 3
	s_cbranch_scc1 .LBB150_89
; %bb.84:
	s_cmp_gt_i32 s40, 3
	s_cbranch_scc0 .LBB150_86
; %bb.85:
	global_store_dwordx2 v[8:9], v[4:5], off
	s_mov_b64 s[34:35], 0
.LBB150_86:
	s_andn2_b64 vcc, exec, s[34:35]
	s_cbranch_vccnz .LBB150_88
; %bb.87:
	global_store_dword v[8:9], v10, off
.LBB150_88:
	s_mov_b64 s[34:35], 0
.LBB150_89:
	s_andn2_b64 vcc, exec, s[34:35]
	s_cbranch_vccnz .LBB150_91
; %bb.90:
	global_store_short v[8:9], v10, off
.LBB150_91:
	s_mov_b64 s[34:35], 0
.LBB150_92:
	s_andn2_b64 vcc, exec, s[34:35]
	s_cbranch_vccnz .LBB150_97
; %bb.93:
	s_cmp_gt_i32 s40, 0
	s_mov_b64 s[34:35], -1
	s_cbranch_scc0 .LBB150_95
; %bb.94:
	global_store_byte v[8:9], v10, off
	s_mov_b64 s[34:35], 0
.LBB150_95:
	s_andn2_b64 vcc, exec, s[34:35]
	s_cbranch_vccnz .LBB150_97
; %bb.96:
	global_store_byte v[8:9], v4, off
.LBB150_97:
	s_branch .LBB150_11
.LBB150_98:
	s_mov_b64 s[34:35], 0
                                        ; implicit-def: $vgpr25
.LBB150_99:
	s_and_b64 s[28:29], s[28:29], exec
	s_orn2_b64 s[34:35], s[34:35], exec
.LBB150_100:
	s_or_b64 exec, exec, s[30:31]
	s_mov_b64 s[38:39], 0
                                        ; implicit-def: $vgpr8_vgpr9
	s_and_saveexec_b64 s[30:31], s[34:35]
	s_cbranch_execz .LBB150_109
; %bb.101:
	v_cmp_gt_i32_e32 vcc, s46, v25
	s_mov_b64 s[40:41], -1
	s_mov_b64 s[34:35], s[28:29]
	s_and_saveexec_b64 s[36:37], vcc
	s_cbranch_execz .LBB150_204
; %bb.102:
	v_mul_lo_u32 v2, v25, s18
	v_mov_b32_e32 v3, s17
	s_and_b32 s42, 0xffff, s33
	s_cmp_lt_i32 s42, 11
	v_ashrrev_i32_e32 v9, 31, v2
	v_add_co_u32_e32 v8, vcc, s16, v2
	v_addc_co_u32_e32 v9, vcc, v3, v9, vcc
	s_cbranch_scc1 .LBB150_112
; %bb.103:
	s_cmp_gt_i32 s42, 25
	s_cbranch_scc0 .LBB150_115
; %bb.104:
	s_cmp_gt_i32 s42, 28
	s_cbranch_scc0 .LBB150_116
	;; [unrolled: 3-line block ×4, first 2 shown]
; %bb.107:
	s_mov_b64 s[40:41], 0
	s_mov_b64 s[34:35], -1
	s_cmp_eq_u32 s42, 46
	s_cbranch_scc0 .LBB150_119
; %bb.108:
	global_store_dword v[8:9], v13, off
	s_mov_b64 s[38:39], -1
	s_mov_b64 s[34:35], 0
	s_branch .LBB150_119
.LBB150_109:
	s_or_b64 exec, exec, s[30:31]
	s_mov_b64 s[0:1], 0
	s_and_saveexec_b64 s[2:3], s[28:29]
	s_cbranch_execnz .LBB150_364
.LBB150_110:
	s_or_b64 exec, exec, s[2:3]
	s_and_saveexec_b64 s[2:3], s[36:37]
	s_xor_b64 s[2:3], exec, s[2:3]
	s_cbranch_execz .LBB150_365
.LBB150_111:
	v_mov_b32_e32 v2, 1
	global_store_byte v[8:9], v2, off
	s_or_b64 exec, exec, s[2:3]
	s_and_saveexec_b64 s[2:3], s[38:39]
	s_xor_b64 s[2:3], exec, s[2:3]
	s_cbranch_execz .LBB150_403
	s_branch .LBB150_366
.LBB150_112:
	s_mov_b64 s[34:35], s[28:29]
	s_and_b64 vcc, exec, s[40:41]
	s_cbranch_vccnz .LBB150_164
.LBB150_113:
	s_andn2_b64 vcc, exec, s[38:39]
	s_cbranch_vccnz .LBB150_202
.LBB150_114:
	v_add_u32_e32 v25, 0x80, v25
	s_mov_b64 s[38:39], -1
	s_branch .LBB150_203
.LBB150_115:
	s_mov_b64 s[34:35], s[28:29]
	s_branch .LBB150_141
.LBB150_116:
	s_mov_b64 s[34:35], s[28:29]
	s_branch .LBB150_127
.LBB150_117:
	s_mov_b64 s[34:35], s[28:29]
	s_branch .LBB150_123
.LBB150_118:
	s_mov_b64 s[34:35], s[28:29]
.LBB150_119:
	s_and_b64 vcc, exec, s[40:41]
	s_cbranch_vccz .LBB150_122
; %bb.120:
	s_cmp_eq_u32 s42, 44
	s_mov_b64 s[34:35], -1
	s_cbranch_scc0 .LBB150_122
; %bb.121:
	v_mov_b32_e32 v2, s19
	s_mov_b64 s[38:39], -1
	s_mov_b64 s[34:35], 0
	global_store_byte v[8:9], v2, off
.LBB150_122:
	s_mov_b64 s[40:41], 0
.LBB150_123:
	s_and_b64 vcc, exec, s[40:41]
	s_cbranch_vccz .LBB150_126
; %bb.124:
	s_cmp_eq_u32 s42, 29
	s_mov_b64 s[34:35], -1
	s_cbranch_scc0 .LBB150_126
; %bb.125:
	global_store_dwordx2 v[8:9], v[6:7], off
	s_mov_b64 s[38:39], -1
	s_mov_b64 s[34:35], 0
.LBB150_126:
	s_mov_b64 s[40:41], 0
.LBB150_127:
	s_and_b64 vcc, exec, s[40:41]
	s_cbranch_vccz .LBB150_140
; %bb.128:
	s_cmp_lt_i32 s42, 27
	s_mov_b64 s[38:39], -1
	s_cbranch_scc1 .LBB150_134
; %bb.129:
	s_cmp_gt_i32 s42, 27
	s_cbranch_scc0 .LBB150_131
; %bb.130:
	s_mov_b64 s[38:39], 0
	global_store_dword v[8:9], v24, off
.LBB150_131:
	s_andn2_b64 vcc, exec, s[38:39]
	s_cbranch_vccnz .LBB150_133
; %bb.132:
	global_store_short v[8:9], v24, off
.LBB150_133:
	s_mov_b64 s[38:39], 0
.LBB150_134:
	s_andn2_b64 vcc, exec, s[38:39]
	s_cbranch_vccnz .LBB150_139
; %bb.135:
	s_andn2_b64 vcc, exec, s[14:15]
	v_mov_b32_e32 v2, 0x80
	s_cbranch_vccnz .LBB150_138
; %bb.136:
	s_or_b64 s[38:39], s[12:13], s[26:27]
	s_andn2_b64 vcc, exec, s[38:39]
	v_mov_b32_e32 v2, 0
	s_cbranch_vccnz .LBB150_138
; %bb.137:
	v_cndmask_b32_e64 v2, v23, v22, s[12:13]
.LBB150_138:
	global_store_byte v[8:9], v2, off
.LBB150_139:
	s_mov_b64 s[38:39], -1
.LBB150_140:
	s_mov_b64 s[40:41], 0
.LBB150_141:
	s_and_b64 vcc, exec, s[40:41]
	s_cbranch_vccz .LBB150_163
; %bb.142:
	s_cmp_gt_i32 s42, 22
	s_mov_b64 s[40:41], -1
	s_cbranch_scc0 .LBB150_155
; %bb.143:
	s_cmp_lt_i32 s42, 24
	s_mov_b64 s[38:39], -1
	s_cbranch_scc1 .LBB150_152
; %bb.144:
	s_cmp_gt_i32 s42, 24
	s_cbranch_scc0 .LBB150_149
; %bb.145:
	s_andn2_b64 vcc, exec, s[4:5]
	v_mov_b32_e32 v2, 0x80
	s_cbranch_vccnz .LBB150_148
; %bb.146:
	s_or_b64 s[38:39], s[2:3], s[24:25]
	s_andn2_b64 vcc, exec, s[38:39]
	v_mov_b32_e32 v2, 0
	s_cbranch_vccnz .LBB150_148
; %bb.147:
	v_cndmask_b32_e64 v2, v20, v19, s[2:3]
.LBB150_148:
	s_mov_b64 s[38:39], 0
	global_store_byte v[8:9], v2, off
.LBB150_149:
	s_and_b64 vcc, exec, s[38:39]
	s_cbranch_vccz .LBB150_151
; %bb.150:
	v_cndmask_b32_e64 v2, v15, v21, s[10:11]
	v_cndmask_b32_e64 v2, v2, v16, s[8:9]
	global_store_byte v[8:9], v2, off
.LBB150_151:
	s_mov_b64 s[38:39], 0
.LBB150_152:
	s_andn2_b64 vcc, exec, s[38:39]
	s_cbranch_vccnz .LBB150_154
; %bb.153:
	v_cndmask_b32_e64 v2, v17, v18, s[6:7]
	v_cndmask_b32_e64 v2, v2, v14, s[0:1]
	global_store_byte v[8:9], v2, off
.LBB150_154:
	s_mov_b64 s[40:41], 0
	s_mov_b64 s[38:39], -1
.LBB150_155:
	s_andn2_b64 vcc, exec, s[40:41]
	s_cbranch_vccnz .LBB150_163
; %bb.156:
	s_cmp_gt_i32 s42, 14
	s_mov_b64 s[40:41], -1
	s_cbranch_scc0 .LBB150_160
; %bb.157:
	s_cmp_eq_u32 s42, 15
	s_mov_b64 s[34:35], -1
	s_cbranch_scc0 .LBB150_159
; %bb.158:
	global_store_short v[8:9], v13, off
	s_mov_b64 s[38:39], -1
	s_mov_b64 s[34:35], 0
.LBB150_159:
	s_mov_b64 s[40:41], 0
.LBB150_160:
	s_and_b64 vcc, exec, s[40:41]
	s_cbranch_vccz .LBB150_163
; %bb.161:
	s_cmp_eq_u32 s42, 11
	s_mov_b64 s[34:35], -1
	s_cbranch_scc0 .LBB150_163
; %bb.162:
	v_mov_b32_e32 v2, 1
	s_mov_b64 s[38:39], -1
	s_mov_b64 s[34:35], 0
	global_store_byte v[8:9], v2, off
.LBB150_163:
	s_branch .LBB150_113
.LBB150_164:
	s_cmp_lt_i32 s42, 5
	s_mov_b64 s[38:39], -1
	s_cbranch_scc1 .LBB150_185
; %bb.165:
	s_cmp_lt_i32 s42, 8
	s_cbranch_scc1 .LBB150_175
; %bb.166:
	s_cmp_lt_i32 s42, 9
	s_cbranch_scc1 .LBB150_172
; %bb.167:
	s_cmp_gt_i32 s42, 9
	s_cbranch_scc0 .LBB150_169
; %bb.168:
	v_mov_b32_e32 v2, 0
	v_mov_b32_e32 v3, v2
	s_mov_b64 s[38:39], 0
	global_store_dwordx4 v[8:9], v[0:3], off
.LBB150_169:
	s_andn2_b64 vcc, exec, s[38:39]
	s_cbranch_vccnz .LBB150_171
; %bb.170:
	v_mov_b32_e32 v2, s50
	v_mov_b32_e32 v3, 0
	global_store_dwordx2 v[8:9], v[2:3], off
.LBB150_171:
	s_mov_b64 s[38:39], 0
.LBB150_172:
	s_andn2_b64 vcc, exec, s[38:39]
	s_cbranch_vccnz .LBB150_174
; %bb.173:
	global_store_dword v[8:9], v11, off
.LBB150_174:
	s_mov_b64 s[38:39], 0
.LBB150_175:
	s_andn2_b64 vcc, exec, s[38:39]
	s_cbranch_vccnz .LBB150_184
; %bb.176:
	s_cmp_lt_i32 s42, 6
	s_mov_b64 s[38:39], -1
	s_cbranch_scc1 .LBB150_182
; %bb.177:
	s_cmp_gt_i32 s42, 6
	s_cbranch_scc0 .LBB150_179
; %bb.178:
	s_mov_b64 s[38:39], 0
	global_store_dwordx2 v[8:9], v[0:1], off
.LBB150_179:
	s_andn2_b64 vcc, exec, s[38:39]
	s_cbranch_vccnz .LBB150_181
; %bb.180:
	global_store_dword v[8:9], v12, off
.LBB150_181:
	s_mov_b64 s[38:39], 0
.LBB150_182:
	s_andn2_b64 vcc, exec, s[38:39]
	s_cbranch_vccnz .LBB150_184
; %bb.183:
	global_store_short v[8:9], v11, off
.LBB150_184:
	s_mov_b64 s[38:39], 0
.LBB150_185:
	s_andn2_b64 vcc, exec, s[38:39]
	s_cbranch_vccnz .LBB150_201
; %bb.186:
	s_cmp_lt_i32 s42, 2
	s_mov_b64 s[38:39], -1
	s_cbranch_scc1 .LBB150_196
; %bb.187:
	s_cmp_lt_i32 s42, 3
	s_cbranch_scc1 .LBB150_193
; %bb.188:
	s_cmp_gt_i32 s42, 3
	s_cbranch_scc0 .LBB150_190
; %bb.189:
	s_mov_b64 s[38:39], 0
	global_store_dwordx2 v[8:9], v[4:5], off
.LBB150_190:
	s_andn2_b64 vcc, exec, s[38:39]
	s_cbranch_vccnz .LBB150_192
; %bb.191:
	global_store_dword v[8:9], v10, off
.LBB150_192:
	s_mov_b64 s[38:39], 0
.LBB150_193:
	s_andn2_b64 vcc, exec, s[38:39]
	s_cbranch_vccnz .LBB150_195
; %bb.194:
	global_store_short v[8:9], v10, off
.LBB150_195:
	s_mov_b64 s[38:39], 0
.LBB150_196:
	s_andn2_b64 vcc, exec, s[38:39]
	s_cbranch_vccnz .LBB150_201
; %bb.197:
	s_cmp_gt_i32 s42, 0
	s_mov_b64 s[38:39], -1
	s_cbranch_scc0 .LBB150_199
; %bb.198:
	s_mov_b64 s[38:39], 0
	global_store_byte v[8:9], v10, off
.LBB150_199:
	s_andn2_b64 vcc, exec, s[38:39]
	s_cbranch_vccnz .LBB150_201
; %bb.200:
	global_store_byte v[8:9], v4, off
.LBB150_201:
	s_branch .LBB150_114
.LBB150_202:
	s_mov_b64 s[38:39], 0
                                        ; implicit-def: $vgpr25
.LBB150_203:
	s_andn2_b64 s[40:41], s[28:29], exec
	s_and_b64 s[34:35], s[34:35], exec
	s_or_b64 s[34:35], s[40:41], s[34:35]
	s_orn2_b64 s[40:41], s[38:39], exec
.LBB150_204:
	s_or_b64 exec, exec, s[36:37]
	s_mov_b64 s[42:43], 0
	s_mov_b64 s[38:39], 0
                                        ; implicit-def: $vgpr8_vgpr9
	s_and_saveexec_b64 s[36:37], s[40:41]
	s_cbranch_execz .LBB150_363
; %bb.205:
	v_cmp_gt_i32_e32 vcc, s46, v25
	s_mov_b64 s[44:45], -1
	s_mov_b64 s[40:41], s[34:35]
	s_and_saveexec_b64 s[38:39], vcc
	s_cbranch_execz .LBB150_306
; %bb.206:
	v_mul_lo_u32 v2, v25, s18
	v_mov_b32_e32 v3, s17
	s_and_b32 s47, 0xffff, s33
	s_cmp_lt_i32 s47, 11
	v_ashrrev_i32_e32 v9, 31, v2
	v_add_co_u32_e32 v8, vcc, s16, v2
	v_addc_co_u32_e32 v9, vcc, v3, v9, vcc
	s_cbranch_scc1 .LBB150_213
; %bb.207:
	s_cmp_gt_i32 s47, 25
	s_cbranch_scc0 .LBB150_214
; %bb.208:
	s_cmp_gt_i32 s47, 28
	s_cbranch_scc0 .LBB150_215
	;; [unrolled: 3-line block ×4, first 2 shown]
; %bb.211:
	s_mov_b64 s[44:45], 0
	s_mov_b64 s[40:41], -1
	s_cmp_eq_u32 s47, 46
	s_cbranch_scc0 .LBB150_218
; %bb.212:
	global_store_dword v[8:9], v13, off
	s_mov_b64 s[42:43], -1
	s_mov_b64 s[40:41], 0
	s_branch .LBB150_218
.LBB150_213:
	s_mov_b64 s[40:41], s[34:35]
	s_branch .LBB150_263
.LBB150_214:
	s_mov_b64 s[40:41], s[34:35]
	s_branch .LBB150_240
.LBB150_215:
	s_mov_b64 s[40:41], s[34:35]
	s_branch .LBB150_226
.LBB150_216:
	s_mov_b64 s[40:41], s[34:35]
	s_branch .LBB150_222
.LBB150_217:
	s_mov_b64 s[40:41], s[34:35]
.LBB150_218:
	s_and_b64 vcc, exec, s[44:45]
	s_cbranch_vccz .LBB150_221
; %bb.219:
	s_cmp_eq_u32 s47, 44
	s_mov_b64 s[40:41], -1
	s_cbranch_scc0 .LBB150_221
; %bb.220:
	v_mov_b32_e32 v2, s19
	s_mov_b64 s[42:43], -1
	s_mov_b64 s[40:41], 0
	global_store_byte v[8:9], v2, off
.LBB150_221:
	s_mov_b64 s[44:45], 0
.LBB150_222:
	s_and_b64 vcc, exec, s[44:45]
	s_cbranch_vccz .LBB150_225
; %bb.223:
	s_cmp_eq_u32 s47, 29
	s_mov_b64 s[40:41], -1
	s_cbranch_scc0 .LBB150_225
; %bb.224:
	global_store_dwordx2 v[8:9], v[6:7], off
	s_mov_b64 s[42:43], -1
	s_mov_b64 s[40:41], 0
.LBB150_225:
	s_mov_b64 s[44:45], 0
.LBB150_226:
	s_and_b64 vcc, exec, s[44:45]
	s_cbranch_vccz .LBB150_239
; %bb.227:
	s_cmp_lt_i32 s47, 27
	s_mov_b64 s[42:43], -1
	s_cbranch_scc1 .LBB150_233
; %bb.228:
	s_cmp_gt_i32 s47, 27
	s_cbranch_scc0 .LBB150_230
; %bb.229:
	s_mov_b64 s[42:43], 0
	global_store_dword v[8:9], v24, off
.LBB150_230:
	s_andn2_b64 vcc, exec, s[42:43]
	s_cbranch_vccnz .LBB150_232
; %bb.231:
	global_store_short v[8:9], v24, off
.LBB150_232:
	s_mov_b64 s[42:43], 0
.LBB150_233:
	s_andn2_b64 vcc, exec, s[42:43]
	s_cbranch_vccnz .LBB150_238
; %bb.234:
	s_andn2_b64 vcc, exec, s[14:15]
	v_mov_b32_e32 v2, 0x80
	s_cbranch_vccnz .LBB150_237
; %bb.235:
	s_or_b64 s[42:43], s[12:13], s[26:27]
	s_andn2_b64 vcc, exec, s[42:43]
	v_mov_b32_e32 v2, 0
	s_cbranch_vccnz .LBB150_237
; %bb.236:
	v_cndmask_b32_e64 v2, v23, v22, s[12:13]
.LBB150_237:
	global_store_byte v[8:9], v2, off
.LBB150_238:
	s_mov_b64 s[42:43], -1
.LBB150_239:
	s_mov_b64 s[44:45], 0
.LBB150_240:
	s_and_b64 vcc, exec, s[44:45]
	s_cbranch_vccz .LBB150_262
; %bb.241:
	s_cmp_gt_i32 s47, 22
	s_mov_b64 s[44:45], -1
	s_cbranch_scc0 .LBB150_254
; %bb.242:
	s_cmp_lt_i32 s47, 24
	s_mov_b64 s[42:43], -1
	s_cbranch_scc1 .LBB150_251
; %bb.243:
	s_cmp_gt_i32 s47, 24
	s_cbranch_scc0 .LBB150_248
; %bb.244:
	s_andn2_b64 vcc, exec, s[4:5]
	v_mov_b32_e32 v2, 0x80
	s_cbranch_vccnz .LBB150_247
; %bb.245:
	s_or_b64 s[42:43], s[2:3], s[24:25]
	s_andn2_b64 vcc, exec, s[42:43]
	v_mov_b32_e32 v2, 0
	s_cbranch_vccnz .LBB150_247
; %bb.246:
	v_cndmask_b32_e64 v2, v20, v19, s[2:3]
.LBB150_247:
	s_mov_b64 s[42:43], 0
	global_store_byte v[8:9], v2, off
.LBB150_248:
	s_and_b64 vcc, exec, s[42:43]
	s_cbranch_vccz .LBB150_250
; %bb.249:
	v_cndmask_b32_e64 v2, v15, v21, s[10:11]
	v_cndmask_b32_e64 v2, v2, v16, s[8:9]
	global_store_byte v[8:9], v2, off
.LBB150_250:
	s_mov_b64 s[42:43], 0
.LBB150_251:
	s_andn2_b64 vcc, exec, s[42:43]
	s_cbranch_vccnz .LBB150_253
; %bb.252:
	v_cndmask_b32_e64 v2, v17, v18, s[6:7]
	v_cndmask_b32_e64 v2, v2, v14, s[0:1]
	global_store_byte v[8:9], v2, off
.LBB150_253:
	s_mov_b64 s[44:45], 0
	s_mov_b64 s[42:43], -1
.LBB150_254:
	s_andn2_b64 vcc, exec, s[44:45]
	s_cbranch_vccnz .LBB150_262
; %bb.255:
	s_cmp_gt_i32 s47, 14
	s_mov_b64 s[44:45], -1
	s_cbranch_scc0 .LBB150_259
; %bb.256:
	s_cmp_eq_u32 s47, 15
	s_mov_b64 s[40:41], -1
	s_cbranch_scc0 .LBB150_258
; %bb.257:
	global_store_short v[8:9], v13, off
	s_mov_b64 s[42:43], -1
	s_mov_b64 s[40:41], 0
.LBB150_258:
	s_mov_b64 s[44:45], 0
.LBB150_259:
	s_and_b64 vcc, exec, s[44:45]
	s_cbranch_vccz .LBB150_262
; %bb.260:
	s_cmp_eq_u32 s47, 11
	s_mov_b64 s[40:41], -1
	s_cbranch_scc0 .LBB150_262
; %bb.261:
	v_mov_b32_e32 v2, 1
	s_mov_b64 s[42:43], -1
	s_mov_b64 s[40:41], 0
	global_store_byte v[8:9], v2, off
.LBB150_262:
	s_mov_b64 s[44:45], 0
.LBB150_263:
	s_and_b64 vcc, exec, s[44:45]
	s_cbranch_vccz .LBB150_302
; %bb.264:
	s_cmp_lt_i32 s47, 5
	s_mov_b64 s[42:43], -1
	s_cbranch_scc1 .LBB150_285
; %bb.265:
	s_cmp_lt_i32 s47, 8
	s_cbranch_scc1 .LBB150_275
; %bb.266:
	s_cmp_lt_i32 s47, 9
	s_cbranch_scc1 .LBB150_272
; %bb.267:
	s_cmp_gt_i32 s47, 9
	s_cbranch_scc0 .LBB150_269
; %bb.268:
	v_mov_b32_e32 v2, 0
	v_mov_b32_e32 v3, v2
	s_mov_b64 s[42:43], 0
	global_store_dwordx4 v[8:9], v[0:3], off
.LBB150_269:
	s_andn2_b64 vcc, exec, s[42:43]
	s_cbranch_vccnz .LBB150_271
; %bb.270:
	v_mov_b32_e32 v2, s50
	v_mov_b32_e32 v3, 0
	global_store_dwordx2 v[8:9], v[2:3], off
.LBB150_271:
	s_mov_b64 s[42:43], 0
.LBB150_272:
	s_andn2_b64 vcc, exec, s[42:43]
	s_cbranch_vccnz .LBB150_274
; %bb.273:
	global_store_dword v[8:9], v11, off
.LBB150_274:
	s_mov_b64 s[42:43], 0
.LBB150_275:
	s_andn2_b64 vcc, exec, s[42:43]
	s_cbranch_vccnz .LBB150_284
; %bb.276:
	s_cmp_lt_i32 s47, 6
	s_mov_b64 s[42:43], -1
	s_cbranch_scc1 .LBB150_282
; %bb.277:
	s_cmp_gt_i32 s47, 6
	s_cbranch_scc0 .LBB150_279
; %bb.278:
	s_mov_b64 s[42:43], 0
	global_store_dwordx2 v[8:9], v[0:1], off
.LBB150_279:
	s_andn2_b64 vcc, exec, s[42:43]
	s_cbranch_vccnz .LBB150_281
; %bb.280:
	global_store_dword v[8:9], v12, off
.LBB150_281:
	s_mov_b64 s[42:43], 0
.LBB150_282:
	s_andn2_b64 vcc, exec, s[42:43]
	s_cbranch_vccnz .LBB150_284
; %bb.283:
	global_store_short v[8:9], v11, off
.LBB150_284:
	s_mov_b64 s[42:43], 0
.LBB150_285:
	s_andn2_b64 vcc, exec, s[42:43]
	s_cbranch_vccnz .LBB150_301
; %bb.286:
	s_cmp_lt_i32 s47, 2
	s_mov_b64 s[42:43], -1
	s_cbranch_scc1 .LBB150_296
; %bb.287:
	s_cmp_lt_i32 s47, 3
	s_cbranch_scc1 .LBB150_293
; %bb.288:
	s_cmp_gt_i32 s47, 3
	s_cbranch_scc0 .LBB150_290
; %bb.289:
	s_mov_b64 s[42:43], 0
	global_store_dwordx2 v[8:9], v[4:5], off
.LBB150_290:
	s_andn2_b64 vcc, exec, s[42:43]
	s_cbranch_vccnz .LBB150_292
; %bb.291:
	global_store_dword v[8:9], v10, off
.LBB150_292:
	s_mov_b64 s[42:43], 0
.LBB150_293:
	s_andn2_b64 vcc, exec, s[42:43]
	s_cbranch_vccnz .LBB150_295
; %bb.294:
	global_store_short v[8:9], v10, off
.LBB150_295:
	s_mov_b64 s[42:43], 0
.LBB150_296:
	s_andn2_b64 vcc, exec, s[42:43]
	s_cbranch_vccnz .LBB150_301
; %bb.297:
	s_cmp_gt_i32 s47, 0
	s_mov_b64 s[42:43], -1
	s_cbranch_scc0 .LBB150_299
; %bb.298:
	s_mov_b64 s[42:43], 0
	global_store_byte v[8:9], v10, off
.LBB150_299:
	s_andn2_b64 vcc, exec, s[42:43]
	s_cbranch_vccnz .LBB150_301
; %bb.300:
	global_store_byte v[8:9], v4, off
.LBB150_301:
	s_mov_b64 s[42:43], -1
.LBB150_302:
	s_andn2_b64 vcc, exec, s[42:43]
	s_cbranch_vccnz .LBB150_304
; %bb.303:
	v_add_u32_e32 v25, 0x80, v25
	s_mov_b64 s[42:43], -1
	s_branch .LBB150_305
.LBB150_304:
	s_mov_b64 s[42:43], 0
                                        ; implicit-def: $vgpr25
.LBB150_305:
	s_andn2_b64 s[44:45], s[34:35], exec
	s_and_b64 s[40:41], s[40:41], exec
	s_or_b64 s[40:41], s[44:45], s[40:41]
	s_orn2_b64 s[44:45], s[42:43], exec
.LBB150_306:
	s_or_b64 exec, exec, s[38:39]
	s_mov_b64 s[42:43], 0
	s_mov_b64 s[48:49], 0
                                        ; implicit-def: $vgpr8_vgpr9
	s_and_saveexec_b64 s[38:39], s[44:45]
	s_cbranch_execz .LBB150_362
; %bb.307:
	v_cmp_gt_i32_e32 vcc, s46, v25
	s_mov_b64 s[46:47], 0
	s_mov_b64 s[44:45], s[40:41]
                                        ; implicit-def: $vgpr8_vgpr9
	s_and_saveexec_b64 s[42:43], vcc
	s_cbranch_execz .LBB150_361
; %bb.308:
	v_mul_lo_u32 v2, v25, s18
	v_mov_b32_e32 v3, s17
	s_and_b32 s48, 0xffff, s33
	s_cmp_lt_i32 s48, 11
	v_ashrrev_i32_e32 v9, 31, v2
	v_add_co_u32_e32 v8, vcc, s16, v2
	v_addc_co_u32_e32 v9, vcc, v3, v9, vcc
	s_cbranch_scc1 .LBB150_358
; %bb.309:
	s_mov_b64 s[46:47], -1
	s_cmp_gt_i32 s48, 25
	s_mov_b64 s[44:45], s[40:41]
	s_cbranch_scc0 .LBB150_337
; %bb.310:
	s_cmp_gt_i32 s48, 28
	s_mov_b64 s[44:45], s[40:41]
	s_cbranch_scc0 .LBB150_324
; %bb.311:
	;; [unrolled: 4-line block ×4, first 2 shown]
	s_cmp_eq_u32 s48, 46
	s_mov_b64 s[44:45], -1
	s_cbranch_scc0 .LBB150_315
; %bb.314:
	global_store_dword v[8:9], v13, off
	s_mov_b64 s[44:45], 0
.LBB150_315:
	s_mov_b64 s[46:47], 0
.LBB150_316:
	s_and_b64 vcc, exec, s[46:47]
	s_cbranch_vccz .LBB150_319
; %bb.317:
	s_cmp_eq_u32 s48, 44
	s_mov_b64 s[44:45], -1
	s_cbranch_scc0 .LBB150_319
; %bb.318:
	v_mov_b32_e32 v2, s19
	global_store_byte v[8:9], v2, off
	s_mov_b64 s[44:45], 0
.LBB150_319:
	s_mov_b64 s[46:47], 0
.LBB150_320:
	s_and_b64 vcc, exec, s[46:47]
	s_cbranch_vccz .LBB150_323
; %bb.321:
	s_cmp_eq_u32 s48, 29
	s_mov_b64 s[44:45], -1
	s_cbranch_scc0 .LBB150_323
; %bb.322:
	global_store_dwordx2 v[8:9], v[6:7], off
	s_mov_b64 s[44:45], 0
.LBB150_323:
	s_mov_b64 s[46:47], 0
.LBB150_324:
	s_and_b64 vcc, exec, s[46:47]
	s_cbranch_vccz .LBB150_336
; %bb.325:
	s_cmp_lt_i32 s48, 27
	s_mov_b64 s[46:47], -1
	s_cbranch_scc1 .LBB150_331
; %bb.326:
	s_cmp_gt_i32 s48, 27
	s_cbranch_scc0 .LBB150_328
; %bb.327:
	s_mov_b64 s[46:47], 0
	global_store_dword v[8:9], v24, off
.LBB150_328:
	s_andn2_b64 vcc, exec, s[46:47]
	s_cbranch_vccnz .LBB150_330
; %bb.329:
	global_store_short v[8:9], v24, off
.LBB150_330:
	s_mov_b64 s[46:47], 0
.LBB150_331:
	s_andn2_b64 vcc, exec, s[46:47]
	s_cbranch_vccnz .LBB150_336
; %bb.332:
	s_andn2_b64 vcc, exec, s[14:15]
	v_mov_b32_e32 v2, 0x80
	s_cbranch_vccnz .LBB150_335
; %bb.333:
	s_or_b64 s[14:15], s[12:13], s[26:27]
	s_andn2_b64 vcc, exec, s[14:15]
	v_mov_b32_e32 v2, 0
	s_cbranch_vccnz .LBB150_335
; %bb.334:
	v_cndmask_b32_e64 v2, v23, v22, s[12:13]
.LBB150_335:
	global_store_byte v[8:9], v2, off
.LBB150_336:
	s_mov_b64 s[46:47], 0
.LBB150_337:
	s_mov_b64 s[12:13], 0
	s_and_b64 vcc, exec, s[46:47]
	s_cbranch_vccz .LBB150_359
; %bb.338:
	s_cmp_gt_i32 s48, 22
	s_mov_b64 s[14:15], -1
	s_cbranch_scc0 .LBB150_351
; %bb.339:
	s_cmp_lt_i32 s48, 24
	s_cbranch_scc1 .LBB150_348
; %bb.340:
	s_cmp_gt_i32 s48, 24
	s_cbranch_scc0 .LBB150_345
; %bb.341:
	s_andn2_b64 vcc, exec, s[4:5]
	v_mov_b32_e32 v2, 0x80
	s_cbranch_vccnz .LBB150_344
; %bb.342:
	s_or_b64 s[4:5], s[2:3], s[24:25]
	s_andn2_b64 vcc, exec, s[4:5]
	v_mov_b32_e32 v2, 0
	s_cbranch_vccnz .LBB150_344
; %bb.343:
	v_cndmask_b32_e64 v2, v20, v19, s[2:3]
.LBB150_344:
	s_mov_b64 s[14:15], 0
	global_store_byte v[8:9], v2, off
.LBB150_345:
	s_and_b64 vcc, exec, s[14:15]
	s_cbranch_vccz .LBB150_347
; %bb.346:
	v_cndmask_b32_e64 v2, v15, v21, s[10:11]
	v_cndmask_b32_e64 v2, v2, v16, s[8:9]
	global_store_byte v[8:9], v2, off
.LBB150_347:
	s_mov_b64 s[14:15], 0
.LBB150_348:
	s_andn2_b64 vcc, exec, s[14:15]
	s_cbranch_vccnz .LBB150_350
; %bb.349:
	v_cndmask_b32_e64 v2, v17, v18, s[6:7]
	v_cndmask_b32_e64 v2, v2, v14, s[0:1]
	global_store_byte v[8:9], v2, off
.LBB150_350:
	s_mov_b64 s[14:15], 0
.LBB150_351:
	s_andn2_b64 vcc, exec, s[14:15]
	s_mov_b64 s[0:1], 0
	s_cbranch_vccnz .LBB150_360
; %bb.352:
	s_cmp_gt_i32 s48, 14
	s_mov_b64 s[2:3], -1
	s_cbranch_scc0 .LBB150_356
; %bb.353:
	s_cmp_eq_u32 s48, 15
	s_mov_b64 s[44:45], -1
	s_cbranch_scc0 .LBB150_355
; %bb.354:
	global_store_short v[8:9], v13, off
	s_mov_b64 s[44:45], 0
.LBB150_355:
	s_mov_b64 s[2:3], 0
.LBB150_356:
	s_and_b64 vcc, exec, s[2:3]
	s_cbranch_vccz .LBB150_360
; %bb.357:
	s_cmp_lg_u32 s48, 11
	s_cselect_b64 s[2:3], -1, 0
	s_andn2_b64 s[4:5], s[44:45], exec
	s_and_b64 s[2:3], s[2:3], exec
	s_mov_b64 s[0:1], -1
	s_or_b64 s[44:45], s[4:5], s[2:3]
	s_branch .LBB150_360
.LBB150_358:
	s_mov_b64 s[0:1], 0
	s_mov_b64 s[12:13], -1
	s_mov_b64 s[44:45], s[40:41]
	s_branch .LBB150_360
.LBB150_359:
	s_mov_b64 s[0:1], 0
.LBB150_360:
	s_and_b64 s[46:47], s[0:1], exec
	s_andn2_b64 s[0:1], s[40:41], exec
	s_and_b64 s[2:3], s[44:45], exec
	s_and_b64 s[48:49], s[12:13], exec
	s_or_b64 s[44:45], s[0:1], s[2:3]
.LBB150_361:
	s_or_b64 exec, exec, s[42:43]
	s_andn2_b64 s[0:1], s[40:41], exec
	s_and_b64 s[2:3], s[44:45], exec
	s_and_b64 s[48:49], s[48:49], exec
	;; [unrolled: 1-line block ×3, first 2 shown]
	s_or_b64 s[40:41], s[0:1], s[2:3]
.LBB150_362:
	s_or_b64 exec, exec, s[38:39]
	s_andn2_b64 s[0:1], s[34:35], exec
	s_and_b64 s[2:3], s[40:41], exec
	s_and_b64 s[38:39], s[48:49], exec
	;; [unrolled: 1-line block ×3, first 2 shown]
	s_or_b64 s[34:35], s[0:1], s[2:3]
.LBB150_363:
	s_or_b64 exec, exec, s[36:37]
	s_andn2_b64 s[0:1], s[28:29], exec
	s_and_b64 s[2:3], s[34:35], exec
	s_and_b64 s[38:39], s[38:39], exec
	;; [unrolled: 1-line block ×3, first 2 shown]
	s_or_b64 s[28:29], s[0:1], s[2:3]
	s_or_b64 exec, exec, s[30:31]
	s_mov_b64 s[0:1], 0
	s_and_saveexec_b64 s[2:3], s[28:29]
	s_cbranch_execz .LBB150_110
.LBB150_364:
	s_mov_b64 s[0:1], exec
	s_andn2_b64 s[36:37], s[36:37], exec
	s_trap 2
	s_or_b64 exec, exec, s[2:3]
	s_and_saveexec_b64 s[2:3], s[36:37]
	s_xor_b64 s[2:3], exec, s[2:3]
	s_cbranch_execnz .LBB150_111
.LBB150_365:
	s_or_b64 exec, exec, s[2:3]
	s_and_saveexec_b64 s[2:3], s[38:39]
	s_xor_b64 s[2:3], exec, s[2:3]
	s_cbranch_execz .LBB150_403
.LBB150_366:
	s_sext_i32_i16 s6, s33
	s_cmp_lt_i32 s6, 5
	s_mov_b64 s[4:5], -1
	s_cbranch_scc1 .LBB150_387
; %bb.367:
	s_cmp_lt_i32 s6, 8
	s_cbranch_scc1 .LBB150_377
; %bb.368:
	s_cmp_lt_i32 s6, 9
	s_cbranch_scc1 .LBB150_374
; %bb.369:
	s_cmp_gt_i32 s6, 9
	s_cbranch_scc0 .LBB150_371
; %bb.370:
	v_mov_b32_e32 v2, 0
	v_mov_b32_e32 v3, v2
	s_mov_b64 s[4:5], 0
	global_store_dwordx4 v[8:9], v[0:3], off
.LBB150_371:
	s_andn2_b64 vcc, exec, s[4:5]
	s_cbranch_vccnz .LBB150_373
; %bb.372:
	v_mov_b32_e32 v2, s50
	v_mov_b32_e32 v3, 0
	global_store_dwordx2 v[8:9], v[2:3], off
.LBB150_373:
	s_mov_b64 s[4:5], 0
.LBB150_374:
	s_andn2_b64 vcc, exec, s[4:5]
	s_cbranch_vccnz .LBB150_376
; %bb.375:
	global_store_dword v[8:9], v11, off
.LBB150_376:
	s_mov_b64 s[4:5], 0
.LBB150_377:
	s_andn2_b64 vcc, exec, s[4:5]
	s_cbranch_vccnz .LBB150_386
; %bb.378:
	s_sext_i32_i16 s6, s33
	s_cmp_lt_i32 s6, 6
	s_mov_b64 s[4:5], -1
	s_cbranch_scc1 .LBB150_384
; %bb.379:
	s_cmp_gt_i32 s6, 6
	s_cbranch_scc0 .LBB150_381
; %bb.380:
	s_mov_b64 s[4:5], 0
	global_store_dwordx2 v[8:9], v[0:1], off
.LBB150_381:
	s_andn2_b64 vcc, exec, s[4:5]
	s_cbranch_vccnz .LBB150_383
; %bb.382:
	global_store_dword v[8:9], v12, off
.LBB150_383:
	s_mov_b64 s[4:5], 0
.LBB150_384:
	s_andn2_b64 vcc, exec, s[4:5]
	s_cbranch_vccnz .LBB150_386
; %bb.385:
	global_store_short v[8:9], v11, off
.LBB150_386:
	s_mov_b64 s[4:5], 0
.LBB150_387:
	s_andn2_b64 vcc, exec, s[4:5]
	s_cbranch_vccnz .LBB150_403
; %bb.388:
	s_sext_i32_i16 s6, s33
	s_cmp_lt_i32 s6, 2
	s_mov_b64 s[4:5], -1
	s_cbranch_scc1 .LBB150_398
; %bb.389:
	s_cmp_lt_i32 s6, 3
	s_cbranch_scc1 .LBB150_395
; %bb.390:
	s_cmp_gt_i32 s6, 3
	s_cbranch_scc0 .LBB150_392
; %bb.391:
	s_mov_b64 s[4:5], 0
	global_store_dwordx2 v[8:9], v[4:5], off
.LBB150_392:
	s_andn2_b64 vcc, exec, s[4:5]
	s_cbranch_vccnz .LBB150_394
; %bb.393:
	global_store_dword v[8:9], v10, off
.LBB150_394:
	s_mov_b64 s[4:5], 0
.LBB150_395:
	s_andn2_b64 vcc, exec, s[4:5]
	s_cbranch_vccnz .LBB150_397
; %bb.396:
	global_store_short v[8:9], v10, off
.LBB150_397:
	s_mov_b64 s[4:5], 0
.LBB150_398:
	s_andn2_b64 vcc, exec, s[4:5]
	s_cbranch_vccnz .LBB150_403
; %bb.399:
	s_sext_i32_i16 s4, s33
	s_cmp_gt_i32 s4, 0
	s_mov_b64 s[4:5], -1
	s_cbranch_scc0 .LBB150_401
; %bb.400:
	s_mov_b64 s[4:5], 0
	global_store_byte v[8:9], v10, off
.LBB150_401:
	s_andn2_b64 vcc, exec, s[4:5]
	s_cbranch_vccnz .LBB150_403
; %bb.402:
	global_store_byte v[8:9], v4, off
.LBB150_403:
	s_or_b64 exec, exec, s[2:3]
	s_and_b64 s[0:1], s[0:1], exec
                                        ; implicit-def: $vgpr25
.LBB150_404:
	s_or_saveexec_b64 s[2:3], s[22:23]
	s_mov_b64 s[6:7], 0
                                        ; implicit-def: $vgpr0_vgpr1
	s_xor_b64 exec, exec, s[2:3]
	s_cbranch_execz .LBB150_431
; %bb.405:
	v_mul_lo_u32 v2, s18, v25
	v_mov_b32_e32 v1, s17
	s_and_b32 s14, 0xffff, s33
	s_cmp_lt_i32 s14, 11
	v_ashrrev_i32_e32 v3, 31, v2
	v_add_co_u32_e32 v0, vcc, s16, v2
	v_addc_co_u32_e32 v1, vcc, v1, v3, vcc
	s_cbranch_scc1 .LBB150_434
; %bb.406:
	s_mov_b64 s[10:11], -1
	s_cmp_gt_i32 s14, 25
	s_mov_b64 s[8:9], 0
	s_mov_b64 s[4:5], 0
	s_cbranch_scc0 .LBB150_444
; %bb.407:
	s_cmp_gt_i32 s14, 28
	s_cbranch_scc0 .LBB150_420
; %bb.408:
	s_cmp_gt_i32 s14, 43
	;; [unrolled: 3-line block ×3, first 2 shown]
	s_cbranch_scc0 .LBB150_412
; %bb.410:
	s_mov_b64 s[4:5], -1
	s_mov_b64 s[10:11], 0
	s_cmp_eq_u32 s14, 46
	s_cbranch_scc0 .LBB150_412
; %bb.411:
	s_and_b32 s4, s19, 0xff
	s_lshl_b32 s5, s4, 23
	s_cmpk_lg_i32 s4, 0xff
	v_mov_b32_e32 v3, 0x7f800001
	v_mov_b32_e32 v4, s5
	s_cselect_b64 vcc, -1, 0
	s_cmp_lg_u32 s4, 0
	v_cndmask_b32_e32 v3, v3, v4, vcc
	v_mov_b32_e32 v4, 0x400000
	s_cselect_b64 vcc, -1, 0
	v_cndmask_b32_e32 v3, v4, v3, vcc
	v_add_u32_e32 v4, 0x7fff, v3
	v_cmp_o_f32_e32 vcc, v3, v3
	v_mov_b32_e32 v3, 0x7fc0
	v_cndmask_b32_sdwa v3, v3, v4, vcc dst_sel:DWORD dst_unused:UNUSED_PAD src0_sel:DWORD src1_sel:WORD_1
	global_store_dword v[0:1], v3, off
	s_mov_b64 s[4:5], 0
	s_mov_b64 s[8:9], -1
.LBB150_412:
	s_and_b64 vcc, exec, s[10:11]
	s_cbranch_vccz .LBB150_415
; %bb.413:
	s_cmp_eq_u32 s14, 44
	s_mov_b64 s[4:5], -1
	s_cbranch_scc0 .LBB150_415
; %bb.414:
	v_mov_b32_e32 v3, s19
	global_store_byte v[0:1], v3, off
	s_mov_b64 s[4:5], 0
	s_mov_b64 s[8:9], -1
.LBB150_415:
	s_mov_b64 s[10:11], 0
.LBB150_416:
	s_and_b64 vcc, exec, s[10:11]
	s_cbranch_vccz .LBB150_419
; %bb.417:
	s_cmp_eq_u32 s14, 29
	s_mov_b64 s[4:5], -1
	s_cbranch_scc0 .LBB150_419
; %bb.418:
	s_and_b32 s4, s19, 0xff
	s_lshl_b32 s5, s4, 23
	v_trunc_f32_e32 v3, s5
	v_mul_f32_e32 v4, 0x2f800000, v3
	v_floor_f32_e32 v4, v4
	v_fmac_f32_e32 v3, 0xcf800000, v4
	v_cvt_u32_f32_e32 v4, v4
	v_cvt_u32_f32_e32 v3, v3
	s_cmp_lg_u32 s4, 0
	s_cselect_b64 vcc, -1, 0
	v_cndmask_b32_e32 v4, 0, v4, vcc
	v_cndmask_b32_e32 v3, 0, v3, vcc
	global_store_dwordx2 v[0:1], v[3:4], off
	s_mov_b64 s[4:5], 0
	s_mov_b64 s[8:9], -1
.LBB150_419:
	s_mov_b64 s[10:11], 0
.LBB150_420:
	s_and_b64 vcc, exec, s[10:11]
	s_cbranch_vccz .LBB150_443
; %bb.421:
	s_cmp_lt_i32 s14, 27
	s_mov_b64 s[8:9], -1
	s_cbranch_scc1 .LBB150_427
; %bb.422:
	s_cmp_gt_i32 s14, 27
	s_cbranch_scc0 .LBB150_424
; %bb.423:
	s_and_b32 s8, s19, 0xff
	s_lshl_b32 s9, s8, 23
	v_cvt_u32_f32_e32 v3, s9
	s_cmp_lg_u32 s8, 0
	s_cselect_b64 vcc, -1, 0
	s_mov_b64 s[8:9], 0
	v_cndmask_b32_e32 v3, 0, v3, vcc
	global_store_dword v[0:1], v3, off
.LBB150_424:
	s_andn2_b64 vcc, exec, s[8:9]
	s_cbranch_vccnz .LBB150_426
; %bb.425:
	s_and_b32 s8, s19, 0xff
	s_lshl_b32 s9, s8, 23
	v_cvt_u32_f32_e32 v3, s9
	s_cmp_lg_u32 s8, 0
	s_cselect_b64 vcc, -1, 0
	v_cndmask_b32_e32 v3, 0, v3, vcc
	global_store_short v[0:1], v3, off
.LBB150_426:
	s_mov_b64 s[8:9], 0
.LBB150_427:
	s_andn2_b64 vcc, exec, s[8:9]
	s_cbranch_vccnz .LBB150_442
; %bb.428:
	s_and_b32 s8, s19, 0xff
	s_lshl_b32 s9, s8, 23
	s_cmpk_lg_i32 s8, 0xff
	v_mov_b32_e32 v3, 0x7f800001
	v_mov_b32_e32 v4, s9
	s_cselect_b64 vcc, -1, 0
	s_cmp_lg_u32 s8, 0
	v_cndmask_b32_e32 v3, v3, v4, vcc
	v_mov_b32_e32 v4, 0x400000
	s_cselect_b64 vcc, -1, 0
	v_cndmask_b32_e32 v3, v4, v3, vcc
	s_mov_b32 s9, 0x437fffff
	v_cmp_lt_u32_e32 vcc, s9, v3
	v_readfirstlane_b32 s8, v3
	v_mov_b32_e32 v5, 0x80
	s_cbranch_vccnz .LBB150_441
; %bb.429:
	s_cmp_gt_u32 s8, 0x3bffffff
	s_cbranch_scc0 .LBB150_436
; %bb.430:
	s_bfe_u32 s9, s8, 0x10014
	s_add_i32 s8, s8, s9
	s_add_i32 s8, s8, 0x487ffff
	s_lshr_b32 s12, s8, 20
	s_mov_b64 s[10:11], 0
	s_mov_b64 s[8:9], -1
	s_branch .LBB150_437
.LBB150_431:
	s_or_b64 exec, exec, s[2:3]
	s_and_saveexec_b64 s[2:3], s[0:1]
	s_cbranch_execz .LBB150_826
.LBB150_432:
	; divergent unreachable
	s_or_b64 exec, exec, s[2:3]
	s_and_saveexec_b64 s[0:1], s[20:21]
	s_xor_b64 s[0:1], exec, s[0:1]
	s_cbranch_execnz .LBB150_827
.LBB150_433:
	s_or_b64 exec, exec, s[0:1]
	s_and_saveexec_b64 s[0:1], s[6:7]
	s_cbranch_execnz .LBB150_828
	s_branch .LBB150_865
.LBB150_434:
	s_mov_b64 s[8:9], 0
	s_mov_b64 s[4:5], s[0:1]
	s_cbranch_execnz .LBB150_494
.LBB150_435:
	s_andn2_b64 vcc, exec, s[8:9]
	s_cbranch_vccz .LBB150_532
	s_branch .LBB150_824
.LBB150_436:
	s_mov_b64 s[10:11], -1
	s_mov_b64 s[8:9], 0
                                        ; implicit-def: $sgpr12
.LBB150_437:
	s_andn2_b64 vcc, exec, s[10:11]
	v_mov_b32_e32 v4, s12
	s_cbranch_vccnz .LBB150_439
; %bb.438:
	v_add_f32_e32 v3, 0x46000000, v3
	v_and_b32_e32 v4, 0xff, v3
	v_cmp_ne_u32_e64 s[8:9], 0, v4
.LBB150_439:
	s_andn2_b64 vcc, exec, s[8:9]
	v_mov_b32_e32 v5, 0
	s_cbranch_vccnz .LBB150_441
; %bb.440:
	v_mov_b32_e32 v5, v4
.LBB150_441:
	global_store_byte v[0:1], v5, off
.LBB150_442:
	s_mov_b64 s[8:9], -1
.LBB150_443:
	s_mov_b64 s[10:11], 0
.LBB150_444:
	s_and_b64 vcc, exec, s[10:11]
	s_cbranch_vccz .LBB150_490
; %bb.445:
	s_cmp_gt_i32 s14, 22
	s_mov_b64 s[6:7], -1
	s_cbranch_scc0 .LBB150_483
; %bb.446:
	s_cmp_lt_i32 s14, 24
	s_cbranch_scc1 .LBB150_470
; %bb.447:
	s_cmp_gt_i32 s14, 24
	s_cbranch_scc0 .LBB150_457
; %bb.448:
	s_and_b32 s6, s19, 0xff
	s_lshl_b32 s7, s6, 23
	s_cmpk_lg_i32 s6, 0xff
	v_mov_b32_e32 v3, 0x7f800001
	v_mov_b32_e32 v4, s7
	s_cselect_b64 vcc, -1, 0
	s_cmp_lg_u32 s6, 0
	v_cndmask_b32_e32 v3, v3, v4, vcc
	v_mov_b32_e32 v4, 0x400000
	s_cselect_b64 vcc, -1, 0
	v_cndmask_b32_e32 v3, v4, v3, vcc
	s_mov_b32 s7, 0x477fffff
	v_cmp_lt_u32_e32 vcc, s7, v3
	v_readfirstlane_b32 s6, v3
	v_mov_b32_e32 v5, 0x80
	s_cbranch_vccnz .LBB150_456
; %bb.449:
	s_cmp_gt_u32 s6, 0x37ffffff
	s_cbranch_scc0 .LBB150_451
; %bb.450:
	s_bfe_u32 s7, s6, 0x10015
	s_add_i32 s6, s6, s7
	s_add_i32 s6, s6, 0x88fffff
	s_lshr_b32 s10, s6, 21
	s_mov_b64 s[8:9], 0
	s_mov_b64 s[6:7], -1
	s_branch .LBB150_452
.LBB150_451:
	s_mov_b64 s[8:9], -1
	s_mov_b64 s[6:7], 0
                                        ; implicit-def: $sgpr10
.LBB150_452:
	s_andn2_b64 vcc, exec, s[8:9]
	v_mov_b32_e32 v4, s10
	s_cbranch_vccnz .LBB150_454
; %bb.453:
	v_add_f32_e32 v3, 0x42800000, v3
	v_and_b32_e32 v4, 0xff, v3
	v_cmp_ne_u32_e64 s[6:7], 0, v4
.LBB150_454:
	s_andn2_b64 vcc, exec, s[6:7]
	v_mov_b32_e32 v5, 0
	s_cbranch_vccnz .LBB150_456
; %bb.455:
	v_mov_b32_e32 v5, v4
.LBB150_456:
	s_mov_b64 s[6:7], 0
	global_store_byte v[0:1], v5, off
.LBB150_457:
	s_and_b64 vcc, exec, s[6:7]
	s_cbranch_vccz .LBB150_469
; %bb.458:
	s_and_b32 s6, s19, 0xff
	s_lshl_b32 s7, s6, 23
	s_cmpk_lg_i32 s6, 0xff
	v_mov_b32_e32 v3, 0x7f800001
	v_mov_b32_e32 v4, s7
	s_cselect_b64 vcc, -1, 0
	s_cmp_lg_u32 s6, 0
	v_cndmask_b32_e32 v3, v3, v4, vcc
	v_mov_b32_e32 v4, 0x400000
	s_cselect_b64 vcc, -1, 0
	v_cndmask_b32_e32 v3, v4, v3, vcc
	s_mov_b32 s6, 0x43f00000
	v_cmp_gt_u32_e32 vcc, s6, v3
	v_readfirstlane_b32 s8, v3
	s_cbranch_vccz .LBB150_461
; %bb.459:
	s_cmp_gt_u32 s8, 0x3c7fffff
	s_cbranch_scc0 .LBB150_462
; %bb.460:
	s_bfe_u32 s6, s8, 0x10014
	s_add_i32 s6, s8, s6
	s_add_i32 s6, s6, 0x407ffff
	s_lshr_b32 s7, s6, 20
	s_and_b32 s6, s6, 0xff00000
	s_cmp_lg_u32 s6, 0x7f00000
	s_cselect_b32 s9, s7, 0x7e
	s_mov_b64 s[6:7], 0
	s_branch .LBB150_463
.LBB150_461:
	s_mov_b64 s[6:7], -1
                                        ; implicit-def: $vgpr4
	s_branch .LBB150_466
.LBB150_462:
	s_mov_b64 s[6:7], -1
                                        ; implicit-def: $sgpr9
.LBB150_463:
	s_andn2_b64 vcc, exec, s[6:7]
	v_mov_b32_e32 v4, s9
	s_cbranch_vccnz .LBB150_465
; %bb.464:
	v_add_f32_e32 v4, 0x46800000, v3
.LBB150_465:
	s_mov_b64 s[6:7], 0
.LBB150_466:
	s_andn2_b64 vcc, exec, s[6:7]
	s_cbranch_vccnz .LBB150_468
; %bb.467:
	s_cmp_gt_u32 s8, 0x7f800000
	s_movk_i32 s6, 0x7f
	s_cselect_b32 s6, s6, 0x7e
	v_mov_b32_e32 v4, s6
.LBB150_468:
	global_store_byte v[0:1], v4, off
.LBB150_469:
	s_mov_b64 s[6:7], 0
.LBB150_470:
	s_andn2_b64 vcc, exec, s[6:7]
	s_cbranch_vccnz .LBB150_482
; %bb.471:
	s_and_b32 s6, s19, 0xff
	s_lshl_b32 s7, s6, 23
	s_cmpk_lg_i32 s6, 0xff
	v_mov_b32_e32 v3, 0x7f800001
	v_mov_b32_e32 v4, s7
	s_cselect_b64 vcc, -1, 0
	s_cmp_lg_u32 s6, 0
	v_cndmask_b32_e32 v3, v3, v4, vcc
	v_mov_b32_e32 v4, 0x400000
	s_cselect_b64 vcc, -1, 0
	v_cndmask_b32_e32 v3, v4, v3, vcc
	s_mov_b32 s6, 0x47800000
	v_cmp_gt_u32_e32 vcc, s6, v3
	v_readfirstlane_b32 s8, v3
	s_cbranch_vccz .LBB150_474
; %bb.472:
	s_cmp_gt_u32 s8, 0x387fffff
	s_cbranch_scc0 .LBB150_475
; %bb.473:
	s_bfe_u32 s6, s8, 0x10015
	s_add_i32 s6, s8, s6
	s_add_i32 s6, s6, 0x80fffff
	s_lshr_b32 s9, s6, 21
	s_mov_b64 s[6:7], 0
	s_branch .LBB150_476
.LBB150_474:
	s_mov_b64 s[6:7], -1
                                        ; implicit-def: $vgpr4
	s_branch .LBB150_479
.LBB150_475:
	s_mov_b64 s[6:7], -1
                                        ; implicit-def: $sgpr9
.LBB150_476:
	s_andn2_b64 vcc, exec, s[6:7]
	v_mov_b32_e32 v4, s9
	s_cbranch_vccnz .LBB150_478
; %bb.477:
	v_add_f32_e32 v4, 0x43000000, v3
.LBB150_478:
	s_mov_b64 s[6:7], 0
.LBB150_479:
	s_andn2_b64 vcc, exec, s[6:7]
	s_cbranch_vccnz .LBB150_481
; %bb.480:
	s_cmp_gt_u32 s8, 0x7f800000
	s_movk_i32 s6, 0x7f
	s_cselect_b32 s6, s6, 0x7c
	v_mov_b32_e32 v4, s6
.LBB150_481:
	global_store_byte v[0:1], v4, off
.LBB150_482:
	s_mov_b64 s[6:7], 0
	s_mov_b64 s[8:9], -1
.LBB150_483:
	s_andn2_b64 vcc, exec, s[6:7]
	s_mov_b64 s[6:7], 0
	s_cbranch_vccnz .LBB150_490
; %bb.484:
	s_cmp_gt_i32 s14, 14
	s_mov_b64 s[10:11], -1
	s_cbranch_scc0 .LBB150_488
; %bb.485:
	s_cmp_eq_u32 s14, 15
	s_mov_b64 s[4:5], -1
	s_cbranch_scc0 .LBB150_487
; %bb.486:
	s_and_b32 s4, s19, 0xff
	s_lshl_b32 s5, s4, 23
	s_cmpk_lg_i32 s4, 0xff
	v_mov_b32_e32 v3, 0x7f800001
	v_mov_b32_e32 v4, s5
	s_cselect_b64 vcc, -1, 0
	s_cmp_lg_u32 s4, 0
	v_cndmask_b32_e32 v3, v3, v4, vcc
	v_mov_b32_e32 v4, 0x400000
	s_cselect_b64 vcc, -1, 0
	v_cndmask_b32_e32 v3, v4, v3, vcc
	v_add_u32_e32 v4, 0x7fff, v3
	v_cmp_o_f32_e32 vcc, v3, v3
	v_mov_b32_e32 v3, 0x7fc0
	v_cndmask_b32_sdwa v3, v3, v4, vcc dst_sel:DWORD dst_unused:UNUSED_PAD src0_sel:DWORD src1_sel:WORD_1
	global_store_short v[0:1], v3, off
	s_mov_b64 s[4:5], 0
	s_mov_b64 s[8:9], -1
.LBB150_487:
	s_mov_b64 s[10:11], 0
.LBB150_488:
	s_and_b64 vcc, exec, s[10:11]
	s_cbranch_vccz .LBB150_490
; %bb.489:
	s_cmp_lg_u32 s14, 11
	s_mov_b64 s[6:7], -1
	s_cselect_b64 s[4:5], -1, 0
.LBB150_490:
	s_and_b64 vcc, exec, s[4:5]
	s_mov_b64 s[4:5], s[0:1]
	s_cbranch_vccnz .LBB150_560
; %bb.491:
	s_andn2_b64 vcc, exec, s[6:7]
	s_cbranch_vccnz .LBB150_493
.LBB150_492:
	v_mov_b32_e32 v3, 1
	s_mov_b64 s[8:9], -1
	global_store_byte v[0:1], v3, off
.LBB150_493:
	s_branch .LBB150_435
.LBB150_494:
	s_cmp_lt_i32 s14, 5
	s_mov_b64 s[6:7], -1
	s_cbranch_scc1 .LBB150_515
; %bb.495:
	s_cmp_lt_i32 s14, 8
	s_cbranch_scc1 .LBB150_505
; %bb.496:
	s_cmp_lt_i32 s14, 9
	s_cbranch_scc1 .LBB150_502
; %bb.497:
	s_cmp_gt_i32 s14, 9
	s_cbranch_scc0 .LBB150_499
; %bb.498:
	s_and_b32 s6, s19, 0xff
	s_lshl_b32 s7, s6, 23
	v_cvt_f64_f32_e32 v[3:4], s7
	s_cmpk_lg_i32 s6, 0xff
	v_bfrev_b32_e32 v5, 4
	s_cselect_b64 vcc, -1, 0
	v_cndmask_b32_e32 v3, v5, v3, vcc
	v_mov_b32_e32 v5, 0x7ff80000
	s_cmp_lg_u32 s6, 0
	v_cndmask_b32_e32 v4, v5, v4, vcc
	v_bfrev_b32_e32 v5, 28
	s_cselect_b64 vcc, -1, 0
	v_cndmask_b32_e32 v4, v5, v4, vcc
	v_mov_b32_e32 v5, 0
	v_cndmask_b32_e32 v3, 0, v3, vcc
	v_mov_b32_e32 v6, v5
	global_store_dwordx4 v[0:1], v[3:6], off
	s_mov_b64 s[6:7], 0
.LBB150_499:
	s_andn2_b64 vcc, exec, s[6:7]
	s_cbranch_vccnz .LBB150_501
; %bb.500:
	s_and_b32 s6, s19, 0xff
	s_lshl_b32 s7, s6, 23
	s_cmpk_lg_i32 s6, 0xff
	s_cselect_b32 s7, s7, 0x7f800001
	s_cmp_lg_u32 s6, 0
	s_cselect_b32 s6, s7, 0x400000
	v_mov_b32_e32 v3, s6
	v_mov_b32_e32 v4, 0
	global_store_dwordx2 v[0:1], v[3:4], off
.LBB150_501:
	s_mov_b64 s[6:7], 0
.LBB150_502:
	s_andn2_b64 vcc, exec, s[6:7]
	s_cbranch_vccnz .LBB150_504
; %bb.503:
	s_and_b32 s6, s19, 0xff
	s_lshl_b32 s7, s6, 23
	v_cvt_f16_f32_e32 v3, s7
	s_cmpk_lg_i32 s6, 0xff
	v_mov_b32_e32 v4, 0x7e00
	s_cselect_b64 vcc, -1, 0
	s_cmp_lg_u32 s6, 0
	v_cndmask_b32_e32 v3, v4, v3, vcc
	s_cselect_b64 vcc, -1, 0
	v_cndmask_b32_e32 v3, 0, v3, vcc
	global_store_dword v[0:1], v3, off
.LBB150_504:
	s_mov_b64 s[6:7], 0
.LBB150_505:
	s_andn2_b64 vcc, exec, s[6:7]
	s_cbranch_vccnz .LBB150_514
; %bb.506:
	s_cmp_lt_i32 s14, 6
	s_mov_b64 s[6:7], -1
	s_cbranch_scc1 .LBB150_512
; %bb.507:
	s_cmp_gt_i32 s14, 6
	s_cbranch_scc0 .LBB150_509
; %bb.508:
	s_and_b32 s6, s19, 0xff
	s_lshl_b32 s7, s6, 23
	v_cvt_f64_f32_e32 v[3:4], s7
	s_cmpk_lg_i32 s6, 0xff
	v_bfrev_b32_e32 v5, 4
	s_cselect_b64 vcc, -1, 0
	v_cndmask_b32_e32 v3, v5, v3, vcc
	v_mov_b32_e32 v5, 0x7ff80000
	s_cmp_lg_u32 s6, 0
	v_cndmask_b32_e32 v4, v5, v4, vcc
	v_bfrev_b32_e32 v5, 28
	s_cselect_b64 vcc, -1, 0
	v_cndmask_b32_e32 v4, v5, v4, vcc
	v_cndmask_b32_e32 v3, 0, v3, vcc
	global_store_dwordx2 v[0:1], v[3:4], off
	s_mov_b64 s[6:7], 0
.LBB150_509:
	s_andn2_b64 vcc, exec, s[6:7]
	s_cbranch_vccnz .LBB150_511
; %bb.510:
	s_and_b32 s6, s19, 0xff
	s_lshl_b32 s7, s6, 23
	s_cmpk_lg_i32 s6, 0xff
	v_mov_b32_e32 v3, 0x7f800001
	v_mov_b32_e32 v4, s7
	s_cselect_b64 vcc, -1, 0
	s_cmp_lg_u32 s6, 0
	v_cndmask_b32_e32 v3, v3, v4, vcc
	v_mov_b32_e32 v4, 0x400000
	s_cselect_b64 vcc, -1, 0
	v_cndmask_b32_e32 v3, v4, v3, vcc
	global_store_dword v[0:1], v3, off
.LBB150_511:
	s_mov_b64 s[6:7], 0
.LBB150_512:
	s_andn2_b64 vcc, exec, s[6:7]
	s_cbranch_vccnz .LBB150_514
; %bb.513:
	s_and_b32 s6, s19, 0xff
	s_lshl_b32 s7, s6, 23
	v_cvt_f16_f32_e32 v3, s7
	s_cmpk_lg_i32 s6, 0xff
	v_mov_b32_e32 v4, 0x7e00
	s_cselect_b64 vcc, -1, 0
	s_cmp_lg_u32 s6, 0
	v_cndmask_b32_e32 v3, v4, v3, vcc
	s_cselect_b64 vcc, -1, 0
	v_cndmask_b32_e32 v3, 0, v3, vcc
	global_store_short v[0:1], v3, off
.LBB150_514:
	s_mov_b64 s[6:7], 0
.LBB150_515:
	s_andn2_b64 vcc, exec, s[6:7]
	s_cbranch_vccnz .LBB150_531
; %bb.516:
	s_cmp_lt_i32 s14, 2
	s_mov_b64 s[6:7], -1
	s_cbranch_scc1 .LBB150_526
; %bb.517:
	s_cmp_lt_i32 s14, 3
	s_cbranch_scc1 .LBB150_523
; %bb.518:
	s_cmp_gt_i32 s14, 3
	s_cbranch_scc0 .LBB150_520
; %bb.519:
	s_and_b32 s6, s19, 0xff
	s_lshl_b32 s7, s6, 23
	v_trunc_f32_e32 v3, s7
	s_mov_b32 s7, 0x2f800000
	v_mul_f32_e64 v4, |v3|, s7
	v_floor_f32_e32 v4, v4
	s_mov_b32 s7, 0xcf800000
	v_fma_f32 v5, v4, s7, |v3|
	v_cvt_u32_f32_e32 v5, v5
	v_cvt_u32_f32_e32 v4, v4
	v_ashrrev_i32_e32 v3, 31, v3
	s_cmp_lg_u32 s6, 0
	v_xor_b32_e32 v5, v5, v3
	v_xor_b32_e32 v4, v4, v3
	v_sub_co_u32_e32 v5, vcc, v5, v3
	v_subb_co_u32_e32 v3, vcc, v4, v3, vcc
	s_cselect_b64 vcc, -1, 0
	v_cndmask_b32_e32 v4, 0, v3, vcc
	v_cndmask_b32_e32 v3, 0, v5, vcc
	global_store_dwordx2 v[0:1], v[3:4], off
	s_mov_b64 s[6:7], 0
.LBB150_520:
	s_andn2_b64 vcc, exec, s[6:7]
	s_cbranch_vccnz .LBB150_522
; %bb.521:
	s_and_b32 s6, s19, 0xff
	s_lshl_b32 s7, s6, 23
	v_cvt_i32_f32_e32 v3, s7
	s_cmp_lg_u32 s6, 0
	s_cselect_b64 vcc, -1, 0
	v_cndmask_b32_e32 v3, 0, v3, vcc
	global_store_dword v[0:1], v3, off
.LBB150_522:
	s_mov_b64 s[6:7], 0
.LBB150_523:
	s_andn2_b64 vcc, exec, s[6:7]
	s_cbranch_vccnz .LBB150_525
; %bb.524:
	s_and_b32 s6, s19, 0xff
	s_lshl_b32 s7, s6, 23
	v_cvt_i32_f32_e32 v3, s7
	s_cmp_lg_u32 s6, 0
	s_cselect_b64 vcc, -1, 0
	v_cndmask_b32_e32 v3, 0, v3, vcc
	global_store_short v[0:1], v3, off
.LBB150_525:
	s_mov_b64 s[6:7], 0
.LBB150_526:
	s_andn2_b64 vcc, exec, s[6:7]
	s_cbranch_vccnz .LBB150_531
; %bb.527:
	s_cmp_gt_i32 s14, 0
	s_mov_b64 s[6:7], -1
	s_cbranch_scc0 .LBB150_529
; %bb.528:
	s_and_b32 s6, s19, 0xff
	s_lshl_b32 s7, s6, 23
	v_cvt_i32_f32_e32 v3, s7
	s_cmp_lg_u32 s6, 0
	s_cselect_b64 vcc, -1, 0
	s_mov_b64 s[6:7], 0
	v_cndmask_b32_e32 v3, 0, v3, vcc
	global_store_byte v[0:1], v3, off
.LBB150_529:
	s_andn2_b64 vcc, exec, s[6:7]
	s_cbranch_vccnz .LBB150_531
; %bb.530:
	s_and_b32 s6, s19, 0xff
	s_lshl_b32 s7, s6, 23
	v_trunc_f32_e32 v3, s7
	s_mov_b32 s7, 0x2f800000
	v_mul_f32_e64 v4, |v3|, s7
	v_floor_f32_e32 v4, v4
	s_mov_b32 s7, 0xcf800000
	v_fma_f32 v4, v4, s7, |v3|
	v_cvt_u32_f32_e32 v4, v4
	v_ashrrev_i32_e32 v3, 31, v3
	s_cmp_lg_u32 s6, 0
	s_cselect_b64 vcc, -1, 0
	v_xor_b32_e32 v4, v4, v3
	v_sub_u32_e32 v3, v4, v3
	v_cndmask_b32_e32 v3, 0, v3, vcc
	global_store_byte v[0:1], v3, off
.LBB150_531:
.LBB150_532:
	s_lshl_b32 s15, s18, 7
	v_add_u32_e32 v2, s15, v2
	v_ashrrev_i32_e32 v1, 31, v2
	v_mov_b32_e32 v3, s17
	v_add_co_u32_e32 v0, vcc, s16, v2
	s_cmp_lt_i32 s14, 11
	v_addc_co_u32_e32 v1, vcc, v3, v1, vcc
	s_cbranch_scc1 .LBB150_558
; %bb.533:
	s_mov_b64 s[12:13], -1
	s_mov_b64 s[8:9], 0
	s_cmp_gt_i32 s14, 25
	s_mov_b64 s[10:11], 0
	s_mov_b64 s[6:7], 0
	s_cbranch_scc0 .LBB150_569
; %bb.534:
	s_cmp_gt_i32 s14, 28
	s_cbranch_scc0 .LBB150_547
; %bb.535:
	s_cmp_gt_i32 s14, 43
	;; [unrolled: 3-line block ×3, first 2 shown]
	s_cbranch_scc0 .LBB150_539
; %bb.537:
	s_mov_b64 s[6:7], -1
	s_mov_b64 s[12:13], 0
	s_cmp_eq_u32 s14, 46
	s_cbranch_scc0 .LBB150_539
; %bb.538:
	s_and_b32 s6, s19, 0xff
	s_lshl_b32 s7, s6, 23
	s_cmpk_lg_i32 s6, 0xff
	v_mov_b32_e32 v3, 0x7f800001
	v_mov_b32_e32 v4, s7
	s_cselect_b64 vcc, -1, 0
	s_cmp_lg_u32 s6, 0
	v_cndmask_b32_e32 v3, v3, v4, vcc
	v_mov_b32_e32 v4, 0x400000
	s_cselect_b64 vcc, -1, 0
	v_cndmask_b32_e32 v3, v4, v3, vcc
	v_add_u32_e32 v4, 0x7fff, v3
	v_cmp_o_f32_e32 vcc, v3, v3
	v_mov_b32_e32 v3, 0x7fc0
	v_cndmask_b32_sdwa v3, v3, v4, vcc dst_sel:DWORD dst_unused:UNUSED_PAD src0_sel:DWORD src1_sel:WORD_1
	global_store_dword v[0:1], v3, off
	s_mov_b64 s[6:7], 0
	s_mov_b64 s[10:11], -1
.LBB150_539:
	s_and_b64 vcc, exec, s[12:13]
	s_cbranch_vccz .LBB150_542
; %bb.540:
	s_cmp_eq_u32 s14, 44
	s_mov_b64 s[6:7], -1
	s_cbranch_scc0 .LBB150_542
; %bb.541:
	v_mov_b32_e32 v3, s19
	global_store_byte v[0:1], v3, off
	s_mov_b64 s[6:7], 0
	s_mov_b64 s[10:11], -1
.LBB150_542:
	s_mov_b64 s[12:13], 0
.LBB150_543:
	s_and_b64 vcc, exec, s[12:13]
	s_cbranch_vccz .LBB150_546
; %bb.544:
	s_cmp_eq_u32 s14, 29
	s_mov_b64 s[6:7], -1
	s_cbranch_scc0 .LBB150_546
; %bb.545:
	s_and_b32 s6, s19, 0xff
	s_lshl_b32 s7, s6, 23
	v_trunc_f32_e32 v3, s7
	v_mul_f32_e32 v4, 0x2f800000, v3
	v_floor_f32_e32 v4, v4
	v_fmac_f32_e32 v3, 0xcf800000, v4
	v_cvt_u32_f32_e32 v4, v4
	v_cvt_u32_f32_e32 v3, v3
	s_cmp_lg_u32 s6, 0
	s_cselect_b64 vcc, -1, 0
	v_cndmask_b32_e32 v4, 0, v4, vcc
	v_cndmask_b32_e32 v3, 0, v3, vcc
	global_store_dwordx2 v[0:1], v[3:4], off
	s_mov_b64 s[6:7], 0
	s_mov_b64 s[10:11], -1
.LBB150_546:
	s_mov_b64 s[12:13], 0
.LBB150_547:
	s_and_b64 vcc, exec, s[12:13]
	s_cbranch_vccz .LBB150_568
; %bb.548:
	s_cmp_lt_i32 s14, 27
	s_mov_b64 s[10:11], -1
	s_cbranch_scc1 .LBB150_554
; %bb.549:
	s_cmp_gt_i32 s14, 27
	s_cbranch_scc0 .LBB150_551
; %bb.550:
	s_and_b32 s10, s19, 0xff
	s_lshl_b32 s11, s10, 23
	v_cvt_u32_f32_e32 v3, s11
	s_cmp_lg_u32 s10, 0
	s_cselect_b64 vcc, -1, 0
	s_mov_b64 s[10:11], 0
	v_cndmask_b32_e32 v3, 0, v3, vcc
	global_store_dword v[0:1], v3, off
.LBB150_551:
	s_andn2_b64 vcc, exec, s[10:11]
	s_cbranch_vccnz .LBB150_553
; %bb.552:
	s_and_b32 s10, s19, 0xff
	s_lshl_b32 s11, s10, 23
	v_cvt_u32_f32_e32 v3, s11
	s_cmp_lg_u32 s10, 0
	s_cselect_b64 vcc, -1, 0
	v_cndmask_b32_e32 v3, 0, v3, vcc
	global_store_short v[0:1], v3, off
.LBB150_553:
	s_mov_b64 s[10:11], 0
.LBB150_554:
	s_andn2_b64 vcc, exec, s[10:11]
	s_cbranch_vccnz .LBB150_567
; %bb.555:
	s_and_b32 s10, s19, 0xff
	s_lshl_b32 s11, s10, 23
	s_cmpk_lg_i32 s10, 0xff
	v_mov_b32_e32 v3, 0x7f800001
	v_mov_b32_e32 v4, s11
	s_cselect_b64 vcc, -1, 0
	s_cmp_lg_u32 s10, 0
	v_cndmask_b32_e32 v3, v3, v4, vcc
	v_mov_b32_e32 v4, 0x400000
	s_cselect_b64 vcc, -1, 0
	v_cndmask_b32_e32 v3, v4, v3, vcc
	s_mov_b32 s11, 0x437fffff
	v_cmp_lt_u32_e32 vcc, s11, v3
	v_readfirstlane_b32 s10, v3
	v_mov_b32_e32 v5, 0x80
	s_cbranch_vccnz .LBB150_566
; %bb.556:
	s_cmp_gt_u32 s10, 0x3bffffff
	s_cbranch_scc0 .LBB150_561
; %bb.557:
	s_bfe_u32 s11, s10, 0x10014
	s_add_i32 s10, s10, s11
	s_add_i32 s10, s10, 0x487ffff
	s_lshr_b32 s18, s10, 20
	s_mov_b64 s[12:13], 0
	s_mov_b64 s[10:11], -1
	s_branch .LBB150_562
.LBB150_558:
	s_mov_b64 s[10:11], 0
	s_cbranch_execnz .LBB150_619
.LBB150_559:
	s_andn2_b64 vcc, exec, s[10:11]
	s_cbranch_vccz .LBB150_657
	s_branch .LBB150_824
.LBB150_560:
	s_or_b64 s[4:5], s[0:1], exec
	s_trap 2
	s_cbranch_execz .LBB150_492
	s_branch .LBB150_493
.LBB150_561:
	s_mov_b64 s[12:13], -1
	s_mov_b64 s[10:11], 0
                                        ; implicit-def: $sgpr18
.LBB150_562:
	s_andn2_b64 vcc, exec, s[12:13]
	v_mov_b32_e32 v4, s18
	s_cbranch_vccnz .LBB150_564
; %bb.563:
	v_add_f32_e32 v3, 0x46000000, v3
	v_and_b32_e32 v4, 0xff, v3
	v_cmp_ne_u32_e64 s[10:11], 0, v4
.LBB150_564:
	s_andn2_b64 vcc, exec, s[10:11]
	v_mov_b32_e32 v5, 0
	s_cbranch_vccnz .LBB150_566
; %bb.565:
	v_mov_b32_e32 v5, v4
.LBB150_566:
	global_store_byte v[0:1], v5, off
.LBB150_567:
	s_mov_b64 s[10:11], -1
.LBB150_568:
	s_mov_b64 s[12:13], 0
.LBB150_569:
	s_and_b64 vcc, exec, s[12:13]
	s_cbranch_vccz .LBB150_615
; %bb.570:
	s_cmp_gt_i32 s14, 22
	s_mov_b64 s[8:9], -1
	s_cbranch_scc0 .LBB150_608
; %bb.571:
	s_cmp_lt_i32 s14, 24
	s_cbranch_scc1 .LBB150_595
; %bb.572:
	s_cmp_gt_i32 s14, 24
	s_cbranch_scc0 .LBB150_582
; %bb.573:
	s_and_b32 s8, s19, 0xff
	s_lshl_b32 s9, s8, 23
	s_cmpk_lg_i32 s8, 0xff
	v_mov_b32_e32 v3, 0x7f800001
	v_mov_b32_e32 v4, s9
	s_cselect_b64 vcc, -1, 0
	s_cmp_lg_u32 s8, 0
	v_cndmask_b32_e32 v3, v3, v4, vcc
	v_mov_b32_e32 v4, 0x400000
	s_cselect_b64 vcc, -1, 0
	v_cndmask_b32_e32 v3, v4, v3, vcc
	s_mov_b32 s9, 0x477fffff
	v_cmp_lt_u32_e32 vcc, s9, v3
	v_readfirstlane_b32 s8, v3
	v_mov_b32_e32 v5, 0x80
	s_cbranch_vccnz .LBB150_581
; %bb.574:
	s_cmp_gt_u32 s8, 0x37ffffff
	s_cbranch_scc0 .LBB150_576
; %bb.575:
	s_bfe_u32 s9, s8, 0x10015
	s_add_i32 s8, s8, s9
	s_add_i32 s8, s8, 0x88fffff
	s_lshr_b32 s12, s8, 21
	s_mov_b64 s[10:11], 0
	s_mov_b64 s[8:9], -1
	s_branch .LBB150_577
.LBB150_576:
	s_mov_b64 s[10:11], -1
	s_mov_b64 s[8:9], 0
                                        ; implicit-def: $sgpr12
.LBB150_577:
	s_andn2_b64 vcc, exec, s[10:11]
	v_mov_b32_e32 v4, s12
	s_cbranch_vccnz .LBB150_579
; %bb.578:
	v_add_f32_e32 v3, 0x42800000, v3
	v_and_b32_e32 v4, 0xff, v3
	v_cmp_ne_u32_e64 s[8:9], 0, v4
.LBB150_579:
	s_andn2_b64 vcc, exec, s[8:9]
	v_mov_b32_e32 v5, 0
	s_cbranch_vccnz .LBB150_581
; %bb.580:
	v_mov_b32_e32 v5, v4
.LBB150_581:
	s_mov_b64 s[8:9], 0
	global_store_byte v[0:1], v5, off
.LBB150_582:
	s_and_b64 vcc, exec, s[8:9]
	s_cbranch_vccz .LBB150_594
; %bb.583:
	s_and_b32 s8, s19, 0xff
	s_lshl_b32 s9, s8, 23
	s_cmpk_lg_i32 s8, 0xff
	v_mov_b32_e32 v3, 0x7f800001
	v_mov_b32_e32 v4, s9
	s_cselect_b64 vcc, -1, 0
	s_cmp_lg_u32 s8, 0
	v_cndmask_b32_e32 v3, v3, v4, vcc
	v_mov_b32_e32 v4, 0x400000
	s_cselect_b64 vcc, -1, 0
	v_cndmask_b32_e32 v3, v4, v3, vcc
	s_mov_b32 s8, 0x43f00000
	v_cmp_gt_u32_e32 vcc, s8, v3
	v_readfirstlane_b32 s10, v3
	s_cbranch_vccz .LBB150_586
; %bb.584:
	s_cmp_gt_u32 s10, 0x3c7fffff
	s_cbranch_scc0 .LBB150_587
; %bb.585:
	s_bfe_u32 s8, s10, 0x10014
	s_add_i32 s8, s10, s8
	s_add_i32 s8, s8, 0x407ffff
	s_lshr_b32 s9, s8, 20
	s_and_b32 s8, s8, 0xff00000
	s_cmp_lg_u32 s8, 0x7f00000
	s_cselect_b32 s11, s9, 0x7e
	s_mov_b64 s[8:9], 0
	s_branch .LBB150_588
.LBB150_586:
	s_mov_b64 s[8:9], -1
                                        ; implicit-def: $vgpr4
	s_branch .LBB150_591
.LBB150_587:
	s_mov_b64 s[8:9], -1
                                        ; implicit-def: $sgpr11
.LBB150_588:
	s_andn2_b64 vcc, exec, s[8:9]
	v_mov_b32_e32 v4, s11
	s_cbranch_vccnz .LBB150_590
; %bb.589:
	v_add_f32_e32 v4, 0x46800000, v3
.LBB150_590:
	s_mov_b64 s[8:9], 0
.LBB150_591:
	s_andn2_b64 vcc, exec, s[8:9]
	s_cbranch_vccnz .LBB150_593
; %bb.592:
	s_cmp_gt_u32 s10, 0x7f800000
	s_movk_i32 s8, 0x7f
	s_cselect_b32 s8, s8, 0x7e
	v_mov_b32_e32 v4, s8
.LBB150_593:
	global_store_byte v[0:1], v4, off
.LBB150_594:
	s_mov_b64 s[8:9], 0
.LBB150_595:
	s_andn2_b64 vcc, exec, s[8:9]
	s_cbranch_vccnz .LBB150_607
; %bb.596:
	s_and_b32 s8, s19, 0xff
	s_lshl_b32 s9, s8, 23
	s_cmpk_lg_i32 s8, 0xff
	v_mov_b32_e32 v3, 0x7f800001
	v_mov_b32_e32 v4, s9
	s_cselect_b64 vcc, -1, 0
	s_cmp_lg_u32 s8, 0
	v_cndmask_b32_e32 v3, v3, v4, vcc
	v_mov_b32_e32 v4, 0x400000
	s_cselect_b64 vcc, -1, 0
	v_cndmask_b32_e32 v3, v4, v3, vcc
	s_mov_b32 s8, 0x47800000
	v_cmp_gt_u32_e32 vcc, s8, v3
	v_readfirstlane_b32 s10, v3
	s_cbranch_vccz .LBB150_599
; %bb.597:
	s_cmp_gt_u32 s10, 0x387fffff
	s_cbranch_scc0 .LBB150_600
; %bb.598:
	s_bfe_u32 s8, s10, 0x10015
	s_add_i32 s8, s10, s8
	s_add_i32 s8, s8, 0x80fffff
	s_lshr_b32 s11, s8, 21
	s_mov_b64 s[8:9], 0
	s_branch .LBB150_601
.LBB150_599:
	s_mov_b64 s[8:9], -1
                                        ; implicit-def: $vgpr4
	s_branch .LBB150_604
.LBB150_600:
	s_mov_b64 s[8:9], -1
                                        ; implicit-def: $sgpr11
.LBB150_601:
	s_andn2_b64 vcc, exec, s[8:9]
	v_mov_b32_e32 v4, s11
	s_cbranch_vccnz .LBB150_603
; %bb.602:
	v_add_f32_e32 v4, 0x43000000, v3
.LBB150_603:
	s_mov_b64 s[8:9], 0
.LBB150_604:
	s_andn2_b64 vcc, exec, s[8:9]
	s_cbranch_vccnz .LBB150_606
; %bb.605:
	s_cmp_gt_u32 s10, 0x7f800000
	s_movk_i32 s8, 0x7f
	s_cselect_b32 s8, s8, 0x7c
	v_mov_b32_e32 v4, s8
.LBB150_606:
	global_store_byte v[0:1], v4, off
.LBB150_607:
	s_mov_b64 s[8:9], 0
	s_mov_b64 s[10:11], -1
.LBB150_608:
	s_andn2_b64 vcc, exec, s[8:9]
	s_mov_b64 s[8:9], 0
	s_cbranch_vccnz .LBB150_615
; %bb.609:
	s_cmp_gt_i32 s14, 14
	s_mov_b64 s[12:13], -1
	s_cbranch_scc0 .LBB150_613
; %bb.610:
	s_cmp_eq_u32 s14, 15
	s_mov_b64 s[6:7], -1
	s_cbranch_scc0 .LBB150_612
; %bb.611:
	s_and_b32 s6, s19, 0xff
	s_lshl_b32 s7, s6, 23
	s_cmpk_lg_i32 s6, 0xff
	v_mov_b32_e32 v3, 0x7f800001
	v_mov_b32_e32 v4, s7
	s_cselect_b64 vcc, -1, 0
	s_cmp_lg_u32 s6, 0
	v_cndmask_b32_e32 v3, v3, v4, vcc
	v_mov_b32_e32 v4, 0x400000
	s_cselect_b64 vcc, -1, 0
	v_cndmask_b32_e32 v3, v4, v3, vcc
	v_add_u32_e32 v4, 0x7fff, v3
	v_cmp_o_f32_e32 vcc, v3, v3
	v_mov_b32_e32 v3, 0x7fc0
	v_cndmask_b32_sdwa v3, v3, v4, vcc dst_sel:DWORD dst_unused:UNUSED_PAD src0_sel:DWORD src1_sel:WORD_1
	global_store_short v[0:1], v3, off
	s_mov_b64 s[6:7], 0
	s_mov_b64 s[10:11], -1
.LBB150_612:
	s_mov_b64 s[12:13], 0
.LBB150_613:
	s_and_b64 vcc, exec, s[12:13]
	s_cbranch_vccz .LBB150_615
; %bb.614:
	s_cmp_lg_u32 s14, 11
	s_mov_b64 s[8:9], -1
	s_cselect_b64 s[6:7], -1, 0
.LBB150_615:
	s_and_b64 vcc, exec, s[6:7]
	s_cbranch_vccnz .LBB150_713
; %bb.616:
	s_andn2_b64 vcc, exec, s[8:9]
	s_cbranch_vccnz .LBB150_618
.LBB150_617:
	v_mov_b32_e32 v3, 1
	s_mov_b64 s[10:11], -1
	global_store_byte v[0:1], v3, off
.LBB150_618:
	s_branch .LBB150_559
.LBB150_619:
	s_cmp_lt_i32 s14, 5
	s_mov_b64 s[6:7], -1
	s_cbranch_scc1 .LBB150_640
; %bb.620:
	s_cmp_lt_i32 s14, 8
	s_cbranch_scc1 .LBB150_630
; %bb.621:
	s_cmp_lt_i32 s14, 9
	s_cbranch_scc1 .LBB150_627
; %bb.622:
	s_cmp_gt_i32 s14, 9
	s_cbranch_scc0 .LBB150_624
; %bb.623:
	s_and_b32 s6, s19, 0xff
	s_lshl_b32 s7, s6, 23
	v_cvt_f64_f32_e32 v[3:4], s7
	s_cmpk_lg_i32 s6, 0xff
	v_bfrev_b32_e32 v5, 4
	s_cselect_b64 vcc, -1, 0
	v_cndmask_b32_e32 v3, v5, v3, vcc
	v_mov_b32_e32 v5, 0x7ff80000
	s_cmp_lg_u32 s6, 0
	v_cndmask_b32_e32 v4, v5, v4, vcc
	v_bfrev_b32_e32 v5, 28
	s_cselect_b64 vcc, -1, 0
	v_cndmask_b32_e32 v4, v5, v4, vcc
	v_mov_b32_e32 v5, 0
	v_cndmask_b32_e32 v3, 0, v3, vcc
	v_mov_b32_e32 v6, v5
	global_store_dwordx4 v[0:1], v[3:6], off
	s_mov_b64 s[6:7], 0
.LBB150_624:
	s_andn2_b64 vcc, exec, s[6:7]
	s_cbranch_vccnz .LBB150_626
; %bb.625:
	s_and_b32 s6, s19, 0xff
	s_lshl_b32 s7, s6, 23
	s_cmpk_lg_i32 s6, 0xff
	s_cselect_b32 s7, s7, 0x7f800001
	s_cmp_lg_u32 s6, 0
	s_cselect_b32 s6, s7, 0x400000
	v_mov_b32_e32 v3, s6
	v_mov_b32_e32 v4, 0
	global_store_dwordx2 v[0:1], v[3:4], off
.LBB150_626:
	s_mov_b64 s[6:7], 0
.LBB150_627:
	s_andn2_b64 vcc, exec, s[6:7]
	s_cbranch_vccnz .LBB150_629
; %bb.628:
	s_and_b32 s6, s19, 0xff
	s_lshl_b32 s7, s6, 23
	v_cvt_f16_f32_e32 v3, s7
	s_cmpk_lg_i32 s6, 0xff
	v_mov_b32_e32 v4, 0x7e00
	s_cselect_b64 vcc, -1, 0
	s_cmp_lg_u32 s6, 0
	v_cndmask_b32_e32 v3, v4, v3, vcc
	s_cselect_b64 vcc, -1, 0
	v_cndmask_b32_e32 v3, 0, v3, vcc
	global_store_dword v[0:1], v3, off
.LBB150_629:
	s_mov_b64 s[6:7], 0
.LBB150_630:
	s_andn2_b64 vcc, exec, s[6:7]
	s_cbranch_vccnz .LBB150_639
; %bb.631:
	s_cmp_lt_i32 s14, 6
	s_mov_b64 s[6:7], -1
	s_cbranch_scc1 .LBB150_637
; %bb.632:
	s_cmp_gt_i32 s14, 6
	s_cbranch_scc0 .LBB150_634
; %bb.633:
	s_and_b32 s6, s19, 0xff
	s_lshl_b32 s7, s6, 23
	v_cvt_f64_f32_e32 v[3:4], s7
	s_cmpk_lg_i32 s6, 0xff
	v_bfrev_b32_e32 v5, 4
	s_cselect_b64 vcc, -1, 0
	v_cndmask_b32_e32 v3, v5, v3, vcc
	v_mov_b32_e32 v5, 0x7ff80000
	s_cmp_lg_u32 s6, 0
	v_cndmask_b32_e32 v4, v5, v4, vcc
	v_bfrev_b32_e32 v5, 28
	s_cselect_b64 vcc, -1, 0
	v_cndmask_b32_e32 v4, v5, v4, vcc
	v_cndmask_b32_e32 v3, 0, v3, vcc
	global_store_dwordx2 v[0:1], v[3:4], off
	s_mov_b64 s[6:7], 0
.LBB150_634:
	s_andn2_b64 vcc, exec, s[6:7]
	s_cbranch_vccnz .LBB150_636
; %bb.635:
	s_and_b32 s6, s19, 0xff
	s_lshl_b32 s7, s6, 23
	s_cmpk_lg_i32 s6, 0xff
	v_mov_b32_e32 v3, 0x7f800001
	v_mov_b32_e32 v4, s7
	s_cselect_b64 vcc, -1, 0
	s_cmp_lg_u32 s6, 0
	v_cndmask_b32_e32 v3, v3, v4, vcc
	v_mov_b32_e32 v4, 0x400000
	s_cselect_b64 vcc, -1, 0
	v_cndmask_b32_e32 v3, v4, v3, vcc
	global_store_dword v[0:1], v3, off
.LBB150_636:
	s_mov_b64 s[6:7], 0
.LBB150_637:
	s_andn2_b64 vcc, exec, s[6:7]
	s_cbranch_vccnz .LBB150_639
; %bb.638:
	s_and_b32 s6, s19, 0xff
	s_lshl_b32 s7, s6, 23
	v_cvt_f16_f32_e32 v3, s7
	s_cmpk_lg_i32 s6, 0xff
	v_mov_b32_e32 v4, 0x7e00
	s_cselect_b64 vcc, -1, 0
	s_cmp_lg_u32 s6, 0
	v_cndmask_b32_e32 v3, v4, v3, vcc
	s_cselect_b64 vcc, -1, 0
	v_cndmask_b32_e32 v3, 0, v3, vcc
	global_store_short v[0:1], v3, off
.LBB150_639:
	s_mov_b64 s[6:7], 0
.LBB150_640:
	s_andn2_b64 vcc, exec, s[6:7]
	s_cbranch_vccnz .LBB150_656
; %bb.641:
	s_cmp_lt_i32 s14, 2
	s_mov_b64 s[6:7], -1
	s_cbranch_scc1 .LBB150_651
; %bb.642:
	s_cmp_lt_i32 s14, 3
	s_cbranch_scc1 .LBB150_648
; %bb.643:
	s_cmp_gt_i32 s14, 3
	s_cbranch_scc0 .LBB150_645
; %bb.644:
	s_and_b32 s6, s19, 0xff
	s_lshl_b32 s7, s6, 23
	v_trunc_f32_e32 v3, s7
	s_mov_b32 s7, 0x2f800000
	v_mul_f32_e64 v4, |v3|, s7
	v_floor_f32_e32 v4, v4
	s_mov_b32 s7, 0xcf800000
	v_fma_f32 v5, v4, s7, |v3|
	v_cvt_u32_f32_e32 v5, v5
	v_cvt_u32_f32_e32 v4, v4
	v_ashrrev_i32_e32 v3, 31, v3
	s_cmp_lg_u32 s6, 0
	v_xor_b32_e32 v5, v5, v3
	v_xor_b32_e32 v4, v4, v3
	v_sub_co_u32_e32 v5, vcc, v5, v3
	v_subb_co_u32_e32 v3, vcc, v4, v3, vcc
	s_cselect_b64 vcc, -1, 0
	v_cndmask_b32_e32 v4, 0, v3, vcc
	v_cndmask_b32_e32 v3, 0, v5, vcc
	global_store_dwordx2 v[0:1], v[3:4], off
	s_mov_b64 s[6:7], 0
.LBB150_645:
	s_andn2_b64 vcc, exec, s[6:7]
	s_cbranch_vccnz .LBB150_647
; %bb.646:
	s_and_b32 s6, s19, 0xff
	s_lshl_b32 s7, s6, 23
	v_cvt_i32_f32_e32 v3, s7
	s_cmp_lg_u32 s6, 0
	s_cselect_b64 vcc, -1, 0
	v_cndmask_b32_e32 v3, 0, v3, vcc
	global_store_dword v[0:1], v3, off
.LBB150_647:
	s_mov_b64 s[6:7], 0
.LBB150_648:
	s_andn2_b64 vcc, exec, s[6:7]
	s_cbranch_vccnz .LBB150_650
; %bb.649:
	s_and_b32 s6, s19, 0xff
	s_lshl_b32 s7, s6, 23
	v_cvt_i32_f32_e32 v3, s7
	s_cmp_lg_u32 s6, 0
	s_cselect_b64 vcc, -1, 0
	v_cndmask_b32_e32 v3, 0, v3, vcc
	global_store_short v[0:1], v3, off
.LBB150_650:
	s_mov_b64 s[6:7], 0
.LBB150_651:
	s_andn2_b64 vcc, exec, s[6:7]
	s_cbranch_vccnz .LBB150_656
; %bb.652:
	s_cmp_gt_i32 s14, 0
	s_mov_b64 s[6:7], -1
	s_cbranch_scc0 .LBB150_654
; %bb.653:
	s_and_b32 s6, s19, 0xff
	s_lshl_b32 s7, s6, 23
	v_cvt_i32_f32_e32 v3, s7
	s_cmp_lg_u32 s6, 0
	s_cselect_b64 vcc, -1, 0
	s_mov_b64 s[6:7], 0
	v_cndmask_b32_e32 v3, 0, v3, vcc
	global_store_byte v[0:1], v3, off
.LBB150_654:
	s_andn2_b64 vcc, exec, s[6:7]
	s_cbranch_vccnz .LBB150_656
; %bb.655:
	s_and_b32 s6, s19, 0xff
	s_lshl_b32 s7, s6, 23
	v_trunc_f32_e32 v3, s7
	s_mov_b32 s7, 0x2f800000
	v_mul_f32_e64 v4, |v3|, s7
	v_floor_f32_e32 v4, v4
	s_mov_b32 s7, 0xcf800000
	v_fma_f32 v4, v4, s7, |v3|
	v_cvt_u32_f32_e32 v4, v4
	v_ashrrev_i32_e32 v3, 31, v3
	s_cmp_lg_u32 s6, 0
	s_cselect_b64 vcc, -1, 0
	v_xor_b32_e32 v4, v4, v3
	v_sub_u32_e32 v3, v4, v3
	v_cndmask_b32_e32 v3, 0, v3, vcc
	global_store_byte v[0:1], v3, off
.LBB150_656:
.LBB150_657:
	v_add_u32_e32 v2, s15, v2
	v_ashrrev_i32_e32 v1, 31, v2
	v_mov_b32_e32 v3, s17
	v_add_co_u32_e32 v0, vcc, s16, v2
	s_cmp_lt_i32 s14, 11
	v_addc_co_u32_e32 v1, vcc, v3, v1, vcc
	s_cbranch_scc1 .LBB150_683
; %bb.658:
	s_mov_b64 s[12:13], -1
	s_mov_b64 s[8:9], 0
	s_cmp_gt_i32 s14, 25
	s_mov_b64 s[10:11], 0
	s_mov_b64 s[6:7], 0
	s_cbranch_scc0 .LBB150_722
; %bb.659:
	s_cmp_gt_i32 s14, 28
	s_cbranch_scc0 .LBB150_672
; %bb.660:
	s_cmp_gt_i32 s14, 43
	;; [unrolled: 3-line block ×3, first 2 shown]
	s_cbranch_scc0 .LBB150_664
; %bb.662:
	s_mov_b64 s[6:7], -1
	s_mov_b64 s[12:13], 0
	s_cmp_eq_u32 s14, 46
	s_cbranch_scc0 .LBB150_664
; %bb.663:
	s_and_b32 s6, s19, 0xff
	s_lshl_b32 s7, s6, 23
	s_cmpk_lg_i32 s6, 0xff
	v_mov_b32_e32 v3, 0x7f800001
	v_mov_b32_e32 v4, s7
	s_cselect_b64 vcc, -1, 0
	s_cmp_lg_u32 s6, 0
	v_cndmask_b32_e32 v3, v3, v4, vcc
	v_mov_b32_e32 v4, 0x400000
	s_cselect_b64 vcc, -1, 0
	v_cndmask_b32_e32 v3, v4, v3, vcc
	v_add_u32_e32 v4, 0x7fff, v3
	v_cmp_o_f32_e32 vcc, v3, v3
	v_mov_b32_e32 v3, 0x7fc0
	v_cndmask_b32_sdwa v3, v3, v4, vcc dst_sel:DWORD dst_unused:UNUSED_PAD src0_sel:DWORD src1_sel:WORD_1
	global_store_dword v[0:1], v3, off
	s_mov_b64 s[6:7], 0
	s_mov_b64 s[10:11], -1
.LBB150_664:
	s_and_b64 vcc, exec, s[12:13]
	s_cbranch_vccz .LBB150_667
; %bb.665:
	s_cmp_eq_u32 s14, 44
	s_mov_b64 s[6:7], -1
	s_cbranch_scc0 .LBB150_667
; %bb.666:
	v_mov_b32_e32 v3, s19
	global_store_byte v[0:1], v3, off
	s_mov_b64 s[6:7], 0
	s_mov_b64 s[10:11], -1
.LBB150_667:
	s_mov_b64 s[12:13], 0
.LBB150_668:
	s_and_b64 vcc, exec, s[12:13]
	s_cbranch_vccz .LBB150_671
; %bb.669:
	s_cmp_eq_u32 s14, 29
	s_mov_b64 s[6:7], -1
	s_cbranch_scc0 .LBB150_671
; %bb.670:
	s_and_b32 s6, s19, 0xff
	s_lshl_b32 s7, s6, 23
	v_trunc_f32_e32 v3, s7
	v_mul_f32_e32 v4, 0x2f800000, v3
	v_floor_f32_e32 v4, v4
	v_fmac_f32_e32 v3, 0xcf800000, v4
	v_cvt_u32_f32_e32 v4, v4
	v_cvt_u32_f32_e32 v3, v3
	s_cmp_lg_u32 s6, 0
	s_cselect_b64 vcc, -1, 0
	v_cndmask_b32_e32 v4, 0, v4, vcc
	v_cndmask_b32_e32 v3, 0, v3, vcc
	global_store_dwordx2 v[0:1], v[3:4], off
	s_mov_b64 s[6:7], 0
	s_mov_b64 s[10:11], -1
.LBB150_671:
	s_mov_b64 s[12:13], 0
.LBB150_672:
	s_and_b64 vcc, exec, s[12:13]
	s_cbranch_vccz .LBB150_721
; %bb.673:
	s_cmp_lt_i32 s14, 27
	s_mov_b64 s[10:11], -1
	s_cbranch_scc1 .LBB150_679
; %bb.674:
	s_cmp_gt_i32 s14, 27
	s_cbranch_scc0 .LBB150_676
; %bb.675:
	s_and_b32 s10, s19, 0xff
	s_lshl_b32 s11, s10, 23
	v_cvt_u32_f32_e32 v3, s11
	s_cmp_lg_u32 s10, 0
	s_cselect_b64 vcc, -1, 0
	s_mov_b64 s[10:11], 0
	v_cndmask_b32_e32 v3, 0, v3, vcc
	global_store_dword v[0:1], v3, off
.LBB150_676:
	s_andn2_b64 vcc, exec, s[10:11]
	s_cbranch_vccnz .LBB150_678
; %bb.677:
	s_and_b32 s10, s19, 0xff
	s_lshl_b32 s11, s10, 23
	v_cvt_u32_f32_e32 v3, s11
	s_cmp_lg_u32 s10, 0
	s_cselect_b64 vcc, -1, 0
	v_cndmask_b32_e32 v3, 0, v3, vcc
	global_store_short v[0:1], v3, off
.LBB150_678:
	s_mov_b64 s[10:11], 0
.LBB150_679:
	s_andn2_b64 vcc, exec, s[10:11]
	s_cbranch_vccnz .LBB150_720
; %bb.680:
	s_and_b32 s10, s19, 0xff
	s_lshl_b32 s11, s10, 23
	s_cmpk_lg_i32 s10, 0xff
	v_mov_b32_e32 v3, 0x7f800001
	v_mov_b32_e32 v4, s11
	s_cselect_b64 vcc, -1, 0
	s_cmp_lg_u32 s10, 0
	v_cndmask_b32_e32 v3, v3, v4, vcc
	v_mov_b32_e32 v4, 0x400000
	s_cselect_b64 vcc, -1, 0
	v_cndmask_b32_e32 v3, v4, v3, vcc
	s_mov_b32 s11, 0x437fffff
	v_cmp_lt_u32_e32 vcc, s11, v3
	v_readfirstlane_b32 s10, v3
	v_mov_b32_e32 v5, 0x80
	s_cbranch_vccnz .LBB150_719
; %bb.681:
	s_cmp_gt_u32 s10, 0x3bffffff
	s_cbranch_scc0 .LBB150_714
; %bb.682:
	s_bfe_u32 s11, s10, 0x10014
	s_add_i32 s10, s10, s11
	s_add_i32 s10, s10, 0x487ffff
	s_lshr_b32 s18, s10, 20
	s_mov_b64 s[12:13], 0
	s_mov_b64 s[10:11], -1
	s_branch .LBB150_715
.LBB150_683:
	s_mov_b64 s[10:11], 0
	s_cbranch_execnz .LBB150_786
.LBB150_684:
	s_andn2_b64 vcc, exec, s[10:11]
	s_cbranch_vccnz .LBB150_824
.LBB150_685:
	v_add_u32_e32 v0, s15, v2
	v_ashrrev_i32_e32 v1, 31, v0
	v_mov_b32_e32 v2, s17
	v_add_co_u32_e32 v0, vcc, s16, v0
	s_cmp_lt_i32 s14, 11
	v_addc_co_u32_e32 v1, vcc, v2, v1, vcc
	s_cbranch_scc1 .LBB150_712
; %bb.686:
	s_mov_b64 s[10:11], -1
	s_mov_b64 s[8:9], 0
	s_cmp_gt_i32 s14, 25
	s_mov_b64 s[6:7], 0
	s_cbranch_scc0 .LBB150_736
; %bb.687:
	s_cmp_gt_i32 s14, 28
	s_cbranch_scc0 .LBB150_701
; %bb.688:
	s_cmp_gt_i32 s14, 43
	;; [unrolled: 3-line block ×3, first 2 shown]
	s_cbranch_scc0 .LBB150_693
; %bb.690:
	s_cmp_eq_u32 s14, 46
	s_mov_b64 s[6:7], -1
	s_cbranch_scc0 .LBB150_692
; %bb.691:
	s_and_b32 s6, s19, 0xff
	s_lshl_b32 s7, s6, 23
	s_cmpk_lg_i32 s6, 0xff
	v_mov_b32_e32 v2, 0x7f800001
	v_mov_b32_e32 v3, s7
	s_cselect_b64 vcc, -1, 0
	s_cmp_lg_u32 s6, 0
	v_cndmask_b32_e32 v2, v2, v3, vcc
	v_mov_b32_e32 v3, 0x400000
	s_cselect_b64 vcc, -1, 0
	v_cndmask_b32_e32 v2, v3, v2, vcc
	v_add_u32_e32 v3, 0x7fff, v2
	v_cmp_o_f32_e32 vcc, v2, v2
	v_mov_b32_e32 v2, 0x7fc0
	v_cndmask_b32_sdwa v2, v2, v3, vcc dst_sel:DWORD dst_unused:UNUSED_PAD src0_sel:DWORD src1_sel:WORD_1
	global_store_dword v[0:1], v2, off
	s_mov_b64 s[6:7], 0
.LBB150_692:
	s_mov_b64 s[10:11], 0
.LBB150_693:
	s_and_b64 vcc, exec, s[10:11]
	s_cbranch_vccz .LBB150_696
; %bb.694:
	s_cmp_eq_u32 s14, 44
	s_mov_b64 s[6:7], -1
	s_cbranch_scc0 .LBB150_696
; %bb.695:
	v_mov_b32_e32 v2, s19
	global_store_byte v[0:1], v2, off
	s_mov_b64 s[6:7], 0
.LBB150_696:
	s_mov_b64 s[10:11], 0
.LBB150_697:
	s_and_b64 vcc, exec, s[10:11]
	s_cbranch_vccz .LBB150_700
; %bb.698:
	s_cmp_eq_u32 s14, 29
	s_mov_b64 s[6:7], -1
	s_cbranch_scc0 .LBB150_700
; %bb.699:
	s_and_b32 s6, s19, 0xff
	s_lshl_b32 s7, s6, 23
	v_trunc_f32_e32 v2, s7
	v_mul_f32_e32 v3, 0x2f800000, v2
	v_floor_f32_e32 v3, v3
	v_fmac_f32_e32 v2, 0xcf800000, v3
	v_cvt_u32_f32_e32 v3, v3
	v_cvt_u32_f32_e32 v2, v2
	s_cmp_lg_u32 s6, 0
	s_cselect_b64 vcc, -1, 0
	v_cndmask_b32_e32 v3, 0, v3, vcc
	v_cndmask_b32_e32 v2, 0, v2, vcc
	global_store_dwordx2 v[0:1], v[2:3], off
	s_mov_b64 s[6:7], 0
.LBB150_700:
	s_mov_b64 s[10:11], 0
.LBB150_701:
	s_and_b64 vcc, exec, s[10:11]
	s_cbranch_vccz .LBB150_735
; %bb.702:
	s_cmp_lt_i32 s14, 27
	s_mov_b64 s[10:11], -1
	s_cbranch_scc1 .LBB150_708
; %bb.703:
	s_cmp_gt_i32 s14, 27
	s_cbranch_scc0 .LBB150_705
; %bb.704:
	s_and_b32 s10, s19, 0xff
	s_lshl_b32 s11, s10, 23
	v_cvt_u32_f32_e32 v2, s11
	s_cmp_lg_u32 s10, 0
	s_cselect_b64 vcc, -1, 0
	s_mov_b64 s[10:11], 0
	v_cndmask_b32_e32 v2, 0, v2, vcc
	global_store_dword v[0:1], v2, off
.LBB150_705:
	s_andn2_b64 vcc, exec, s[10:11]
	s_cbranch_vccnz .LBB150_707
; %bb.706:
	s_and_b32 s10, s19, 0xff
	s_lshl_b32 s11, s10, 23
	v_cvt_u32_f32_e32 v2, s11
	s_cmp_lg_u32 s10, 0
	s_cselect_b64 vcc, -1, 0
	v_cndmask_b32_e32 v2, 0, v2, vcc
	global_store_short v[0:1], v2, off
.LBB150_707:
	s_mov_b64 s[10:11], 0
.LBB150_708:
	s_andn2_b64 vcc, exec, s[10:11]
	s_cbranch_vccnz .LBB150_735
; %bb.709:
	s_and_b32 s10, s19, 0xff
	s_lshl_b32 s11, s10, 23
	s_cmpk_lg_i32 s10, 0xff
	v_mov_b32_e32 v2, 0x7f800001
	v_mov_b32_e32 v3, s11
	s_cselect_b64 vcc, -1, 0
	s_cmp_lg_u32 s10, 0
	v_cndmask_b32_e32 v2, v2, v3, vcc
	v_mov_b32_e32 v3, 0x400000
	s_cselect_b64 vcc, -1, 0
	v_cndmask_b32_e32 v2, v3, v2, vcc
	s_mov_b32 s11, 0x437fffff
	v_cmp_lt_u32_e32 vcc, s11, v2
	v_readfirstlane_b32 s10, v2
	v_mov_b32_e32 v4, 0x80
	s_cbranch_vccnz .LBB150_734
; %bb.710:
	s_cmp_gt_u32 s10, 0x3bffffff
	s_cbranch_scc0 .LBB150_729
; %bb.711:
	s_bfe_u32 s11, s10, 0x10014
	s_add_i32 s10, s10, s11
	s_add_i32 s10, s10, 0x487ffff
	s_lshr_b32 s15, s10, 20
	s_mov_b64 s[12:13], 0
	s_mov_b64 s[10:11], -1
	s_branch .LBB150_730
.LBB150_712:
	s_mov_b64 s[8:9], 0
	s_mov_b64 s[6:7], -1
	s_branch .LBB150_825
.LBB150_713:
	s_trap 2
	s_or_b64 s[4:5], s[4:5], exec
	s_cbranch_execz .LBB150_617
	s_branch .LBB150_618
.LBB150_714:
	s_mov_b64 s[12:13], -1
	s_mov_b64 s[10:11], 0
                                        ; implicit-def: $sgpr18
.LBB150_715:
	s_andn2_b64 vcc, exec, s[12:13]
	v_mov_b32_e32 v4, s18
	s_cbranch_vccnz .LBB150_717
; %bb.716:
	v_add_f32_e32 v3, 0x46000000, v3
	v_and_b32_e32 v4, 0xff, v3
	v_cmp_ne_u32_e64 s[10:11], 0, v4
.LBB150_717:
	s_andn2_b64 vcc, exec, s[10:11]
	v_mov_b32_e32 v5, 0
	s_cbranch_vccnz .LBB150_719
; %bb.718:
	v_mov_b32_e32 v5, v4
.LBB150_719:
	global_store_byte v[0:1], v5, off
.LBB150_720:
	s_mov_b64 s[10:11], -1
.LBB150_721:
	s_mov_b64 s[12:13], 0
.LBB150_722:
	s_and_b64 vcc, exec, s[12:13]
	s_cbranch_vccz .LBB150_782
; %bb.723:
	s_cmp_gt_i32 s14, 22
	s_mov_b64 s[8:9], -1
	s_cbranch_scc0 .LBB150_775
; %bb.724:
	s_cmp_lt_i32 s14, 24
	s_cbranch_scc1 .LBB150_762
; %bb.725:
	s_cmp_gt_i32 s14, 24
	s_cbranch_scc0 .LBB150_749
; %bb.726:
	s_and_b32 s8, s19, 0xff
	s_lshl_b32 s9, s8, 23
	s_cmpk_lg_i32 s8, 0xff
	v_mov_b32_e32 v3, 0x7f800001
	v_mov_b32_e32 v4, s9
	s_cselect_b64 vcc, -1, 0
	s_cmp_lg_u32 s8, 0
	v_cndmask_b32_e32 v3, v3, v4, vcc
	v_mov_b32_e32 v4, 0x400000
	s_cselect_b64 vcc, -1, 0
	v_cndmask_b32_e32 v3, v4, v3, vcc
	s_mov_b32 s9, 0x477fffff
	v_cmp_lt_u32_e32 vcc, s9, v3
	v_readfirstlane_b32 s8, v3
	v_mov_b32_e32 v5, 0x80
	s_cbranch_vccnz .LBB150_748
; %bb.727:
	s_cmp_gt_u32 s8, 0x37ffffff
	s_cbranch_scc0 .LBB150_743
; %bb.728:
	s_bfe_u32 s9, s8, 0x10015
	s_add_i32 s8, s8, s9
	s_add_i32 s8, s8, 0x88fffff
	s_lshr_b32 s12, s8, 21
	s_mov_b64 s[10:11], 0
	s_mov_b64 s[8:9], -1
	s_branch .LBB150_744
.LBB150_729:
	s_mov_b64 s[12:13], -1
	s_mov_b64 s[10:11], 0
                                        ; implicit-def: $sgpr15
.LBB150_730:
	s_andn2_b64 vcc, exec, s[12:13]
	v_mov_b32_e32 v3, s15
	s_cbranch_vccnz .LBB150_732
; %bb.731:
	v_add_f32_e32 v2, 0x46000000, v2
	v_and_b32_e32 v3, 0xff, v2
	v_cmp_ne_u32_e64 s[10:11], 0, v3
.LBB150_732:
	s_andn2_b64 vcc, exec, s[10:11]
	v_mov_b32_e32 v4, 0
	s_cbranch_vccnz .LBB150_734
; %bb.733:
	v_mov_b32_e32 v4, v3
.LBB150_734:
	global_store_byte v[0:1], v4, off
.LBB150_735:
	s_mov_b64 s[10:11], 0
.LBB150_736:
	s_and_b64 vcc, exec, s[10:11]
	s_cbranch_vccz .LBB150_906
; %bb.737:
	s_cmp_gt_i32 s14, 22
	s_mov_b64 s[8:9], -1
	s_cbranch_scc0 .LBB150_899
; %bb.738:
	s_cmp_lt_i32 s14, 24
	s_cbranch_scc1 .LBB150_886
; %bb.739:
	s_cmp_gt_i32 s14, 24
	s_cbranch_scc0 .LBB150_873
; %bb.740:
	s_and_b32 s8, s19, 0xff
	s_lshl_b32 s9, s8, 23
	s_cmpk_lg_i32 s8, 0xff
	v_mov_b32_e32 v2, 0x7f800001
	v_mov_b32_e32 v3, s9
	s_cselect_b64 vcc, -1, 0
	s_cmp_lg_u32 s8, 0
	v_cndmask_b32_e32 v2, v2, v3, vcc
	v_mov_b32_e32 v3, 0x400000
	s_cselect_b64 vcc, -1, 0
	v_cndmask_b32_e32 v2, v3, v2, vcc
	s_mov_b32 s9, 0x477fffff
	v_cmp_lt_u32_e32 vcc, s9, v2
	v_readfirstlane_b32 s8, v2
	v_mov_b32_e32 v4, 0x80
	s_cbranch_vccnz .LBB150_872
; %bb.741:
	s_cmp_gt_u32 s8, 0x37ffffff
	s_cbranch_scc0 .LBB150_867
; %bb.742:
	s_bfe_u32 s9, s8, 0x10015
	s_add_i32 s8, s8, s9
	s_add_i32 s8, s8, 0x88fffff
	s_lshr_b32 s12, s8, 21
	s_mov_b64 s[10:11], 0
	s_mov_b64 s[8:9], -1
	s_branch .LBB150_868
.LBB150_743:
	s_mov_b64 s[10:11], -1
	s_mov_b64 s[8:9], 0
                                        ; implicit-def: $sgpr12
.LBB150_744:
	s_andn2_b64 vcc, exec, s[10:11]
	v_mov_b32_e32 v4, s12
	s_cbranch_vccnz .LBB150_746
; %bb.745:
	v_add_f32_e32 v3, 0x42800000, v3
	v_and_b32_e32 v4, 0xff, v3
	v_cmp_ne_u32_e64 s[8:9], 0, v4
.LBB150_746:
	s_andn2_b64 vcc, exec, s[8:9]
	v_mov_b32_e32 v5, 0
	s_cbranch_vccnz .LBB150_748
; %bb.747:
	v_mov_b32_e32 v5, v4
.LBB150_748:
	s_mov_b64 s[8:9], 0
	global_store_byte v[0:1], v5, off
.LBB150_749:
	s_and_b64 vcc, exec, s[8:9]
	s_cbranch_vccz .LBB150_761
; %bb.750:
	s_and_b32 s8, s19, 0xff
	s_lshl_b32 s9, s8, 23
	s_cmpk_lg_i32 s8, 0xff
	v_mov_b32_e32 v3, 0x7f800001
	v_mov_b32_e32 v4, s9
	s_cselect_b64 vcc, -1, 0
	s_cmp_lg_u32 s8, 0
	v_cndmask_b32_e32 v3, v3, v4, vcc
	v_mov_b32_e32 v4, 0x400000
	s_cselect_b64 vcc, -1, 0
	v_cndmask_b32_e32 v3, v4, v3, vcc
	s_mov_b32 s8, 0x43f00000
	v_cmp_gt_u32_e32 vcc, s8, v3
	v_readfirstlane_b32 s10, v3
	s_cbranch_vccz .LBB150_753
; %bb.751:
	s_cmp_gt_u32 s10, 0x3c7fffff
	s_cbranch_scc0 .LBB150_754
; %bb.752:
	s_bfe_u32 s8, s10, 0x10014
	s_add_i32 s8, s10, s8
	s_add_i32 s8, s8, 0x407ffff
	s_lshr_b32 s9, s8, 20
	s_and_b32 s8, s8, 0xff00000
	s_cmp_lg_u32 s8, 0x7f00000
	s_cselect_b32 s11, s9, 0x7e
	s_mov_b64 s[8:9], 0
	s_branch .LBB150_755
.LBB150_753:
	s_mov_b64 s[8:9], -1
                                        ; implicit-def: $vgpr4
	s_branch .LBB150_758
.LBB150_754:
	s_mov_b64 s[8:9], -1
                                        ; implicit-def: $sgpr11
.LBB150_755:
	s_andn2_b64 vcc, exec, s[8:9]
	v_mov_b32_e32 v4, s11
	s_cbranch_vccnz .LBB150_757
; %bb.756:
	v_add_f32_e32 v4, 0x46800000, v3
.LBB150_757:
	s_mov_b64 s[8:9], 0
.LBB150_758:
	s_andn2_b64 vcc, exec, s[8:9]
	s_cbranch_vccnz .LBB150_760
; %bb.759:
	s_cmp_gt_u32 s10, 0x7f800000
	s_movk_i32 s8, 0x7f
	s_cselect_b32 s8, s8, 0x7e
	v_mov_b32_e32 v4, s8
.LBB150_760:
	global_store_byte v[0:1], v4, off
.LBB150_761:
	s_mov_b64 s[8:9], 0
.LBB150_762:
	s_andn2_b64 vcc, exec, s[8:9]
	s_cbranch_vccnz .LBB150_774
; %bb.763:
	s_and_b32 s8, s19, 0xff
	s_lshl_b32 s9, s8, 23
	s_cmpk_lg_i32 s8, 0xff
	v_mov_b32_e32 v3, 0x7f800001
	v_mov_b32_e32 v4, s9
	s_cselect_b64 vcc, -1, 0
	s_cmp_lg_u32 s8, 0
	v_cndmask_b32_e32 v3, v3, v4, vcc
	v_mov_b32_e32 v4, 0x400000
	s_cselect_b64 vcc, -1, 0
	v_cndmask_b32_e32 v3, v4, v3, vcc
	s_mov_b32 s8, 0x47800000
	v_cmp_gt_u32_e32 vcc, s8, v3
	v_readfirstlane_b32 s10, v3
	s_cbranch_vccz .LBB150_766
; %bb.764:
	s_cmp_gt_u32 s10, 0x387fffff
	s_cbranch_scc0 .LBB150_767
; %bb.765:
	s_bfe_u32 s8, s10, 0x10015
	s_add_i32 s8, s10, s8
	s_add_i32 s8, s8, 0x80fffff
	s_lshr_b32 s11, s8, 21
	s_mov_b64 s[8:9], 0
	s_branch .LBB150_768
.LBB150_766:
	s_mov_b64 s[8:9], -1
                                        ; implicit-def: $vgpr4
	s_branch .LBB150_771
.LBB150_767:
	s_mov_b64 s[8:9], -1
                                        ; implicit-def: $sgpr11
.LBB150_768:
	s_andn2_b64 vcc, exec, s[8:9]
	v_mov_b32_e32 v4, s11
	s_cbranch_vccnz .LBB150_770
; %bb.769:
	v_add_f32_e32 v4, 0x43000000, v3
.LBB150_770:
	s_mov_b64 s[8:9], 0
.LBB150_771:
	s_andn2_b64 vcc, exec, s[8:9]
	s_cbranch_vccnz .LBB150_773
; %bb.772:
	s_cmp_gt_u32 s10, 0x7f800000
	s_movk_i32 s8, 0x7f
	s_cselect_b32 s8, s8, 0x7c
	v_mov_b32_e32 v4, s8
.LBB150_773:
	global_store_byte v[0:1], v4, off
.LBB150_774:
	s_mov_b64 s[8:9], 0
	s_mov_b64 s[10:11], -1
.LBB150_775:
	s_andn2_b64 vcc, exec, s[8:9]
	s_mov_b64 s[8:9], 0
	s_cbranch_vccnz .LBB150_782
; %bb.776:
	s_cmp_gt_i32 s14, 14
	s_mov_b64 s[12:13], -1
	s_cbranch_scc0 .LBB150_780
; %bb.777:
	s_cmp_eq_u32 s14, 15
	s_mov_b64 s[6:7], -1
	s_cbranch_scc0 .LBB150_779
; %bb.778:
	s_and_b32 s6, s19, 0xff
	s_lshl_b32 s7, s6, 23
	s_cmpk_lg_i32 s6, 0xff
	v_mov_b32_e32 v3, 0x7f800001
	v_mov_b32_e32 v4, s7
	s_cselect_b64 vcc, -1, 0
	s_cmp_lg_u32 s6, 0
	v_cndmask_b32_e32 v3, v3, v4, vcc
	v_mov_b32_e32 v4, 0x400000
	s_cselect_b64 vcc, -1, 0
	v_cndmask_b32_e32 v3, v4, v3, vcc
	v_add_u32_e32 v4, 0x7fff, v3
	v_cmp_o_f32_e32 vcc, v3, v3
	v_mov_b32_e32 v3, 0x7fc0
	v_cndmask_b32_sdwa v3, v3, v4, vcc dst_sel:DWORD dst_unused:UNUSED_PAD src0_sel:DWORD src1_sel:WORD_1
	global_store_short v[0:1], v3, off
	s_mov_b64 s[6:7], 0
	s_mov_b64 s[10:11], -1
.LBB150_779:
	s_mov_b64 s[12:13], 0
.LBB150_780:
	s_and_b64 vcc, exec, s[12:13]
	s_cbranch_vccz .LBB150_782
; %bb.781:
	s_cmp_lg_u32 s14, 11
	s_mov_b64 s[8:9], -1
	s_cselect_b64 s[6:7], -1, 0
.LBB150_782:
	s_and_b64 vcc, exec, s[6:7]
	s_cbranch_vccnz .LBB150_866
; %bb.783:
	s_andn2_b64 vcc, exec, s[8:9]
	s_cbranch_vccnz .LBB150_785
.LBB150_784:
	v_mov_b32_e32 v3, 1
	s_mov_b64 s[10:11], -1
	global_store_byte v[0:1], v3, off
.LBB150_785:
	s_branch .LBB150_684
.LBB150_786:
	s_cmp_lt_i32 s14, 5
	s_mov_b64 s[6:7], -1
	s_cbranch_scc1 .LBB150_807
; %bb.787:
	s_cmp_lt_i32 s14, 8
	s_cbranch_scc1 .LBB150_797
; %bb.788:
	s_cmp_lt_i32 s14, 9
	s_cbranch_scc1 .LBB150_794
; %bb.789:
	s_cmp_gt_i32 s14, 9
	s_cbranch_scc0 .LBB150_791
; %bb.790:
	s_and_b32 s6, s19, 0xff
	s_lshl_b32 s7, s6, 23
	v_cvt_f64_f32_e32 v[3:4], s7
	s_cmpk_lg_i32 s6, 0xff
	v_bfrev_b32_e32 v5, 4
	s_cselect_b64 vcc, -1, 0
	v_cndmask_b32_e32 v3, v5, v3, vcc
	v_mov_b32_e32 v5, 0x7ff80000
	s_cmp_lg_u32 s6, 0
	v_cndmask_b32_e32 v4, v5, v4, vcc
	v_bfrev_b32_e32 v5, 28
	s_cselect_b64 vcc, -1, 0
	v_cndmask_b32_e32 v4, v5, v4, vcc
	v_mov_b32_e32 v5, 0
	v_cndmask_b32_e32 v3, 0, v3, vcc
	v_mov_b32_e32 v6, v5
	global_store_dwordx4 v[0:1], v[3:6], off
	s_mov_b64 s[6:7], 0
.LBB150_791:
	s_andn2_b64 vcc, exec, s[6:7]
	s_cbranch_vccnz .LBB150_793
; %bb.792:
	s_and_b32 s6, s19, 0xff
	s_lshl_b32 s7, s6, 23
	s_cmpk_lg_i32 s6, 0xff
	s_cselect_b32 s7, s7, 0x7f800001
	s_cmp_lg_u32 s6, 0
	s_cselect_b32 s6, s7, 0x400000
	v_mov_b32_e32 v3, s6
	v_mov_b32_e32 v4, 0
	global_store_dwordx2 v[0:1], v[3:4], off
.LBB150_793:
	s_mov_b64 s[6:7], 0
.LBB150_794:
	s_andn2_b64 vcc, exec, s[6:7]
	s_cbranch_vccnz .LBB150_796
; %bb.795:
	s_and_b32 s6, s19, 0xff
	s_lshl_b32 s7, s6, 23
	v_cvt_f16_f32_e32 v3, s7
	s_cmpk_lg_i32 s6, 0xff
	v_mov_b32_e32 v4, 0x7e00
	s_cselect_b64 vcc, -1, 0
	s_cmp_lg_u32 s6, 0
	v_cndmask_b32_e32 v3, v4, v3, vcc
	s_cselect_b64 vcc, -1, 0
	v_cndmask_b32_e32 v3, 0, v3, vcc
	global_store_dword v[0:1], v3, off
.LBB150_796:
	s_mov_b64 s[6:7], 0
.LBB150_797:
	s_andn2_b64 vcc, exec, s[6:7]
	s_cbranch_vccnz .LBB150_806
; %bb.798:
	s_cmp_lt_i32 s14, 6
	s_mov_b64 s[6:7], -1
	s_cbranch_scc1 .LBB150_804
; %bb.799:
	s_cmp_gt_i32 s14, 6
	s_cbranch_scc0 .LBB150_801
; %bb.800:
	s_and_b32 s6, s19, 0xff
	s_lshl_b32 s7, s6, 23
	v_cvt_f64_f32_e32 v[3:4], s7
	s_cmpk_lg_i32 s6, 0xff
	v_bfrev_b32_e32 v5, 4
	s_cselect_b64 vcc, -1, 0
	v_cndmask_b32_e32 v3, v5, v3, vcc
	v_mov_b32_e32 v5, 0x7ff80000
	s_cmp_lg_u32 s6, 0
	v_cndmask_b32_e32 v4, v5, v4, vcc
	v_bfrev_b32_e32 v5, 28
	s_cselect_b64 vcc, -1, 0
	v_cndmask_b32_e32 v4, v5, v4, vcc
	v_cndmask_b32_e32 v3, 0, v3, vcc
	global_store_dwordx2 v[0:1], v[3:4], off
	s_mov_b64 s[6:7], 0
.LBB150_801:
	s_andn2_b64 vcc, exec, s[6:7]
	s_cbranch_vccnz .LBB150_803
; %bb.802:
	s_and_b32 s6, s19, 0xff
	s_lshl_b32 s7, s6, 23
	s_cmpk_lg_i32 s6, 0xff
	v_mov_b32_e32 v3, 0x7f800001
	v_mov_b32_e32 v4, s7
	s_cselect_b64 vcc, -1, 0
	s_cmp_lg_u32 s6, 0
	v_cndmask_b32_e32 v3, v3, v4, vcc
	v_mov_b32_e32 v4, 0x400000
	s_cselect_b64 vcc, -1, 0
	v_cndmask_b32_e32 v3, v4, v3, vcc
	global_store_dword v[0:1], v3, off
.LBB150_803:
	s_mov_b64 s[6:7], 0
.LBB150_804:
	s_andn2_b64 vcc, exec, s[6:7]
	s_cbranch_vccnz .LBB150_806
; %bb.805:
	s_and_b32 s6, s19, 0xff
	s_lshl_b32 s7, s6, 23
	v_cvt_f16_f32_e32 v3, s7
	s_cmpk_lg_i32 s6, 0xff
	v_mov_b32_e32 v4, 0x7e00
	s_cselect_b64 vcc, -1, 0
	s_cmp_lg_u32 s6, 0
	v_cndmask_b32_e32 v3, v4, v3, vcc
	s_cselect_b64 vcc, -1, 0
	v_cndmask_b32_e32 v3, 0, v3, vcc
	global_store_short v[0:1], v3, off
.LBB150_806:
	s_mov_b64 s[6:7], 0
.LBB150_807:
	s_andn2_b64 vcc, exec, s[6:7]
	s_cbranch_vccnz .LBB150_823
; %bb.808:
	s_cmp_lt_i32 s14, 2
	s_mov_b64 s[6:7], -1
	s_cbranch_scc1 .LBB150_818
; %bb.809:
	s_cmp_lt_i32 s14, 3
	s_cbranch_scc1 .LBB150_815
; %bb.810:
	s_cmp_gt_i32 s14, 3
	s_cbranch_scc0 .LBB150_812
; %bb.811:
	s_and_b32 s6, s19, 0xff
	s_lshl_b32 s7, s6, 23
	v_trunc_f32_e32 v3, s7
	s_mov_b32 s7, 0x2f800000
	v_mul_f32_e64 v4, |v3|, s7
	v_floor_f32_e32 v4, v4
	s_mov_b32 s7, 0xcf800000
	v_fma_f32 v5, v4, s7, |v3|
	v_cvt_u32_f32_e32 v5, v5
	v_cvt_u32_f32_e32 v4, v4
	v_ashrrev_i32_e32 v3, 31, v3
	s_cmp_lg_u32 s6, 0
	v_xor_b32_e32 v5, v5, v3
	v_xor_b32_e32 v4, v4, v3
	v_sub_co_u32_e32 v5, vcc, v5, v3
	v_subb_co_u32_e32 v3, vcc, v4, v3, vcc
	s_cselect_b64 vcc, -1, 0
	v_cndmask_b32_e32 v4, 0, v3, vcc
	v_cndmask_b32_e32 v3, 0, v5, vcc
	global_store_dwordx2 v[0:1], v[3:4], off
	s_mov_b64 s[6:7], 0
.LBB150_812:
	s_andn2_b64 vcc, exec, s[6:7]
	s_cbranch_vccnz .LBB150_814
; %bb.813:
	s_and_b32 s6, s19, 0xff
	s_lshl_b32 s7, s6, 23
	v_cvt_i32_f32_e32 v3, s7
	s_cmp_lg_u32 s6, 0
	s_cselect_b64 vcc, -1, 0
	v_cndmask_b32_e32 v3, 0, v3, vcc
	global_store_dword v[0:1], v3, off
.LBB150_814:
	s_mov_b64 s[6:7], 0
.LBB150_815:
	s_andn2_b64 vcc, exec, s[6:7]
	s_cbranch_vccnz .LBB150_817
; %bb.816:
	s_and_b32 s6, s19, 0xff
	s_lshl_b32 s7, s6, 23
	v_cvt_i32_f32_e32 v3, s7
	s_cmp_lg_u32 s6, 0
	s_cselect_b64 vcc, -1, 0
	v_cndmask_b32_e32 v3, 0, v3, vcc
	global_store_short v[0:1], v3, off
.LBB150_817:
	s_mov_b64 s[6:7], 0
.LBB150_818:
	s_andn2_b64 vcc, exec, s[6:7]
	s_cbranch_vccnz .LBB150_823
; %bb.819:
	s_cmp_gt_i32 s14, 0
	s_mov_b64 s[6:7], -1
	s_cbranch_scc0 .LBB150_821
; %bb.820:
	s_and_b32 s6, s19, 0xff
	s_lshl_b32 s7, s6, 23
	v_cvt_i32_f32_e32 v3, s7
	s_cmp_lg_u32 s6, 0
	s_cselect_b64 vcc, -1, 0
	s_mov_b64 s[6:7], 0
	v_cndmask_b32_e32 v3, 0, v3, vcc
	global_store_byte v[0:1], v3, off
.LBB150_821:
	s_andn2_b64 vcc, exec, s[6:7]
	s_cbranch_vccnz .LBB150_823
; %bb.822:
	s_and_b32 s6, s19, 0xff
	s_lshl_b32 s7, s6, 23
	v_trunc_f32_e32 v3, s7
	s_mov_b32 s7, 0x2f800000
	v_mul_f32_e64 v4, |v3|, s7
	v_floor_f32_e32 v4, v4
	s_mov_b32 s7, 0xcf800000
	v_fma_f32 v4, v4, s7, |v3|
	v_cvt_u32_f32_e32 v4, v4
	v_ashrrev_i32_e32 v3, 31, v3
	s_cmp_lg_u32 s6, 0
	s_cselect_b64 vcc, -1, 0
	v_xor_b32_e32 v4, v4, v3
	v_sub_u32_e32 v3, v4, v3
	v_cndmask_b32_e32 v3, 0, v3, vcc
	global_store_byte v[0:1], v3, off
.LBB150_823:
	s_branch .LBB150_685
.LBB150_824:
	s_mov_b64 s[6:7], 0
	s_mov_b64 s[8:9], 0
                                        ; implicit-def: $sgpr33
                                        ; implicit-def: $vgpr0_vgpr1
.LBB150_825:
	s_andn2_b64 s[0:1], s[0:1], exec
	s_and_b64 s[4:5], s[4:5], exec
	s_and_b64 s[6:7], s[6:7], exec
	;; [unrolled: 1-line block ×3, first 2 shown]
	s_or_b64 s[0:1], s[0:1], s[4:5]
	s_or_b64 exec, exec, s[2:3]
	s_and_saveexec_b64 s[2:3], s[0:1]
	s_cbranch_execnz .LBB150_432
.LBB150_826:
	s_or_b64 exec, exec, s[2:3]
	s_and_saveexec_b64 s[0:1], s[20:21]
	s_xor_b64 s[0:1], exec, s[0:1]
	s_cbranch_execz .LBB150_433
.LBB150_827:
	v_mov_b32_e32 v2, 1
	global_store_byte v[0:1], v2, off
	s_or_b64 exec, exec, s[0:1]
	s_and_saveexec_b64 s[0:1], s[6:7]
	s_cbranch_execz .LBB150_865
.LBB150_828:
	s_sext_i32_i16 s2, s33
	s_cmp_lt_i32 s2, 5
	s_mov_b64 s[0:1], -1
	s_cbranch_scc1 .LBB150_849
; %bb.829:
	s_cmp_lt_i32 s2, 8
	s_cbranch_scc1 .LBB150_839
; %bb.830:
	s_cmp_lt_i32 s2, 9
	s_cbranch_scc1 .LBB150_836
; %bb.831:
	s_cmp_gt_i32 s2, 9
	s_cbranch_scc0 .LBB150_833
; %bb.832:
	s_and_b32 s0, s19, 0xff
	s_lshl_b32 s1, s0, 23
	v_cvt_f64_f32_e32 v[2:3], s1
	s_cmpk_lg_i32 s0, 0xff
	v_bfrev_b32_e32 v4, 4
	s_cselect_b64 vcc, -1, 0
	v_cndmask_b32_e32 v2, v4, v2, vcc
	v_mov_b32_e32 v4, 0x7ff80000
	s_cmp_lg_u32 s0, 0
	v_cndmask_b32_e32 v3, v4, v3, vcc
	v_bfrev_b32_e32 v4, 28
	s_cselect_b64 vcc, -1, 0
	v_cndmask_b32_e32 v3, v4, v3, vcc
	v_mov_b32_e32 v4, 0
	v_cndmask_b32_e32 v2, 0, v2, vcc
	v_mov_b32_e32 v5, v4
	global_store_dwordx4 v[0:1], v[2:5], off
	s_mov_b64 s[0:1], 0
.LBB150_833:
	s_andn2_b64 vcc, exec, s[0:1]
	s_cbranch_vccnz .LBB150_835
; %bb.834:
	s_and_b32 s0, s19, 0xff
	s_lshl_b32 s1, s0, 23
	s_cmpk_lg_i32 s0, 0xff
	s_cselect_b32 s1, s1, 0x7f800001
	s_cmp_lg_u32 s0, 0
	s_cselect_b32 s0, s1, 0x400000
	v_mov_b32_e32 v2, s0
	v_mov_b32_e32 v3, 0
	global_store_dwordx2 v[0:1], v[2:3], off
.LBB150_835:
	s_mov_b64 s[0:1], 0
.LBB150_836:
	s_andn2_b64 vcc, exec, s[0:1]
	s_cbranch_vccnz .LBB150_838
; %bb.837:
	s_and_b32 s0, s19, 0xff
	s_lshl_b32 s1, s0, 23
	v_cvt_f16_f32_e32 v2, s1
	s_cmpk_lg_i32 s0, 0xff
	v_mov_b32_e32 v3, 0x7e00
	s_cselect_b64 vcc, -1, 0
	s_cmp_lg_u32 s0, 0
	v_cndmask_b32_e32 v2, v3, v2, vcc
	s_cselect_b64 vcc, -1, 0
	v_cndmask_b32_e32 v2, 0, v2, vcc
	global_store_dword v[0:1], v2, off
.LBB150_838:
	s_mov_b64 s[0:1], 0
.LBB150_839:
	s_andn2_b64 vcc, exec, s[0:1]
	s_cbranch_vccnz .LBB150_848
; %bb.840:
	s_sext_i32_i16 s2, s33
	s_cmp_lt_i32 s2, 6
	s_mov_b64 s[0:1], -1
	s_cbranch_scc1 .LBB150_846
; %bb.841:
	s_cmp_gt_i32 s2, 6
	s_cbranch_scc0 .LBB150_843
; %bb.842:
	s_and_b32 s0, s19, 0xff
	s_lshl_b32 s1, s0, 23
	v_cvt_f64_f32_e32 v[2:3], s1
	s_cmpk_lg_i32 s0, 0xff
	v_bfrev_b32_e32 v4, 4
	s_cselect_b64 vcc, -1, 0
	v_cndmask_b32_e32 v2, v4, v2, vcc
	v_mov_b32_e32 v4, 0x7ff80000
	s_cmp_lg_u32 s0, 0
	v_cndmask_b32_e32 v3, v4, v3, vcc
	v_bfrev_b32_e32 v4, 28
	s_cselect_b64 vcc, -1, 0
	v_cndmask_b32_e32 v3, v4, v3, vcc
	v_cndmask_b32_e32 v2, 0, v2, vcc
	global_store_dwordx2 v[0:1], v[2:3], off
	s_mov_b64 s[0:1], 0
.LBB150_843:
	s_andn2_b64 vcc, exec, s[0:1]
	s_cbranch_vccnz .LBB150_845
; %bb.844:
	s_and_b32 s0, s19, 0xff
	s_lshl_b32 s1, s0, 23
	s_cmpk_lg_i32 s0, 0xff
	v_mov_b32_e32 v2, 0x7f800001
	v_mov_b32_e32 v3, s1
	s_cselect_b64 vcc, -1, 0
	s_cmp_lg_u32 s0, 0
	v_cndmask_b32_e32 v2, v2, v3, vcc
	v_mov_b32_e32 v3, 0x400000
	s_cselect_b64 vcc, -1, 0
	v_cndmask_b32_e32 v2, v3, v2, vcc
	global_store_dword v[0:1], v2, off
.LBB150_845:
	s_mov_b64 s[0:1], 0
.LBB150_846:
	s_andn2_b64 vcc, exec, s[0:1]
	s_cbranch_vccnz .LBB150_848
; %bb.847:
	s_and_b32 s0, s19, 0xff
	s_lshl_b32 s1, s0, 23
	v_cvt_f16_f32_e32 v2, s1
	s_cmpk_lg_i32 s0, 0xff
	v_mov_b32_e32 v3, 0x7e00
	s_cselect_b64 vcc, -1, 0
	s_cmp_lg_u32 s0, 0
	v_cndmask_b32_e32 v2, v3, v2, vcc
	s_cselect_b64 vcc, -1, 0
	v_cndmask_b32_e32 v2, 0, v2, vcc
	global_store_short v[0:1], v2, off
.LBB150_848:
	s_mov_b64 s[0:1], 0
.LBB150_849:
	s_andn2_b64 vcc, exec, s[0:1]
	s_cbranch_vccnz .LBB150_865
; %bb.850:
	s_sext_i32_i16 s2, s33
	s_cmp_lt_i32 s2, 2
	s_mov_b64 s[0:1], -1
	s_cbranch_scc1 .LBB150_860
; %bb.851:
	s_cmp_lt_i32 s2, 3
	s_cbranch_scc1 .LBB150_857
; %bb.852:
	s_cmp_gt_i32 s2, 3
	s_cbranch_scc0 .LBB150_854
; %bb.853:
	s_and_b32 s0, s19, 0xff
	s_lshl_b32 s1, s0, 23
	v_trunc_f32_e32 v2, s1
	s_mov_b32 s1, 0x2f800000
	v_mul_f32_e64 v3, |v2|, s1
	v_floor_f32_e32 v3, v3
	s_mov_b32 s1, 0xcf800000
	v_fma_f32 v4, v3, s1, |v2|
	v_cvt_u32_f32_e32 v4, v4
	v_cvt_u32_f32_e32 v3, v3
	v_ashrrev_i32_e32 v2, 31, v2
	s_cmp_lg_u32 s0, 0
	v_xor_b32_e32 v4, v4, v2
	v_xor_b32_e32 v3, v3, v2
	v_sub_co_u32_e32 v4, vcc, v4, v2
	v_subb_co_u32_e32 v2, vcc, v3, v2, vcc
	s_cselect_b64 vcc, -1, 0
	v_cndmask_b32_e32 v3, 0, v2, vcc
	v_cndmask_b32_e32 v2, 0, v4, vcc
	global_store_dwordx2 v[0:1], v[2:3], off
	s_mov_b64 s[0:1], 0
.LBB150_854:
	s_andn2_b64 vcc, exec, s[0:1]
	s_cbranch_vccnz .LBB150_856
; %bb.855:
	s_and_b32 s0, s19, 0xff
	s_lshl_b32 s1, s0, 23
	v_cvt_i32_f32_e32 v2, s1
	s_cmp_lg_u32 s0, 0
	s_cselect_b64 vcc, -1, 0
	v_cndmask_b32_e32 v2, 0, v2, vcc
	global_store_dword v[0:1], v2, off
.LBB150_856:
	s_mov_b64 s[0:1], 0
.LBB150_857:
	s_andn2_b64 vcc, exec, s[0:1]
	s_cbranch_vccnz .LBB150_859
; %bb.858:
	s_and_b32 s0, s19, 0xff
	s_lshl_b32 s1, s0, 23
	v_cvt_i32_f32_e32 v2, s1
	s_cmp_lg_u32 s0, 0
	s_cselect_b64 vcc, -1, 0
	v_cndmask_b32_e32 v2, 0, v2, vcc
	global_store_short v[0:1], v2, off
.LBB150_859:
	s_mov_b64 s[0:1], 0
.LBB150_860:
	s_andn2_b64 vcc, exec, s[0:1]
	s_cbranch_vccnz .LBB150_865
; %bb.861:
	s_sext_i32_i16 s0, s33
	s_cmp_gt_i32 s0, 0
	s_mov_b64 s[0:1], -1
	s_cbranch_scc0 .LBB150_863
; %bb.862:
	s_and_b32 s0, s19, 0xff
	s_lshl_b32 s1, s0, 23
	v_cvt_i32_f32_e32 v2, s1
	s_cmp_lg_u32 s0, 0
	s_cselect_b64 vcc, -1, 0
	s_mov_b64 s[0:1], 0
	v_cndmask_b32_e32 v2, 0, v2, vcc
	global_store_byte v[0:1], v2, off
.LBB150_863:
	s_andn2_b64 vcc, exec, s[0:1]
	s_cbranch_vccnz .LBB150_865
; %bb.864:
	s_and_b32 s0, s19, 0xff
	s_lshl_b32 s1, s0, 23
	v_trunc_f32_e32 v2, s1
	s_mov_b32 s1, 0x2f800000
	v_mul_f32_e64 v3, |v2|, s1
	v_floor_f32_e32 v3, v3
	s_mov_b32 s1, 0xcf800000
	v_fma_f32 v3, v3, s1, |v2|
	v_cvt_u32_f32_e32 v3, v3
	v_ashrrev_i32_e32 v2, 31, v2
	s_cmp_lg_u32 s0, 0
	s_cselect_b64 vcc, -1, 0
	v_xor_b32_e32 v3, v3, v2
	v_sub_u32_e32 v2, v3, v2
	v_cndmask_b32_e32 v2, 0, v2, vcc
	global_store_byte v[0:1], v2, off
	s_endpgm
.LBB150_865:
	s_endpgm
.LBB150_866:
	s_trap 2
	s_or_b64 s[4:5], s[4:5], exec
	s_cbranch_execz .LBB150_784
	s_branch .LBB150_785
.LBB150_867:
	s_mov_b64 s[10:11], -1
	s_mov_b64 s[8:9], 0
                                        ; implicit-def: $sgpr12
.LBB150_868:
	s_andn2_b64 vcc, exec, s[10:11]
	v_mov_b32_e32 v3, s12
	s_cbranch_vccnz .LBB150_870
; %bb.869:
	v_add_f32_e32 v2, 0x42800000, v2
	v_and_b32_e32 v3, 0xff, v2
	v_cmp_ne_u32_e64 s[8:9], 0, v3
.LBB150_870:
	s_andn2_b64 vcc, exec, s[8:9]
	v_mov_b32_e32 v4, 0
	s_cbranch_vccnz .LBB150_872
; %bb.871:
	v_mov_b32_e32 v4, v3
.LBB150_872:
	s_mov_b64 s[8:9], 0
	global_store_byte v[0:1], v4, off
.LBB150_873:
	s_and_b64 vcc, exec, s[8:9]
	s_cbranch_vccz .LBB150_885
; %bb.874:
	s_and_b32 s8, s19, 0xff
	s_lshl_b32 s9, s8, 23
	s_cmpk_lg_i32 s8, 0xff
	v_mov_b32_e32 v2, 0x7f800001
	v_mov_b32_e32 v3, s9
	s_cselect_b64 vcc, -1, 0
	s_cmp_lg_u32 s8, 0
	v_cndmask_b32_e32 v2, v2, v3, vcc
	v_mov_b32_e32 v3, 0x400000
	s_cselect_b64 vcc, -1, 0
	v_cndmask_b32_e32 v2, v3, v2, vcc
	s_mov_b32 s8, 0x43f00000
	v_cmp_gt_u32_e32 vcc, s8, v2
	v_readfirstlane_b32 s10, v2
	s_cbranch_vccz .LBB150_877
; %bb.875:
	s_cmp_gt_u32 s10, 0x3c7fffff
	s_cbranch_scc0 .LBB150_878
; %bb.876:
	s_bfe_u32 s8, s10, 0x10014
	s_add_i32 s8, s10, s8
	s_add_i32 s8, s8, 0x407ffff
	s_lshr_b32 s9, s8, 20
	s_and_b32 s8, s8, 0xff00000
	s_cmp_lg_u32 s8, 0x7f00000
	s_cselect_b32 s11, s9, 0x7e
	s_mov_b64 s[8:9], 0
	s_branch .LBB150_879
.LBB150_877:
	s_mov_b64 s[8:9], -1
                                        ; implicit-def: $vgpr3
	s_branch .LBB150_882
.LBB150_878:
	s_mov_b64 s[8:9], -1
                                        ; implicit-def: $sgpr11
.LBB150_879:
	s_andn2_b64 vcc, exec, s[8:9]
	v_mov_b32_e32 v3, s11
	s_cbranch_vccnz .LBB150_881
; %bb.880:
	v_add_f32_e32 v3, 0x46800000, v2
.LBB150_881:
	s_mov_b64 s[8:9], 0
.LBB150_882:
	s_andn2_b64 vcc, exec, s[8:9]
	s_cbranch_vccnz .LBB150_884
; %bb.883:
	s_cmp_gt_u32 s10, 0x7f800000
	s_movk_i32 s8, 0x7f
	s_cselect_b32 s8, s8, 0x7e
	v_mov_b32_e32 v3, s8
.LBB150_884:
	global_store_byte v[0:1], v3, off
.LBB150_885:
	s_mov_b64 s[8:9], 0
.LBB150_886:
	s_andn2_b64 vcc, exec, s[8:9]
	s_cbranch_vccnz .LBB150_898
; %bb.887:
	s_and_b32 s8, s19, 0xff
	s_lshl_b32 s9, s8, 23
	s_cmpk_lg_i32 s8, 0xff
	v_mov_b32_e32 v2, 0x7f800001
	v_mov_b32_e32 v3, s9
	s_cselect_b64 vcc, -1, 0
	s_cmp_lg_u32 s8, 0
	v_cndmask_b32_e32 v2, v2, v3, vcc
	v_mov_b32_e32 v3, 0x400000
	s_cselect_b64 vcc, -1, 0
	v_cndmask_b32_e32 v2, v3, v2, vcc
	s_mov_b32 s8, 0x47800000
	v_cmp_gt_u32_e32 vcc, s8, v2
	v_readfirstlane_b32 s10, v2
	s_cbranch_vccz .LBB150_890
; %bb.888:
	s_cmp_gt_u32 s10, 0x387fffff
	s_cbranch_scc0 .LBB150_891
; %bb.889:
	s_bfe_u32 s8, s10, 0x10015
	s_add_i32 s8, s10, s8
	s_add_i32 s8, s8, 0x80fffff
	s_lshr_b32 s11, s8, 21
	s_mov_b64 s[8:9], 0
	s_branch .LBB150_892
.LBB150_890:
	s_mov_b64 s[8:9], -1
                                        ; implicit-def: $vgpr3
	s_branch .LBB150_895
.LBB150_891:
	s_mov_b64 s[8:9], -1
                                        ; implicit-def: $sgpr11
.LBB150_892:
	s_andn2_b64 vcc, exec, s[8:9]
	v_mov_b32_e32 v3, s11
	s_cbranch_vccnz .LBB150_894
; %bb.893:
	v_add_f32_e32 v3, 0x43000000, v2
.LBB150_894:
	s_mov_b64 s[8:9], 0
.LBB150_895:
	s_andn2_b64 vcc, exec, s[8:9]
	s_cbranch_vccnz .LBB150_897
; %bb.896:
	s_cmp_gt_u32 s10, 0x7f800000
	s_movk_i32 s8, 0x7f
	s_cselect_b32 s8, s8, 0x7c
	v_mov_b32_e32 v3, s8
.LBB150_897:
	global_store_byte v[0:1], v3, off
.LBB150_898:
	s_mov_b64 s[8:9], 0
.LBB150_899:
	s_andn2_b64 vcc, exec, s[8:9]
	s_mov_b64 s[8:9], 0
	s_cbranch_vccnz .LBB150_906
; %bb.900:
	s_cmp_gt_i32 s14, 14
	s_mov_b64 s[10:11], -1
	s_cbranch_scc0 .LBB150_904
; %bb.901:
	s_cmp_eq_u32 s14, 15
	s_mov_b64 s[6:7], -1
	s_cbranch_scc0 .LBB150_903
; %bb.902:
	s_and_b32 s6, s19, 0xff
	s_lshl_b32 s7, s6, 23
	s_cmpk_lg_i32 s6, 0xff
	v_mov_b32_e32 v2, 0x7f800001
	v_mov_b32_e32 v3, s7
	s_cselect_b64 vcc, -1, 0
	s_cmp_lg_u32 s6, 0
	v_cndmask_b32_e32 v2, v2, v3, vcc
	v_mov_b32_e32 v3, 0x400000
	s_cselect_b64 vcc, -1, 0
	v_cndmask_b32_e32 v2, v3, v2, vcc
	v_add_u32_e32 v3, 0x7fff, v2
	v_cmp_o_f32_e32 vcc, v2, v2
	v_mov_b32_e32 v2, 0x7fc0
	v_cndmask_b32_sdwa v2, v2, v3, vcc dst_sel:DWORD dst_unused:UNUSED_PAD src0_sel:DWORD src1_sel:WORD_1
	global_store_short v[0:1], v2, off
	s_mov_b64 s[6:7], 0
.LBB150_903:
	s_mov_b64 s[10:11], 0
.LBB150_904:
	s_and_b64 vcc, exec, s[10:11]
	s_cbranch_vccz .LBB150_906
; %bb.905:
	s_cmp_lg_u32 s14, 11
	s_mov_b64 s[8:9], -1
	s_cselect_b64 s[6:7], -1, 0
.LBB150_906:
	s_and_b64 vcc, exec, s[6:7]
	s_cbranch_vccnz .LBB150_908
.LBB150_907:
	s_mov_b64 s[6:7], 0
	s_branch .LBB150_825
.LBB150_908:
	s_mov_b64 s[8:9], 0
	s_or_b64 s[4:5], s[4:5], exec
	s_trap 2
	s_branch .LBB150_907
	.section	.rodata,"a",@progbits
	.p2align	6, 0x0
	.amdhsa_kernel _ZN2at6native32elementwise_kernel_manual_unrollILi128ELi4EZNS0_15gpu_kernel_implINS0_11FillFunctorIN3c1014Float8_e8m0fnuEEEEEvRNS_18TensorIteratorBaseERKT_EUlibE_EEviT1_
		.amdhsa_group_segment_fixed_size 0
		.amdhsa_private_segment_fixed_size 0
		.amdhsa_kernarg_size 24
		.amdhsa_user_sgpr_count 6
		.amdhsa_user_sgpr_private_segment_buffer 1
		.amdhsa_user_sgpr_dispatch_ptr 0
		.amdhsa_user_sgpr_queue_ptr 0
		.amdhsa_user_sgpr_kernarg_segment_ptr 1
		.amdhsa_user_sgpr_dispatch_id 0
		.amdhsa_user_sgpr_flat_scratch_init 0
		.amdhsa_user_sgpr_private_segment_size 0
		.amdhsa_uses_dynamic_stack 0
		.amdhsa_system_sgpr_private_segment_wavefront_offset 0
		.amdhsa_system_sgpr_workgroup_id_x 1
		.amdhsa_system_sgpr_workgroup_id_y 0
		.amdhsa_system_sgpr_workgroup_id_z 0
		.amdhsa_system_sgpr_workgroup_info 0
		.amdhsa_system_vgpr_workitem_id 0
		.amdhsa_next_free_vgpr 26
		.amdhsa_next_free_sgpr 51
		.amdhsa_reserve_vcc 1
		.amdhsa_reserve_flat_scratch 0
		.amdhsa_float_round_mode_32 0
		.amdhsa_float_round_mode_16_64 0
		.amdhsa_float_denorm_mode_32 3
		.amdhsa_float_denorm_mode_16_64 3
		.amdhsa_dx10_clamp 1
		.amdhsa_ieee_mode 1
		.amdhsa_fp16_overflow 0
		.amdhsa_exception_fp_ieee_invalid_op 0
		.amdhsa_exception_fp_denorm_src 0
		.amdhsa_exception_fp_ieee_div_zero 0
		.amdhsa_exception_fp_ieee_overflow 0
		.amdhsa_exception_fp_ieee_underflow 0
		.amdhsa_exception_fp_ieee_inexact 0
		.amdhsa_exception_int_div_zero 0
	.end_amdhsa_kernel
	.section	.text._ZN2at6native32elementwise_kernel_manual_unrollILi128ELi4EZNS0_15gpu_kernel_implINS0_11FillFunctorIN3c1014Float8_e8m0fnuEEEEEvRNS_18TensorIteratorBaseERKT_EUlibE_EEviT1_,"axG",@progbits,_ZN2at6native32elementwise_kernel_manual_unrollILi128ELi4EZNS0_15gpu_kernel_implINS0_11FillFunctorIN3c1014Float8_e8m0fnuEEEEEvRNS_18TensorIteratorBaseERKT_EUlibE_EEviT1_,comdat
.Lfunc_end150:
	.size	_ZN2at6native32elementwise_kernel_manual_unrollILi128ELi4EZNS0_15gpu_kernel_implINS0_11FillFunctorIN3c1014Float8_e8m0fnuEEEEEvRNS_18TensorIteratorBaseERKT_EUlibE_EEviT1_, .Lfunc_end150-_ZN2at6native32elementwise_kernel_manual_unrollILi128ELi4EZNS0_15gpu_kernel_implINS0_11FillFunctorIN3c1014Float8_e8m0fnuEEEEEvRNS_18TensorIteratorBaseERKT_EUlibE_EEviT1_
                                        ; -- End function
	.set _ZN2at6native32elementwise_kernel_manual_unrollILi128ELi4EZNS0_15gpu_kernel_implINS0_11FillFunctorIN3c1014Float8_e8m0fnuEEEEEvRNS_18TensorIteratorBaseERKT_EUlibE_EEviT1_.num_vgpr, 26
	.set _ZN2at6native32elementwise_kernel_manual_unrollILi128ELi4EZNS0_15gpu_kernel_implINS0_11FillFunctorIN3c1014Float8_e8m0fnuEEEEEvRNS_18TensorIteratorBaseERKT_EUlibE_EEviT1_.num_agpr, 0
	.set _ZN2at6native32elementwise_kernel_manual_unrollILi128ELi4EZNS0_15gpu_kernel_implINS0_11FillFunctorIN3c1014Float8_e8m0fnuEEEEEvRNS_18TensorIteratorBaseERKT_EUlibE_EEviT1_.numbered_sgpr, 51
	.set _ZN2at6native32elementwise_kernel_manual_unrollILi128ELi4EZNS0_15gpu_kernel_implINS0_11FillFunctorIN3c1014Float8_e8m0fnuEEEEEvRNS_18TensorIteratorBaseERKT_EUlibE_EEviT1_.num_named_barrier, 0
	.set _ZN2at6native32elementwise_kernel_manual_unrollILi128ELi4EZNS0_15gpu_kernel_implINS0_11FillFunctorIN3c1014Float8_e8m0fnuEEEEEvRNS_18TensorIteratorBaseERKT_EUlibE_EEviT1_.private_seg_size, 0
	.set _ZN2at6native32elementwise_kernel_manual_unrollILi128ELi4EZNS0_15gpu_kernel_implINS0_11FillFunctorIN3c1014Float8_e8m0fnuEEEEEvRNS_18TensorIteratorBaseERKT_EUlibE_EEviT1_.uses_vcc, 1
	.set _ZN2at6native32elementwise_kernel_manual_unrollILi128ELi4EZNS0_15gpu_kernel_implINS0_11FillFunctorIN3c1014Float8_e8m0fnuEEEEEvRNS_18TensorIteratorBaseERKT_EUlibE_EEviT1_.uses_flat_scratch, 0
	.set _ZN2at6native32elementwise_kernel_manual_unrollILi128ELi4EZNS0_15gpu_kernel_implINS0_11FillFunctorIN3c1014Float8_e8m0fnuEEEEEvRNS_18TensorIteratorBaseERKT_EUlibE_EEviT1_.has_dyn_sized_stack, 0
	.set _ZN2at6native32elementwise_kernel_manual_unrollILi128ELi4EZNS0_15gpu_kernel_implINS0_11FillFunctorIN3c1014Float8_e8m0fnuEEEEEvRNS_18TensorIteratorBaseERKT_EUlibE_EEviT1_.has_recursion, 0
	.set _ZN2at6native32elementwise_kernel_manual_unrollILi128ELi4EZNS0_15gpu_kernel_implINS0_11FillFunctorIN3c1014Float8_e8m0fnuEEEEEvRNS_18TensorIteratorBaseERKT_EUlibE_EEviT1_.has_indirect_call, 0
	.section	.AMDGPU.csdata,"",@progbits
; Kernel info:
; codeLenInByte = 15028
; TotalNumSgprs: 55
; NumVgprs: 26
; ScratchSize: 0
; MemoryBound: 0
; FloatMode: 240
; IeeeMode: 1
; LDSByteSize: 0 bytes/workgroup (compile time only)
; SGPRBlocks: 6
; VGPRBlocks: 6
; NumSGPRsForWavesPerEU: 55
; NumVGPRsForWavesPerEU: 26
; Occupancy: 9
; WaveLimiterHint : 0
; COMPUTE_PGM_RSRC2:SCRATCH_EN: 0
; COMPUTE_PGM_RSRC2:USER_SGPR: 6
; COMPUTE_PGM_RSRC2:TRAP_HANDLER: 0
; COMPUTE_PGM_RSRC2:TGID_X_EN: 1
; COMPUTE_PGM_RSRC2:TGID_Y_EN: 0
; COMPUTE_PGM_RSRC2:TGID_Z_EN: 0
; COMPUTE_PGM_RSRC2:TIDIG_COMP_CNT: 0
	.section	.text._ZN2at6native32elementwise_kernel_manual_unrollILi128ELi4EZNS0_15gpu_kernel_implINS0_11FillFunctorIN3c1014Float8_e8m0fnuEEEEEvRNS_18TensorIteratorBaseERKT_EUlibE0_EEviT1_,"axG",@progbits,_ZN2at6native32elementwise_kernel_manual_unrollILi128ELi4EZNS0_15gpu_kernel_implINS0_11FillFunctorIN3c1014Float8_e8m0fnuEEEEEvRNS_18TensorIteratorBaseERKT_EUlibE0_EEviT1_,comdat
	.protected	_ZN2at6native32elementwise_kernel_manual_unrollILi128ELi4EZNS0_15gpu_kernel_implINS0_11FillFunctorIN3c1014Float8_e8m0fnuEEEEEvRNS_18TensorIteratorBaseERKT_EUlibE0_EEviT1_ ; -- Begin function _ZN2at6native32elementwise_kernel_manual_unrollILi128ELi4EZNS0_15gpu_kernel_implINS0_11FillFunctorIN3c1014Float8_e8m0fnuEEEEEvRNS_18TensorIteratorBaseERKT_EUlibE0_EEviT1_
	.globl	_ZN2at6native32elementwise_kernel_manual_unrollILi128ELi4EZNS0_15gpu_kernel_implINS0_11FillFunctorIN3c1014Float8_e8m0fnuEEEEEvRNS_18TensorIteratorBaseERKT_EUlibE0_EEviT1_
	.p2align	8
	.type	_ZN2at6native32elementwise_kernel_manual_unrollILi128ELi4EZNS0_15gpu_kernel_implINS0_11FillFunctorIN3c1014Float8_e8m0fnuEEEEEvRNS_18TensorIteratorBaseERKT_EUlibE0_EEviT1_,@function
_ZN2at6native32elementwise_kernel_manual_unrollILi128ELi4EZNS0_15gpu_kernel_implINS0_11FillFunctorIN3c1014Float8_e8m0fnuEEEEEvRNS_18TensorIteratorBaseERKT_EUlibE0_EEviT1_: ; @_ZN2at6native32elementwise_kernel_manual_unrollILi128ELi4EZNS0_15gpu_kernel_implINS0_11FillFunctorIN3c1014Float8_e8m0fnuEEEEEvRNS_18TensorIteratorBaseERKT_EUlibE0_EEviT1_
; %bb.0:
	s_load_dword s80, s[4:5], 0x0
	s_load_dword s33, s[4:5], 0x8
	s_add_u32 s34, s4, 8
	s_addc_u32 s35, s5, 0
	v_lshl_or_b32 v11, s6, 9, v0
	v_or_b32_e32 v8, 0x180, v11
	s_waitcnt lgkmcnt(0)
	s_add_i32 s76, s33, -1
	s_cmp_gt_u32 s76, 1
	v_cmp_le_i32_e32 vcc, s80, v8
	s_cselect_b64 s[42:43], -1, 0
	s_mov_b64 s[40:41], 0
	s_mov_b64 s[20:21], 0
	s_and_saveexec_b64 s[0:1], vcc
	s_xor_b64 s[44:45], exec, s[0:1]
	s_cbranch_execz .LBB151_462
; %bb.1:
	s_load_dword s79, s[34:35], 0x110
	s_mov_b32 s0, 0x2f800000
	s_mov_b32 s1, 0xcf800000
	;; [unrolled: 1-line block ×3, first 2 shown]
	s_load_dwordx2 s[52:53], s[34:35], 0xc4
	s_load_dwordx2 s[50:51], s[34:35], 0x108
	s_waitcnt lgkmcnt(0)
	s_and_b32 s2, s79, 0xff
	s_lshl_b32 s4, s2, 23
	v_trunc_f32_e32 v2, s4
	v_mul_f32_e64 v0, |v2|, s0
	v_floor_f32_e32 v0, v0
	v_fma_f32 v1, v0, s1, |v2|
	v_cvt_u32_f32_e32 v1, v1
	v_cvt_u32_f32_e32 v0, v0
	v_ashrrev_i32_e32 v4, 31, v2
	s_cmp_eq_u32 s2, 0
	v_xor_b32_e32 v1, v1, v4
	v_xor_b32_e32 v0, v0, v4
	v_sub_co_u32_e32 v1, vcc, v1, v4
	v_subb_co_u32_e32 v0, vcc, v0, v4, vcc
	v_cvt_i32_f32_e32 v6, s4
	s_cselect_b64 s[0:1], -1, 0
	v_cndmask_b32_e64 v4, v1, 0, s[0:1]
	v_cndmask_b32_e64 v5, v0, 0, s[0:1]
	v_cvt_f64_f32_e32 v[0:1], s4
	v_cvt_f16_f32_e32 v3, s4
	s_cmpk_eq_i32 s2, 0xff
	v_cndmask_b32_e64 v10, v6, 0, s[0:1]
	v_bfrev_b32_e32 v6, 4
	s_cselect_b64 vcc, -1, 0
	v_cndmask_b32_e32 v0, v0, v6, vcc
	v_mov_b32_e32 v6, 0x7ff80000
	v_cndmask_b32_e32 v1, v1, v6, vcc
	v_mov_b32_e32 v6, 0x7e00
	v_cndmask_b32_e32 v3, v3, v6, vcc
	v_mul_f32_e32 v6, 0x2f800000, v2
	v_floor_f32_e32 v6, v6
	v_fmac_f32_e32 v2, 0xcf800000, v6
	v_cvt_u32_f32_e32 v6, v6
	v_cvt_u32_f32_e32 v2, v2
	s_and_b64 s[0:1], vcc, exec
	s_cselect_b32 s5, 0x7f800001, s4
	s_cmp_eq_u32 s2, 0
	s_cselect_b64 s[0:1], -1, 0
	v_cvt_u32_f32_e32 v8, s4
	v_cndmask_b32_e64 v7, v6, 0, s[0:1]
	v_cndmask_b32_e64 v6, v2, 0, s[0:1]
	v_bfrev_b32_e32 v2, 28
	v_cndmask_b32_e64 v1, v1, v2, s[0:1]
	v_cndmask_b32_e64 v12, v3, 0, s[0:1]
	v_mov_b32_e32 v2, s4
	v_mov_b32_e32 v3, 0x7f800001
	s_and_b64 s[2:3], s[0:1], exec
	v_cndmask_b32_e32 v2, v2, v3, vcc
	v_mov_b32_e32 v3, 0x400000
	s_cselect_b32 s78, 0x400000, s5
	s_cmp_lg_u32 s33, 0
	v_cndmask_b32_e64 v13, v2, v3, s[0:1]
	v_cndmask_b32_e64 v25, v8, 0, s[0:1]
	;; [unrolled: 1-line block ×3, first 2 shown]
	s_cselect_b64 s[60:61], -1, 0
	s_add_u32 s58, s34, 0xc4
	s_mov_b32 s0, 0x43800000
	v_add_u32_e32 v2, 0x487ffff, v13
	s_addc_u32 s59, s35, 0
	s_min_u32 s81, s76, 15
	v_cmp_gt_u32_e64 s[14:15], s0, v13
	s_mov_b32 s0, 0x3bffffff
	v_lshrrev_b32_e32 v23, 20, v2
	v_add_f32_e32 v24, 0x46000000, v13
	v_add_u32_e32 v2, 0x407ffff, v13
	s_cmp_gt_u32 s33, 1
	v_cmp_lt_u32_e64 s[12:13], s0, v13
	v_readfirstlane_b32 s0, v24
	v_lshrrev_b32_e32 v3, 20, v2
	v_and_b32_e32 v2, 0xfc00000, v2
	s_cselect_b64 s[56:57], -1, 0
	s_bfe_u32 s77, s79, 0x80008
	s_and_b32 s0, s0, 0xff
	v_mov_b32_e32 v8, 0x7e
	v_cmp_ne_u32_e32 vcc, s6, v2
	s_mov_b32 s6, 0x7f800000
	v_add_f32_e32 v21, 0x42800000, v13
	s_cmp_lg_u32 s0, 0
	v_cndmask_b32_e32 v16, v8, v3, vcc
	v_cmp_lt_u32_e32 vcc, s6, v13
	v_readfirstlane_b32 s6, v21
	s_load_dwordx4 s[24:27], s[34:35], 0x4
	s_load_dwordx2 s[54:55], s[34:35], 0x14
	s_cselect_b64 s[48:49], -1, 0
	v_mov_b32_e32 v2, 0x7f
	v_mov_b32_e32 v3, 0x7c
	s_and_b32 s6, s6, 0xff
	v_cndmask_b32_e32 v17, v8, v2, vcc
	v_cndmask_b32_e32 v15, v3, v2, vcc
	v_cmp_o_f32_e32 vcc, v13, v13
	v_add_u32_e32 v2, 0x7fff, v13
	v_mov_b32_e32 v3, 0x7fc0
	s_cmp_lg_u32 s6, 0
	s_mov_b32 s6, 0x43efffff
	s_mov_b32 s2, 0x47800000
	v_cndmask_b32_sdwa v14, v3, v2, vcc dst_sel:DWORD dst_unused:UNUSED_PAD src0_sel:DWORD src1_sel:WORD_1
	v_add_u32_e32 v2, 0x88fffff, v13
	v_cmp_lt_u32_e64 s[8:9], s6, v13
	s_mov_b32 s6, 0x3c800000
	s_mov_b32 s0, 0x477fffff
	v_cmp_gt_u32_e64 s[4:5], s2, v13
	s_mov_b32 s2, 0x37ffffff
	v_lshrrev_b32_e32 v20, 21, v2
	v_cmp_gt_u32_e64 s[10:11], s6, v13
	s_mov_b32 s6, 0x38800000
	v_add_u32_e32 v2, 0x80fffff, v13
	v_cmp_lt_u32_e64 s[0:1], s0, v13
	v_cmp_lt_u32_e64 s[2:3], s2, v13
	s_cselect_b64 s[46:47], -1, 0
	v_cmp_gt_u32_e64 s[6:7], s6, v13
	v_lshrrev_b32_e32 v18, 21, v2
	v_cmp_gt_i32_e32 vcc, s80, v11
	s_mov_b64 s[18:19], -1
	s_mov_b64 s[68:69], 0
	s_mov_b64 s[62:63], 0
	v_add_f32_e32 v22, 0x46800000, v13
	v_add_f32_e32 v19, 0x43000000, v13
	s_and_saveexec_b64 s[64:65], vcc
	s_cbranch_execz .LBB151_114
; %bb.2:
	s_andn2_b64 vcc, exec, s[42:43]
	s_cbranch_vccnz .LBB151_7
; %bb.3:
	s_andn2_b64 vcc, exec, s[60:61]
	s_cbranch_vccnz .LBB151_8
; %bb.4:
	s_add_i32 s71, s81, 1
	s_cmp_eq_u32 s76, 2
	s_cbranch_scc1 .LBB151_9
; %bb.5:
	s_and_b32 s70, s71, 28
	s_mov_b32 s72, 0
	v_mov_b32_e32 v2, 0
	s_mov_b64 s[62:63], s[34:35]
	s_mov_b64 s[66:67], s[58:59]
	v_mov_b32_e32 v3, v11
.LBB151_6:                              ; =>This Inner Loop Header: Depth=1
	s_load_dwordx8 s[16:23], s[62:63], 0x4
	s_load_dwordx4 s[28:31], s[62:63], 0x24
	s_load_dwordx4 s[36:39], s[66:67], 0x0
	s_add_u32 s62, s62, 48
	s_addc_u32 s63, s63, 0
	s_waitcnt lgkmcnt(0)
	v_mul_hi_u32 v8, s17, v3
	s_add_i32 s72, s72, 4
	s_add_u32 s66, s66, 16
	s_addc_u32 s67, s67, 0
	v_add_u32_e32 v8, v3, v8
	v_lshrrev_b32_e32 v8, s18, v8
	v_mul_lo_u32 v9, v8, s16
	v_mul_hi_u32 v26, s20, v8
	s_cmp_lg_u32 s70, s72
	v_sub_u32_e32 v3, v3, v9
	v_add_u32_e32 v9, v8, v26
	v_lshrrev_b32_e32 v9, s21, v9
	v_mul_lo_u32 v26, v3, s36
	v_mul_hi_u32 v3, s23, v9
	v_mul_lo_u32 v28, v9, s19
	v_add_u32_e32 v3, v9, v3
	v_lshrrev_b32_e32 v27, s28, v3
	v_mul_hi_u32 v3, s30, v27
	v_sub_u32_e32 v8, v8, v28
	v_mul_lo_u32 v28, v27, s22
	v_mul_lo_u32 v8, v8, s37
	v_add_u32_e32 v3, v27, v3
	v_lshrrev_b32_e32 v3, s31, v3
	v_mul_lo_u32 v29, v3, s29
	v_sub_u32_e32 v9, v9, v28
	v_mul_lo_u32 v9, v9, s38
	v_add3_u32 v2, v26, v2, v8
	v_sub_u32_e32 v27, v27, v29
	v_mul_lo_u32 v27, v27, s39
	v_add3_u32 v2, v9, v2, v27
	s_cbranch_scc1 .LBB151_6
	s_branch .LBB151_10
.LBB151_7:
                                        ; implicit-def: $vgpr2
	s_branch .LBB151_14
.LBB151_8:
	v_mov_b32_e32 v2, 0
	s_branch .LBB151_13
.LBB151_9:
	v_mov_b32_e32 v2, 0
	s_mov_b32 s70, 0
	v_mov_b32_e32 v3, v11
.LBB151_10:
	s_and_b32 s20, s71, 3
	s_cmp_eq_u32 s20, 0
	s_cbranch_scc1 .LBB151_13
; %bb.11:
	s_lshl_b32 s16, s70, 2
	s_add_u32 s16, s34, s16
	s_addc_u32 s17, s35, 0
	s_add_u32 s16, s16, 0xc4
	s_addc_u32 s17, s17, 0
	s_mul_i32 s18, s70, 12
	s_add_u32 s18, s34, s18
	s_addc_u32 s19, s35, 0
.LBB151_12:                             ; =>This Inner Loop Header: Depth=1
	s_load_dwordx2 s[22:23], s[18:19], 0x4
	s_load_dword s21, s[18:19], 0xc
	s_add_u32 s18, s18, 12
	s_addc_u32 s19, s19, 0
	s_waitcnt lgkmcnt(0)
	v_mul_hi_u32 v8, s23, v3
	s_load_dword s23, s[16:17], 0x0
	s_add_u32 s16, s16, 4
	s_addc_u32 s17, s17, 0
	v_add_u32_e32 v8, v3, v8
	v_lshrrev_b32_e32 v8, s21, v8
	v_mul_lo_u32 v9, v8, s22
	s_add_i32 s20, s20, -1
	s_cmp_lg_u32 s20, 0
	v_sub_u32_e32 v3, v3, v9
	s_waitcnt lgkmcnt(0)
	v_mad_u64_u32 v[2:3], s[22:23], v3, s23, v[2:3]
	v_mov_b32_e32 v3, v8
	s_cbranch_scc1 .LBB151_12
.LBB151_13:
	s_cbranch_execnz .LBB151_16
.LBB151_14:
	s_waitcnt lgkmcnt(0)
	v_mul_hi_u32 v2, s25, v11
	s_andn2_b64 vcc, exec, s[56:57]
	v_add_u32_e32 v2, v11, v2
	v_lshrrev_b32_e32 v3, s26, v2
	v_mul_lo_u32 v2, v3, s24
	v_sub_u32_e32 v2, v11, v2
	v_mul_lo_u32 v2, v2, s52
	s_cbranch_vccnz .LBB151_16
; %bb.15:
	v_mul_hi_u32 v8, s54, v3
	v_add_u32_e32 v8, v3, v8
	v_lshrrev_b32_e32 v8, s55, v8
	v_mul_lo_u32 v8, v8, s27
	v_sub_u32_e32 v3, v3, v8
	v_mad_u64_u32 v[2:3], s[16:17], v3, s53, v[2:3]
.LBB151_16:
	v_mov_b32_e32 v3, s51
	s_and_b32 s22, 0xffff, s77
	v_add_co_u32_e32 v8, vcc, s50, v2
	s_cmp_lt_i32 s22, 11
	v_addc_co_u32_e32 v9, vcc, 0, v3, vcc
	s_cbranch_scc1 .LBB151_23
; %bb.17:
	s_cmp_gt_i32 s22, 25
	s_cbranch_scc0 .LBB151_26
; %bb.18:
	s_cmp_gt_i32 s22, 28
	s_cbranch_scc0 .LBB151_27
	;; [unrolled: 3-line block ×4, first 2 shown]
; %bb.21:
	s_mov_b64 s[20:21], 0
	s_mov_b64 s[16:17], -1
	s_cmp_eq_u32 s22, 46
	s_mov_b64 s[18:19], 0
	s_cbranch_scc0 .LBB151_30
; %bb.22:
	global_store_dword v[8:9], v14, off
	s_mov_b64 s[18:19], -1
	s_mov_b64 s[16:17], 0
	s_branch .LBB151_30
.LBB151_23:
	s_mov_b64 s[16:17], 0
	s_mov_b64 s[18:19], 0
	s_cbranch_execnz .LBB151_74
.LBB151_24:
	s_andn2_b64 vcc, exec, s[18:19]
	s_cbranch_vccnz .LBB151_112
.LBB151_25:
	v_add_u32_e32 v11, 0x80, v11
	s_mov_b64 s[18:19], -1
	s_branch .LBB151_113
.LBB151_26:
	s_mov_b64 s[16:17], 0
	s_mov_b64 s[18:19], 0
	s_cbranch_execnz .LBB151_52
	s_branch .LBB151_73
.LBB151_27:
	s_mov_b64 s[20:21], -1
	s_mov_b64 s[16:17], 0
	s_mov_b64 s[18:19], 0
	s_branch .LBB151_38
.LBB151_28:
	s_mov_b64 s[20:21], -1
	s_mov_b64 s[16:17], 0
	s_mov_b64 s[18:19], 0
	s_branch .LBB151_34
.LBB151_29:
	s_mov_b64 s[20:21], -1
	s_mov_b64 s[16:17], 0
	s_mov_b64 s[18:19], 0
.LBB151_30:
	s_and_b64 vcc, exec, s[20:21]
	s_cbranch_vccz .LBB151_33
; %bb.31:
	s_cmp_eq_u32 s22, 44
	s_mov_b64 s[16:17], -1
	s_cbranch_scc0 .LBB151_33
; %bb.32:
	v_mov_b32_e32 v2, s79
	global_store_byte v[8:9], v2, off
	s_mov_b64 s[18:19], -1
	s_mov_b64 s[16:17], 0
.LBB151_33:
	s_mov_b64 s[20:21], 0
.LBB151_34:
	s_and_b64 vcc, exec, s[20:21]
	s_cbranch_vccz .LBB151_37
; %bb.35:
	s_cmp_eq_u32 s22, 29
	s_mov_b64 s[16:17], -1
	s_cbranch_scc0 .LBB151_37
; %bb.36:
	global_store_dwordx2 v[8:9], v[6:7], off
	s_mov_b64 s[18:19], -1
	s_mov_b64 s[16:17], 0
.LBB151_37:
	s_mov_b64 s[20:21], 0
.LBB151_38:
	s_and_b64 vcc, exec, s[20:21]
	s_cbranch_vccz .LBB151_51
; %bb.39:
	s_cmp_lt_i32 s22, 27
	s_mov_b64 s[18:19], -1
	s_cbranch_scc1 .LBB151_45
; %bb.40:
	s_cmp_gt_i32 s22, 27
	s_cbranch_scc0 .LBB151_42
; %bb.41:
	s_mov_b64 s[18:19], 0
	global_store_dword v[8:9], v25, off
.LBB151_42:
	s_andn2_b64 vcc, exec, s[18:19]
	s_cbranch_vccnz .LBB151_44
; %bb.43:
	global_store_short v[8:9], v25, off
.LBB151_44:
	s_mov_b64 s[18:19], 0
.LBB151_45:
	s_andn2_b64 vcc, exec, s[18:19]
	s_cbranch_vccnz .LBB151_50
; %bb.46:
	s_andn2_b64 vcc, exec, s[14:15]
	v_mov_b32_e32 v2, 0x80
	s_cbranch_vccnz .LBB151_49
; %bb.47:
	s_or_b64 s[18:19], s[12:13], s[48:49]
	s_andn2_b64 vcc, exec, s[18:19]
	v_mov_b32_e32 v2, 0
	s_cbranch_vccnz .LBB151_49
; %bb.48:
	v_cndmask_b32_e64 v2, v24, v23, s[12:13]
.LBB151_49:
	global_store_byte v[8:9], v2, off
.LBB151_50:
	s_mov_b64 s[18:19], -1
.LBB151_51:
	s_branch .LBB151_73
.LBB151_52:
	s_cmp_gt_i32 s22, 22
	s_mov_b64 s[20:21], -1
	s_cbranch_scc0 .LBB151_65
; %bb.53:
	s_cmp_lt_i32 s22, 24
	s_mov_b64 s[18:19], -1
	s_cbranch_scc1 .LBB151_62
; %bb.54:
	s_cmp_gt_i32 s22, 24
	s_cbranch_scc0 .LBB151_59
; %bb.55:
	s_andn2_b64 vcc, exec, s[4:5]
	v_mov_b32_e32 v2, 0x80
	s_cbranch_vccnz .LBB151_58
; %bb.56:
	s_or_b64 s[18:19], s[2:3], s[46:47]
	s_andn2_b64 vcc, exec, s[18:19]
	v_mov_b32_e32 v2, 0
	s_cbranch_vccnz .LBB151_58
; %bb.57:
	v_cndmask_b32_e64 v2, v21, v20, s[2:3]
.LBB151_58:
	s_mov_b64 s[18:19], 0
	global_store_byte v[8:9], v2, off
.LBB151_59:
	s_and_b64 vcc, exec, s[18:19]
	s_cbranch_vccz .LBB151_61
; %bb.60:
	v_cndmask_b32_e64 v2, v16, v22, s[10:11]
	v_cndmask_b32_e64 v2, v2, v17, s[8:9]
	global_store_byte v[8:9], v2, off
.LBB151_61:
	s_mov_b64 s[18:19], 0
.LBB151_62:
	s_andn2_b64 vcc, exec, s[18:19]
	s_cbranch_vccnz .LBB151_64
; %bb.63:
	v_cndmask_b32_e64 v2, v18, v19, s[6:7]
	v_cndmask_b32_e64 v2, v2, v15, s[0:1]
	global_store_byte v[8:9], v2, off
.LBB151_64:
	s_mov_b64 s[20:21], 0
	s_mov_b64 s[18:19], -1
.LBB151_65:
	s_andn2_b64 vcc, exec, s[20:21]
	s_cbranch_vccnz .LBB151_73
; %bb.66:
	s_cmp_gt_i32 s22, 14
	s_mov_b64 s[20:21], -1
	s_cbranch_scc0 .LBB151_70
; %bb.67:
	s_cmp_eq_u32 s22, 15
	s_mov_b64 s[16:17], -1
	s_cbranch_scc0 .LBB151_69
; %bb.68:
	global_store_short v[8:9], v14, off
	s_mov_b64 s[18:19], -1
	s_mov_b64 s[16:17], 0
.LBB151_69:
	s_mov_b64 s[20:21], 0
.LBB151_70:
	s_and_b64 vcc, exec, s[20:21]
	s_cbranch_vccz .LBB151_73
; %bb.71:
	s_cmp_eq_u32 s22, 11
	s_mov_b64 s[16:17], -1
	s_cbranch_scc0 .LBB151_73
; %bb.72:
	v_mov_b32_e32 v2, 1
	s_mov_b64 s[18:19], -1
	s_mov_b64 s[16:17], 0
	global_store_byte v[8:9], v2, off
.LBB151_73:
	s_branch .LBB151_24
.LBB151_74:
	s_cmp_lt_i32 s22, 5
	s_mov_b64 s[18:19], -1
	s_cbranch_scc1 .LBB151_95
; %bb.75:
	s_cmp_lt_i32 s22, 8
	s_cbranch_scc1 .LBB151_85
; %bb.76:
	s_cmp_lt_i32 s22, 9
	s_cbranch_scc1 .LBB151_82
; %bb.77:
	s_cmp_gt_i32 s22, 9
	s_cbranch_scc0 .LBB151_79
; %bb.78:
	v_mov_b32_e32 v2, 0
	v_mov_b32_e32 v3, v2
	global_store_dwordx4 v[8:9], v[0:3], off
	s_mov_b64 s[18:19], 0
.LBB151_79:
	s_andn2_b64 vcc, exec, s[18:19]
	s_cbranch_vccnz .LBB151_81
; %bb.80:
	v_mov_b32_e32 v2, s78
	v_mov_b32_e32 v3, 0
	global_store_dwordx2 v[8:9], v[2:3], off
.LBB151_81:
	s_mov_b64 s[18:19], 0
.LBB151_82:
	s_andn2_b64 vcc, exec, s[18:19]
	s_cbranch_vccnz .LBB151_84
; %bb.83:
	global_store_dword v[8:9], v12, off
.LBB151_84:
	s_mov_b64 s[18:19], 0
.LBB151_85:
	s_andn2_b64 vcc, exec, s[18:19]
	s_cbranch_vccnz .LBB151_94
; %bb.86:
	s_cmp_lt_i32 s22, 6
	s_mov_b64 s[18:19], -1
	s_cbranch_scc1 .LBB151_92
; %bb.87:
	s_cmp_gt_i32 s22, 6
	s_cbranch_scc0 .LBB151_89
; %bb.88:
	global_store_dwordx2 v[8:9], v[0:1], off
	s_mov_b64 s[18:19], 0
.LBB151_89:
	s_andn2_b64 vcc, exec, s[18:19]
	s_cbranch_vccnz .LBB151_91
; %bb.90:
	global_store_dword v[8:9], v13, off
.LBB151_91:
	s_mov_b64 s[18:19], 0
.LBB151_92:
	s_andn2_b64 vcc, exec, s[18:19]
	s_cbranch_vccnz .LBB151_94
; %bb.93:
	global_store_short v[8:9], v12, off
.LBB151_94:
	s_mov_b64 s[18:19], 0
.LBB151_95:
	s_andn2_b64 vcc, exec, s[18:19]
	s_cbranch_vccnz .LBB151_111
; %bb.96:
	s_cmp_lt_i32 s22, 2
	s_mov_b64 s[18:19], -1
	s_cbranch_scc1 .LBB151_106
; %bb.97:
	s_cmp_lt_i32 s22, 3
	s_cbranch_scc1 .LBB151_103
; %bb.98:
	s_cmp_gt_i32 s22, 3
	s_cbranch_scc0 .LBB151_100
; %bb.99:
	global_store_dwordx2 v[8:9], v[4:5], off
	s_mov_b64 s[18:19], 0
.LBB151_100:
	s_andn2_b64 vcc, exec, s[18:19]
	s_cbranch_vccnz .LBB151_102
; %bb.101:
	global_store_dword v[8:9], v10, off
.LBB151_102:
	s_mov_b64 s[18:19], 0
.LBB151_103:
	s_andn2_b64 vcc, exec, s[18:19]
	s_cbranch_vccnz .LBB151_105
; %bb.104:
	global_store_short v[8:9], v10, off
.LBB151_105:
	s_mov_b64 s[18:19], 0
.LBB151_106:
	s_andn2_b64 vcc, exec, s[18:19]
	s_cbranch_vccnz .LBB151_111
; %bb.107:
	s_cmp_gt_i32 s22, 0
	s_mov_b64 s[18:19], -1
	s_cbranch_scc0 .LBB151_109
; %bb.108:
	global_store_byte v[8:9], v10, off
	s_mov_b64 s[18:19], 0
.LBB151_109:
	s_andn2_b64 vcc, exec, s[18:19]
	s_cbranch_vccnz .LBB151_111
; %bb.110:
	global_store_byte v[8:9], v4, off
.LBB151_111:
	s_branch .LBB151_25
.LBB151_112:
	s_mov_b64 s[18:19], 0
                                        ; implicit-def: $vgpr11
.LBB151_113:
	s_and_b64 s[62:63], s[16:17], exec
	s_orn2_b64 s[18:19], s[18:19], exec
.LBB151_114:
	s_or_b64 exec, exec, s[64:65]
	s_mov_b64 s[16:17], 0
                                        ; implicit-def: $vgpr8_vgpr9
	s_and_saveexec_b64 s[64:65], s[18:19]
	s_cbranch_execz .LBB151_121
; %bb.115:
	v_cmp_gt_i32_e32 vcc, s80, v11
	s_mov_b64 s[16:17], -1
	s_mov_b64 s[66:67], s[62:63]
	s_and_saveexec_b64 s[68:69], vcc
	s_cbranch_execz .LBB151_232
; %bb.116:
	s_andn2_b64 vcc, exec, s[42:43]
	s_cbranch_vccnz .LBB151_124
; %bb.117:
	s_andn2_b64 vcc, exec, s[60:61]
	s_cbranch_vccnz .LBB151_125
; %bb.118:
	s_add_i32 s73, s81, 1
	s_cmp_eq_u32 s76, 2
	s_cbranch_scc1 .LBB151_126
; %bb.119:
	s_and_b32 s72, s73, 28
	s_mov_b32 s74, 0
	v_mov_b32_e32 v2, 0
	s_mov_b64 s[66:67], s[34:35]
	s_mov_b64 s[70:71], s[58:59]
	v_mov_b32_e32 v3, v11
.LBB151_120:                            ; =>This Inner Loop Header: Depth=1
	s_load_dwordx8 s[16:23], s[66:67], 0x4
	s_load_dwordx4 s[28:31], s[66:67], 0x24
	s_load_dwordx4 s[36:39], s[70:71], 0x0
	s_add_u32 s66, s66, 48
	s_addc_u32 s67, s67, 0
	s_waitcnt lgkmcnt(0)
	v_mul_hi_u32 v8, s17, v3
	s_add_i32 s74, s74, 4
	s_add_u32 s70, s70, 16
	s_addc_u32 s71, s71, 0
	v_add_u32_e32 v8, v3, v8
	v_lshrrev_b32_e32 v8, s18, v8
	v_mul_lo_u32 v9, v8, s16
	v_mul_hi_u32 v26, s20, v8
	s_cmp_eq_u32 s72, s74
	v_sub_u32_e32 v3, v3, v9
	v_add_u32_e32 v9, v8, v26
	v_lshrrev_b32_e32 v9, s21, v9
	v_mul_lo_u32 v26, v3, s36
	v_mul_hi_u32 v3, s23, v9
	v_mul_lo_u32 v28, v9, s19
	v_add_u32_e32 v3, v9, v3
	v_lshrrev_b32_e32 v27, s28, v3
	v_mul_hi_u32 v3, s30, v27
	v_sub_u32_e32 v8, v8, v28
	v_mul_lo_u32 v28, v27, s22
	v_mul_lo_u32 v8, v8, s37
	v_add_u32_e32 v3, v27, v3
	v_lshrrev_b32_e32 v3, s31, v3
	v_mul_lo_u32 v29, v3, s29
	v_sub_u32_e32 v9, v9, v28
	v_mul_lo_u32 v9, v9, s38
	v_add3_u32 v2, v26, v2, v8
	v_sub_u32_e32 v27, v27, v29
	v_mul_lo_u32 v27, v27, s39
	v_add3_u32 v2, v9, v2, v27
	s_cbranch_scc0 .LBB151_120
	s_branch .LBB151_127
.LBB151_121:
	s_or_b64 exec, exec, s[64:65]
	s_mov_b64 s[0:1], 0
	s_and_saveexec_b64 s[2:3], s[62:63]
	s_cbranch_execnz .LBB151_422
.LBB151_122:
	s_or_b64 exec, exec, s[2:3]
	s_and_saveexec_b64 s[2:3], s[68:69]
	s_xor_b64 s[2:3], exec, s[2:3]
	s_cbranch_execz .LBB151_423
.LBB151_123:
	v_mov_b32_e32 v2, 1
	global_store_byte v[8:9], v2, off
	s_or_b64 exec, exec, s[2:3]
	s_and_saveexec_b64 s[2:3], s[16:17]
	s_xor_b64 s[2:3], exec, s[2:3]
	s_cbranch_execz .LBB151_461
	s_branch .LBB151_424
.LBB151_124:
                                        ; implicit-def: $vgpr2
	s_andn2_b64 vcc, exec, s[16:17]
	s_cbranch_vccz .LBB151_131
	s_branch .LBB151_133
.LBB151_125:
	v_mov_b32_e32 v2, 0
	s_branch .LBB151_130
.LBB151_126:
	v_mov_b32_e32 v2, 0
	s_mov_b32 s72, 0
	v_mov_b32_e32 v3, v11
.LBB151_127:
	s_and_b32 s20, s73, 3
	s_cmp_eq_u32 s20, 0
	s_cbranch_scc1 .LBB151_130
; %bb.128:
	s_lshl_b32 s16, s72, 2
	s_add_u32 s16, s34, s16
	s_addc_u32 s17, s35, 0
	s_add_u32 s16, s16, 0xc4
	s_addc_u32 s17, s17, 0
	s_mul_i32 s18, s72, 12
	s_add_u32 s18, s34, s18
	s_addc_u32 s19, s35, 0
.LBB151_129:                            ; =>This Inner Loop Header: Depth=1
	s_load_dwordx2 s[22:23], s[18:19], 0x4
	s_load_dword s21, s[18:19], 0xc
	s_add_u32 s18, s18, 12
	s_addc_u32 s19, s19, 0
	s_waitcnt lgkmcnt(0)
	v_mul_hi_u32 v8, s23, v3
	s_load_dword s23, s[16:17], 0x0
	s_add_u32 s16, s16, 4
	s_addc_u32 s17, s17, 0
	v_add_u32_e32 v8, v3, v8
	v_lshrrev_b32_e32 v8, s21, v8
	v_mul_lo_u32 v9, v8, s22
	s_add_i32 s20, s20, -1
	s_cmp_lg_u32 s20, 0
	v_sub_u32_e32 v3, v3, v9
	s_waitcnt lgkmcnt(0)
	v_mad_u64_u32 v[2:3], s[22:23], v3, s23, v[2:3]
	v_mov_b32_e32 v3, v8
	s_cbranch_scc1 .LBB151_129
.LBB151_130:
	s_cbranch_execnz .LBB151_133
.LBB151_131:
	s_waitcnt lgkmcnt(0)
	v_mul_hi_u32 v2, s25, v11
	s_andn2_b64 vcc, exec, s[56:57]
	v_add_u32_e32 v2, v11, v2
	v_lshrrev_b32_e32 v3, s26, v2
	v_mul_lo_u32 v2, v3, s24
	v_sub_u32_e32 v2, v11, v2
	v_mul_lo_u32 v2, v2, s52
	s_cbranch_vccnz .LBB151_133
; %bb.132:
	v_mul_hi_u32 v8, s54, v3
	v_add_u32_e32 v8, v3, v8
	v_lshrrev_b32_e32 v8, s55, v8
	v_mul_lo_u32 v8, v8, s27
	v_sub_u32_e32 v3, v3, v8
	v_mad_u64_u32 v[2:3], s[16:17], v3, s53, v[2:3]
.LBB151_133:
	v_mov_b32_e32 v3, s51
	s_and_b32 s22, 0xffff, s77
	v_add_co_u32_e32 v8, vcc, s50, v2
	s_cmp_lt_i32 s22, 11
	v_addc_co_u32_e32 v9, vcc, 0, v3, vcc
	s_cbranch_scc1 .LBB151_140
; %bb.134:
	s_cmp_gt_i32 s22, 25
	s_cbranch_scc0 .LBB151_143
; %bb.135:
	s_cmp_gt_i32 s22, 28
	s_cbranch_scc0 .LBB151_144
	;; [unrolled: 3-line block ×4, first 2 shown]
; %bb.138:
	s_mov_b64 s[20:21], 0
	s_mov_b64 s[16:17], -1
	s_cmp_eq_u32 s22, 46
	s_mov_b64 s[18:19], 0
	s_cbranch_scc0 .LBB151_147
; %bb.139:
	global_store_dword v[8:9], v14, off
	s_mov_b64 s[18:19], -1
	s_mov_b64 s[16:17], 0
	s_branch .LBB151_147
.LBB151_140:
	s_mov_b64 s[18:19], 0
	s_mov_b64 s[16:17], s[62:63]
	s_cbranch_execnz .LBB151_192
.LBB151_141:
	s_andn2_b64 vcc, exec, s[18:19]
	s_cbranch_vccnz .LBB151_230
.LBB151_142:
	v_add_u32_e32 v11, 0x80, v11
	s_mov_b64 s[18:19], -1
	s_branch .LBB151_231
.LBB151_143:
	s_mov_b64 s[20:21], -1
	s_mov_b64 s[18:19], 0
	s_mov_b64 s[16:17], s[62:63]
	s_branch .LBB151_169
.LBB151_144:
	s_mov_b64 s[20:21], -1
	s_mov_b64 s[18:19], 0
	s_mov_b64 s[16:17], s[62:63]
	s_branch .LBB151_155
.LBB151_145:
	s_mov_b64 s[20:21], -1
	s_mov_b64 s[18:19], 0
	s_mov_b64 s[16:17], s[62:63]
	s_branch .LBB151_151
.LBB151_146:
	s_mov_b64 s[20:21], -1
	s_mov_b64 s[18:19], 0
	s_mov_b64 s[16:17], s[62:63]
.LBB151_147:
	s_and_b64 vcc, exec, s[20:21]
	s_cbranch_vccz .LBB151_150
; %bb.148:
	s_cmp_eq_u32 s22, 44
	s_mov_b64 s[16:17], -1
	s_cbranch_scc0 .LBB151_150
; %bb.149:
	v_mov_b32_e32 v2, s79
	s_mov_b64 s[18:19], -1
	s_mov_b64 s[16:17], 0
	global_store_byte v[8:9], v2, off
.LBB151_150:
	s_mov_b64 s[20:21], 0
.LBB151_151:
	s_and_b64 vcc, exec, s[20:21]
	s_cbranch_vccz .LBB151_154
; %bb.152:
	s_cmp_eq_u32 s22, 29
	s_mov_b64 s[16:17], -1
	s_cbranch_scc0 .LBB151_154
; %bb.153:
	global_store_dwordx2 v[8:9], v[6:7], off
	s_mov_b64 s[18:19], -1
	s_mov_b64 s[16:17], 0
.LBB151_154:
	s_mov_b64 s[20:21], 0
.LBB151_155:
	s_and_b64 vcc, exec, s[20:21]
	s_cbranch_vccz .LBB151_168
; %bb.156:
	s_cmp_lt_i32 s22, 27
	s_mov_b64 s[18:19], -1
	s_cbranch_scc1 .LBB151_162
; %bb.157:
	s_cmp_gt_i32 s22, 27
	s_cbranch_scc0 .LBB151_159
; %bb.158:
	s_mov_b64 s[18:19], 0
	global_store_dword v[8:9], v25, off
.LBB151_159:
	s_andn2_b64 vcc, exec, s[18:19]
	s_cbranch_vccnz .LBB151_161
; %bb.160:
	global_store_short v[8:9], v25, off
.LBB151_161:
	s_mov_b64 s[18:19], 0
.LBB151_162:
	s_andn2_b64 vcc, exec, s[18:19]
	s_cbranch_vccnz .LBB151_167
; %bb.163:
	s_andn2_b64 vcc, exec, s[14:15]
	v_mov_b32_e32 v2, 0x80
	s_cbranch_vccnz .LBB151_166
; %bb.164:
	s_or_b64 s[18:19], s[12:13], s[48:49]
	s_andn2_b64 vcc, exec, s[18:19]
	v_mov_b32_e32 v2, 0
	s_cbranch_vccnz .LBB151_166
; %bb.165:
	v_cndmask_b32_e64 v2, v24, v23, s[12:13]
.LBB151_166:
	global_store_byte v[8:9], v2, off
.LBB151_167:
	s_mov_b64 s[18:19], -1
.LBB151_168:
	s_mov_b64 s[20:21], 0
.LBB151_169:
	s_and_b64 vcc, exec, s[20:21]
	s_cbranch_vccz .LBB151_191
; %bb.170:
	s_cmp_gt_i32 s22, 22
	s_mov_b64 s[20:21], -1
	s_cbranch_scc0 .LBB151_183
; %bb.171:
	s_cmp_lt_i32 s22, 24
	s_mov_b64 s[18:19], -1
	s_cbranch_scc1 .LBB151_180
; %bb.172:
	s_cmp_gt_i32 s22, 24
	s_cbranch_scc0 .LBB151_177
; %bb.173:
	s_andn2_b64 vcc, exec, s[4:5]
	v_mov_b32_e32 v2, 0x80
	s_cbranch_vccnz .LBB151_176
; %bb.174:
	s_or_b64 s[18:19], s[2:3], s[46:47]
	s_andn2_b64 vcc, exec, s[18:19]
	v_mov_b32_e32 v2, 0
	s_cbranch_vccnz .LBB151_176
; %bb.175:
	v_cndmask_b32_e64 v2, v21, v20, s[2:3]
.LBB151_176:
	s_mov_b64 s[18:19], 0
	global_store_byte v[8:9], v2, off
.LBB151_177:
	s_and_b64 vcc, exec, s[18:19]
	s_cbranch_vccz .LBB151_179
; %bb.178:
	v_cndmask_b32_e64 v2, v16, v22, s[10:11]
	v_cndmask_b32_e64 v2, v2, v17, s[8:9]
	global_store_byte v[8:9], v2, off
.LBB151_179:
	s_mov_b64 s[18:19], 0
.LBB151_180:
	s_andn2_b64 vcc, exec, s[18:19]
	s_cbranch_vccnz .LBB151_182
; %bb.181:
	v_cndmask_b32_e64 v2, v18, v19, s[6:7]
	v_cndmask_b32_e64 v2, v2, v15, s[0:1]
	global_store_byte v[8:9], v2, off
.LBB151_182:
	s_mov_b64 s[20:21], 0
	s_mov_b64 s[18:19], -1
.LBB151_183:
	s_andn2_b64 vcc, exec, s[20:21]
	s_cbranch_vccnz .LBB151_191
; %bb.184:
	s_cmp_gt_i32 s22, 14
	s_mov_b64 s[20:21], -1
	s_cbranch_scc0 .LBB151_188
; %bb.185:
	s_cmp_eq_u32 s22, 15
	s_mov_b64 s[16:17], -1
	s_cbranch_scc0 .LBB151_187
; %bb.186:
	global_store_short v[8:9], v14, off
	s_mov_b64 s[18:19], -1
	s_mov_b64 s[16:17], 0
.LBB151_187:
	s_mov_b64 s[20:21], 0
.LBB151_188:
	s_and_b64 vcc, exec, s[20:21]
	s_cbranch_vccz .LBB151_191
; %bb.189:
	s_cmp_eq_u32 s22, 11
	s_mov_b64 s[16:17], -1
	s_cbranch_scc0 .LBB151_191
; %bb.190:
	v_mov_b32_e32 v2, 1
	s_mov_b64 s[18:19], -1
	s_mov_b64 s[16:17], 0
	global_store_byte v[8:9], v2, off
.LBB151_191:
	s_branch .LBB151_141
.LBB151_192:
	s_cmp_lt_i32 s22, 5
	s_mov_b64 s[18:19], -1
	s_cbranch_scc1 .LBB151_213
; %bb.193:
	s_cmp_lt_i32 s22, 8
	s_cbranch_scc1 .LBB151_203
; %bb.194:
	s_cmp_lt_i32 s22, 9
	s_cbranch_scc1 .LBB151_200
; %bb.195:
	s_cmp_gt_i32 s22, 9
	s_cbranch_scc0 .LBB151_197
; %bb.196:
	v_mov_b32_e32 v2, 0
	v_mov_b32_e32 v3, v2
	s_mov_b64 s[18:19], 0
	global_store_dwordx4 v[8:9], v[0:3], off
.LBB151_197:
	s_andn2_b64 vcc, exec, s[18:19]
	s_cbranch_vccnz .LBB151_199
; %bb.198:
	v_mov_b32_e32 v2, s78
	v_mov_b32_e32 v3, 0
	global_store_dwordx2 v[8:9], v[2:3], off
.LBB151_199:
	s_mov_b64 s[18:19], 0
.LBB151_200:
	s_andn2_b64 vcc, exec, s[18:19]
	s_cbranch_vccnz .LBB151_202
; %bb.201:
	global_store_dword v[8:9], v12, off
.LBB151_202:
	s_mov_b64 s[18:19], 0
.LBB151_203:
	s_andn2_b64 vcc, exec, s[18:19]
	s_cbranch_vccnz .LBB151_212
; %bb.204:
	s_cmp_lt_i32 s22, 6
	s_mov_b64 s[18:19], -1
	s_cbranch_scc1 .LBB151_210
; %bb.205:
	s_cmp_gt_i32 s22, 6
	s_cbranch_scc0 .LBB151_207
; %bb.206:
	s_mov_b64 s[18:19], 0
	global_store_dwordx2 v[8:9], v[0:1], off
.LBB151_207:
	s_andn2_b64 vcc, exec, s[18:19]
	s_cbranch_vccnz .LBB151_209
; %bb.208:
	global_store_dword v[8:9], v13, off
.LBB151_209:
	s_mov_b64 s[18:19], 0
.LBB151_210:
	s_andn2_b64 vcc, exec, s[18:19]
	s_cbranch_vccnz .LBB151_212
; %bb.211:
	global_store_short v[8:9], v12, off
.LBB151_212:
	s_mov_b64 s[18:19], 0
.LBB151_213:
	s_andn2_b64 vcc, exec, s[18:19]
	s_cbranch_vccnz .LBB151_229
; %bb.214:
	s_cmp_lt_i32 s22, 2
	s_mov_b64 s[18:19], -1
	s_cbranch_scc1 .LBB151_224
; %bb.215:
	s_cmp_lt_i32 s22, 3
	s_cbranch_scc1 .LBB151_221
; %bb.216:
	s_cmp_gt_i32 s22, 3
	s_cbranch_scc0 .LBB151_218
; %bb.217:
	s_mov_b64 s[18:19], 0
	global_store_dwordx2 v[8:9], v[4:5], off
.LBB151_218:
	s_andn2_b64 vcc, exec, s[18:19]
	s_cbranch_vccnz .LBB151_220
; %bb.219:
	global_store_dword v[8:9], v10, off
.LBB151_220:
	s_mov_b64 s[18:19], 0
.LBB151_221:
	s_andn2_b64 vcc, exec, s[18:19]
	s_cbranch_vccnz .LBB151_223
; %bb.222:
	global_store_short v[8:9], v10, off
.LBB151_223:
	s_mov_b64 s[18:19], 0
.LBB151_224:
	s_andn2_b64 vcc, exec, s[18:19]
	s_cbranch_vccnz .LBB151_229
; %bb.225:
	s_cmp_gt_i32 s22, 0
	s_mov_b64 s[18:19], -1
	s_cbranch_scc0 .LBB151_227
; %bb.226:
	s_mov_b64 s[18:19], 0
	global_store_byte v[8:9], v10, off
.LBB151_227:
	s_andn2_b64 vcc, exec, s[18:19]
	s_cbranch_vccnz .LBB151_229
; %bb.228:
	global_store_byte v[8:9], v4, off
.LBB151_229:
	s_branch .LBB151_142
.LBB151_230:
	s_mov_b64 s[18:19], 0
                                        ; implicit-def: $vgpr11
.LBB151_231:
	s_andn2_b64 s[20:21], s[62:63], exec
	s_and_b64 s[16:17], s[16:17], exec
	s_or_b64 s[66:67], s[20:21], s[16:17]
	s_orn2_b64 s[16:17], s[18:19], exec
.LBB151_232:
	s_or_b64 exec, exec, s[68:69]
	s_mov_b64 s[18:19], 0
	s_mov_b64 s[20:21], 0
                                        ; implicit-def: $vgpr8_vgpr9
	s_and_saveexec_b64 s[68:69], s[16:17]
	s_cbranch_execz .LBB151_421
; %bb.233:
	v_cmp_gt_i32_e32 vcc, s80, v11
	s_mov_b64 s[18:19], -1
	s_mov_b64 s[72:73], s[66:67]
	s_and_saveexec_b64 s[70:71], vcc
	s_cbranch_execz .LBB151_349
; %bb.234:
	s_andn2_b64 vcc, exec, s[42:43]
	s_cbranch_vccnz .LBB151_239
; %bb.235:
	s_andn2_b64 vcc, exec, s[60:61]
	s_cbranch_vccnz .LBB151_240
; %bb.236:
	s_add_i32 s83, s81, 1
	s_cmp_eq_u32 s76, 2
	s_cbranch_scc1 .LBB151_241
; %bb.237:
	s_and_b32 s82, s83, 28
	s_mov_b32 s84, 0
	v_mov_b32_e32 v2, 0
	s_mov_b64 s[72:73], s[34:35]
	s_mov_b64 s[74:75], s[58:59]
	v_mov_b32_e32 v3, v11
.LBB151_238:                            ; =>This Inner Loop Header: Depth=1
	s_load_dwordx8 s[16:23], s[72:73], 0x4
	s_load_dwordx4 s[28:31], s[72:73], 0x24
	s_load_dwordx4 s[36:39], s[74:75], 0x0
	s_add_u32 s72, s72, 48
	s_addc_u32 s73, s73, 0
	s_waitcnt lgkmcnt(0)
	v_mul_hi_u32 v8, s17, v3
	s_add_i32 s84, s84, 4
	s_add_u32 s74, s74, 16
	s_addc_u32 s75, s75, 0
	v_add_u32_e32 v8, v3, v8
	v_lshrrev_b32_e32 v8, s18, v8
	v_mul_lo_u32 v9, v8, s16
	v_mul_hi_u32 v26, s20, v8
	s_cmp_eq_u32 s82, s84
	v_sub_u32_e32 v3, v3, v9
	v_add_u32_e32 v9, v8, v26
	v_lshrrev_b32_e32 v9, s21, v9
	v_mul_lo_u32 v26, v3, s36
	v_mul_hi_u32 v3, s23, v9
	v_mul_lo_u32 v28, v9, s19
	v_add_u32_e32 v3, v9, v3
	v_lshrrev_b32_e32 v27, s28, v3
	v_mul_hi_u32 v3, s30, v27
	v_sub_u32_e32 v8, v8, v28
	v_mul_lo_u32 v28, v27, s22
	v_mul_lo_u32 v8, v8, s37
	v_add_u32_e32 v3, v27, v3
	v_lshrrev_b32_e32 v3, s31, v3
	v_mul_lo_u32 v29, v3, s29
	v_sub_u32_e32 v9, v9, v28
	v_mul_lo_u32 v9, v9, s38
	v_add3_u32 v2, v26, v2, v8
	v_sub_u32_e32 v27, v27, v29
	v_mul_lo_u32 v27, v27, s39
	v_add3_u32 v2, v9, v2, v27
	s_cbranch_scc0 .LBB151_238
	s_branch .LBB151_242
.LBB151_239:
	s_mov_b64 s[16:17], -1
                                        ; implicit-def: $vgpr2
	s_branch .LBB151_246
.LBB151_240:
	v_mov_b32_e32 v2, 0
	s_branch .LBB151_245
.LBB151_241:
	v_mov_b32_e32 v2, 0
	s_mov_b32 s82, 0
	v_mov_b32_e32 v3, v11
.LBB151_242:
	s_and_b32 s20, s83, 3
	s_cmp_eq_u32 s20, 0
	s_cbranch_scc1 .LBB151_245
; %bb.243:
	s_lshl_b32 s16, s82, 2
	s_add_u32 s16, s34, s16
	s_addc_u32 s17, s35, 0
	s_add_u32 s16, s16, 0xc4
	s_addc_u32 s17, s17, 0
	s_mul_i32 s18, s82, 12
	s_add_u32 s18, s34, s18
	s_addc_u32 s19, s35, 0
.LBB151_244:                            ; =>This Inner Loop Header: Depth=1
	s_load_dwordx2 s[22:23], s[18:19], 0x4
	s_load_dword s21, s[18:19], 0xc
	s_add_u32 s18, s18, 12
	s_addc_u32 s19, s19, 0
	s_waitcnt lgkmcnt(0)
	v_mul_hi_u32 v8, s23, v3
	s_load_dword s23, s[16:17], 0x0
	s_add_u32 s16, s16, 4
	s_addc_u32 s17, s17, 0
	v_add_u32_e32 v8, v3, v8
	v_lshrrev_b32_e32 v8, s21, v8
	v_mul_lo_u32 v9, v8, s22
	s_add_i32 s20, s20, -1
	s_cmp_lg_u32 s20, 0
	v_sub_u32_e32 v3, v3, v9
	s_waitcnt lgkmcnt(0)
	v_mad_u64_u32 v[2:3], s[22:23], v3, s23, v[2:3]
	v_mov_b32_e32 v3, v8
	s_cbranch_scc1 .LBB151_244
.LBB151_245:
	s_mov_b64 s[16:17], 0
.LBB151_246:
	s_andn2_b64 vcc, exec, s[16:17]
	s_cbranch_vccnz .LBB151_249
; %bb.247:
	s_waitcnt lgkmcnt(0)
	v_mul_hi_u32 v2, s25, v11
	s_andn2_b64 vcc, exec, s[56:57]
	v_add_u32_e32 v2, v11, v2
	v_lshrrev_b32_e32 v3, s26, v2
	v_mul_lo_u32 v2, v3, s24
	v_sub_u32_e32 v2, v11, v2
	v_mul_lo_u32 v2, v2, s52
	s_cbranch_vccnz .LBB151_249
; %bb.248:
	v_mul_hi_u32 v8, s54, v3
	v_add_u32_e32 v8, v3, v8
	v_lshrrev_b32_e32 v8, s55, v8
	v_mul_lo_u32 v8, v8, s27
	v_sub_u32_e32 v3, v3, v8
	v_mad_u64_u32 v[2:3], s[16:17], v3, s53, v[2:3]
.LBB151_249:
	v_mov_b32_e32 v3, s51
	s_and_b32 s22, 0xffff, s77
	v_add_co_u32_e32 v8, vcc, s50, v2
	s_cmp_lt_i32 s22, 11
	v_addc_co_u32_e32 v9, vcc, 0, v3, vcc
	s_cbranch_scc1 .LBB151_256
; %bb.250:
	s_cmp_gt_i32 s22, 25
	s_cbranch_scc0 .LBB151_257
; %bb.251:
	s_cmp_gt_i32 s22, 28
	s_cbranch_scc0 .LBB151_258
	;; [unrolled: 3-line block ×4, first 2 shown]
; %bb.254:
	s_mov_b64 s[20:21], 0
	s_mov_b64 s[16:17], -1
	s_cmp_eq_u32 s22, 46
	s_mov_b64 s[18:19], 0
	s_cbranch_scc0 .LBB151_261
; %bb.255:
	global_store_dword v[8:9], v14, off
	s_mov_b64 s[18:19], -1
	s_mov_b64 s[16:17], 0
	s_branch .LBB151_261
.LBB151_256:
	s_mov_b64 s[20:21], -1
	s_mov_b64 s[18:19], 0
	s_mov_b64 s[16:17], s[66:67]
	s_branch .LBB151_306
.LBB151_257:
	s_mov_b64 s[20:21], -1
	s_mov_b64 s[18:19], 0
	s_mov_b64 s[16:17], s[66:67]
	s_branch .LBB151_283
.LBB151_258:
	s_mov_b64 s[20:21], -1
	s_mov_b64 s[18:19], 0
	s_mov_b64 s[16:17], s[66:67]
	s_branch .LBB151_269
.LBB151_259:
	s_mov_b64 s[20:21], -1
	s_mov_b64 s[18:19], 0
	s_mov_b64 s[16:17], s[66:67]
	s_branch .LBB151_265
.LBB151_260:
	s_mov_b64 s[20:21], -1
	s_mov_b64 s[18:19], 0
	s_mov_b64 s[16:17], s[66:67]
.LBB151_261:
	s_and_b64 vcc, exec, s[20:21]
	s_cbranch_vccz .LBB151_264
; %bb.262:
	s_cmp_eq_u32 s22, 44
	s_mov_b64 s[16:17], -1
	s_cbranch_scc0 .LBB151_264
; %bb.263:
	v_mov_b32_e32 v2, s79
	s_mov_b64 s[18:19], -1
	s_mov_b64 s[16:17], 0
	global_store_byte v[8:9], v2, off
.LBB151_264:
	s_mov_b64 s[20:21], 0
.LBB151_265:
	s_and_b64 vcc, exec, s[20:21]
	s_cbranch_vccz .LBB151_268
; %bb.266:
	s_cmp_eq_u32 s22, 29
	s_mov_b64 s[16:17], -1
	s_cbranch_scc0 .LBB151_268
; %bb.267:
	global_store_dwordx2 v[8:9], v[6:7], off
	s_mov_b64 s[18:19], -1
	s_mov_b64 s[16:17], 0
.LBB151_268:
	s_mov_b64 s[20:21], 0
.LBB151_269:
	s_and_b64 vcc, exec, s[20:21]
	s_cbranch_vccz .LBB151_282
; %bb.270:
	s_cmp_lt_i32 s22, 27
	s_mov_b64 s[18:19], -1
	s_cbranch_scc1 .LBB151_276
; %bb.271:
	s_cmp_gt_i32 s22, 27
	s_cbranch_scc0 .LBB151_273
; %bb.272:
	s_mov_b64 s[18:19], 0
	global_store_dword v[8:9], v25, off
.LBB151_273:
	s_andn2_b64 vcc, exec, s[18:19]
	s_cbranch_vccnz .LBB151_275
; %bb.274:
	global_store_short v[8:9], v25, off
.LBB151_275:
	s_mov_b64 s[18:19], 0
.LBB151_276:
	s_andn2_b64 vcc, exec, s[18:19]
	s_cbranch_vccnz .LBB151_281
; %bb.277:
	s_andn2_b64 vcc, exec, s[14:15]
	v_mov_b32_e32 v2, 0x80
	s_cbranch_vccnz .LBB151_280
; %bb.278:
	s_or_b64 s[18:19], s[12:13], s[48:49]
	s_andn2_b64 vcc, exec, s[18:19]
	v_mov_b32_e32 v2, 0
	s_cbranch_vccnz .LBB151_280
; %bb.279:
	v_cndmask_b32_e64 v2, v24, v23, s[12:13]
.LBB151_280:
	global_store_byte v[8:9], v2, off
.LBB151_281:
	s_mov_b64 s[18:19], -1
.LBB151_282:
	s_mov_b64 s[20:21], 0
.LBB151_283:
	s_and_b64 vcc, exec, s[20:21]
	s_cbranch_vccz .LBB151_305
; %bb.284:
	s_cmp_gt_i32 s22, 22
	s_mov_b64 s[20:21], -1
	s_cbranch_scc0 .LBB151_297
; %bb.285:
	s_cmp_lt_i32 s22, 24
	s_mov_b64 s[18:19], -1
	s_cbranch_scc1 .LBB151_294
; %bb.286:
	s_cmp_gt_i32 s22, 24
	s_cbranch_scc0 .LBB151_291
; %bb.287:
	s_andn2_b64 vcc, exec, s[4:5]
	v_mov_b32_e32 v2, 0x80
	s_cbranch_vccnz .LBB151_290
; %bb.288:
	s_or_b64 s[18:19], s[2:3], s[46:47]
	s_andn2_b64 vcc, exec, s[18:19]
	v_mov_b32_e32 v2, 0
	s_cbranch_vccnz .LBB151_290
; %bb.289:
	v_cndmask_b32_e64 v2, v21, v20, s[2:3]
.LBB151_290:
	s_mov_b64 s[18:19], 0
	global_store_byte v[8:9], v2, off
.LBB151_291:
	s_and_b64 vcc, exec, s[18:19]
	s_cbranch_vccz .LBB151_293
; %bb.292:
	v_cndmask_b32_e64 v2, v16, v22, s[10:11]
	v_cndmask_b32_e64 v2, v2, v17, s[8:9]
	global_store_byte v[8:9], v2, off
.LBB151_293:
	s_mov_b64 s[18:19], 0
.LBB151_294:
	s_andn2_b64 vcc, exec, s[18:19]
	s_cbranch_vccnz .LBB151_296
; %bb.295:
	v_cndmask_b32_e64 v2, v18, v19, s[6:7]
	v_cndmask_b32_e64 v2, v2, v15, s[0:1]
	global_store_byte v[8:9], v2, off
.LBB151_296:
	s_mov_b64 s[20:21], 0
	s_mov_b64 s[18:19], -1
.LBB151_297:
	s_andn2_b64 vcc, exec, s[20:21]
	s_cbranch_vccnz .LBB151_305
; %bb.298:
	s_cmp_gt_i32 s22, 14
	s_mov_b64 s[20:21], -1
	s_cbranch_scc0 .LBB151_302
; %bb.299:
	s_cmp_eq_u32 s22, 15
	s_mov_b64 s[16:17], -1
	s_cbranch_scc0 .LBB151_301
; %bb.300:
	global_store_short v[8:9], v14, off
	s_mov_b64 s[18:19], -1
	s_mov_b64 s[16:17], 0
.LBB151_301:
	s_mov_b64 s[20:21], 0
.LBB151_302:
	s_and_b64 vcc, exec, s[20:21]
	s_cbranch_vccz .LBB151_305
; %bb.303:
	s_cmp_eq_u32 s22, 11
	s_mov_b64 s[16:17], -1
	s_cbranch_scc0 .LBB151_305
; %bb.304:
	v_mov_b32_e32 v2, 1
	s_mov_b64 s[18:19], -1
	s_mov_b64 s[16:17], 0
	global_store_byte v[8:9], v2, off
.LBB151_305:
	s_mov_b64 s[20:21], 0
.LBB151_306:
	s_and_b64 vcc, exec, s[20:21]
	s_cbranch_vccz .LBB151_345
; %bb.307:
	s_cmp_lt_i32 s22, 5
	s_mov_b64 s[18:19], -1
	s_cbranch_scc1 .LBB151_328
; %bb.308:
	s_cmp_lt_i32 s22, 8
	s_cbranch_scc1 .LBB151_318
; %bb.309:
	s_cmp_lt_i32 s22, 9
	s_cbranch_scc1 .LBB151_315
; %bb.310:
	s_cmp_gt_i32 s22, 9
	s_cbranch_scc0 .LBB151_312
; %bb.311:
	v_mov_b32_e32 v2, 0
	v_mov_b32_e32 v3, v2
	s_mov_b64 s[18:19], 0
	global_store_dwordx4 v[8:9], v[0:3], off
.LBB151_312:
	s_andn2_b64 vcc, exec, s[18:19]
	s_cbranch_vccnz .LBB151_314
; %bb.313:
	v_mov_b32_e32 v2, s78
	v_mov_b32_e32 v3, 0
	global_store_dwordx2 v[8:9], v[2:3], off
.LBB151_314:
	s_mov_b64 s[18:19], 0
.LBB151_315:
	s_andn2_b64 vcc, exec, s[18:19]
	s_cbranch_vccnz .LBB151_317
; %bb.316:
	global_store_dword v[8:9], v12, off
.LBB151_317:
	s_mov_b64 s[18:19], 0
.LBB151_318:
	s_andn2_b64 vcc, exec, s[18:19]
	s_cbranch_vccnz .LBB151_327
; %bb.319:
	s_cmp_lt_i32 s22, 6
	s_mov_b64 s[18:19], -1
	s_cbranch_scc1 .LBB151_325
; %bb.320:
	s_cmp_gt_i32 s22, 6
	s_cbranch_scc0 .LBB151_322
; %bb.321:
	s_mov_b64 s[18:19], 0
	global_store_dwordx2 v[8:9], v[0:1], off
.LBB151_322:
	s_andn2_b64 vcc, exec, s[18:19]
	s_cbranch_vccnz .LBB151_324
; %bb.323:
	global_store_dword v[8:9], v13, off
.LBB151_324:
	s_mov_b64 s[18:19], 0
.LBB151_325:
	s_andn2_b64 vcc, exec, s[18:19]
	s_cbranch_vccnz .LBB151_327
; %bb.326:
	global_store_short v[8:9], v12, off
.LBB151_327:
	s_mov_b64 s[18:19], 0
.LBB151_328:
	s_andn2_b64 vcc, exec, s[18:19]
	s_cbranch_vccnz .LBB151_344
; %bb.329:
	s_cmp_lt_i32 s22, 2
	s_mov_b64 s[18:19], -1
	s_cbranch_scc1 .LBB151_339
; %bb.330:
	s_cmp_lt_i32 s22, 3
	s_cbranch_scc1 .LBB151_336
; %bb.331:
	s_cmp_gt_i32 s22, 3
	s_cbranch_scc0 .LBB151_333
; %bb.332:
	s_mov_b64 s[18:19], 0
	global_store_dwordx2 v[8:9], v[4:5], off
.LBB151_333:
	s_andn2_b64 vcc, exec, s[18:19]
	s_cbranch_vccnz .LBB151_335
; %bb.334:
	global_store_dword v[8:9], v10, off
.LBB151_335:
	s_mov_b64 s[18:19], 0
.LBB151_336:
	s_andn2_b64 vcc, exec, s[18:19]
	s_cbranch_vccnz .LBB151_338
; %bb.337:
	global_store_short v[8:9], v10, off
.LBB151_338:
	s_mov_b64 s[18:19], 0
.LBB151_339:
	s_andn2_b64 vcc, exec, s[18:19]
	s_cbranch_vccnz .LBB151_344
; %bb.340:
	s_cmp_gt_i32 s22, 0
	s_mov_b64 s[18:19], -1
	s_cbranch_scc0 .LBB151_342
; %bb.341:
	s_mov_b64 s[18:19], 0
	global_store_byte v[8:9], v10, off
.LBB151_342:
	s_andn2_b64 vcc, exec, s[18:19]
	s_cbranch_vccnz .LBB151_344
; %bb.343:
	global_store_byte v[8:9], v4, off
.LBB151_344:
	s_mov_b64 s[18:19], -1
.LBB151_345:
	s_andn2_b64 vcc, exec, s[18:19]
	s_cbranch_vccnz .LBB151_347
; %bb.346:
	v_add_u32_e32 v11, 0x80, v11
	s_mov_b64 s[18:19], -1
	s_branch .LBB151_348
.LBB151_347:
	s_mov_b64 s[18:19], 0
                                        ; implicit-def: $vgpr11
.LBB151_348:
	s_andn2_b64 s[20:21], s[66:67], exec
	s_and_b64 s[16:17], s[16:17], exec
	s_or_b64 s[72:73], s[20:21], s[16:17]
	s_orn2_b64 s[18:19], s[18:19], exec
.LBB151_349:
	s_or_b64 exec, exec, s[70:71]
	s_mov_b64 s[16:17], 0
	s_mov_b64 s[22:23], 0
                                        ; implicit-def: $vgpr8_vgpr9
	s_and_saveexec_b64 s[70:71], s[18:19]
	s_cbranch_execz .LBB151_420
; %bb.350:
	v_cmp_gt_i32_e32 vcc, s80, v11
	s_mov_b64 s[18:19], 0
	s_mov_b64 s[20:21], s[72:73]
                                        ; implicit-def: $vgpr8_vgpr9
	s_and_saveexec_b64 s[74:75], vcc
	s_cbranch_execz .LBB151_419
; %bb.351:
	s_andn2_b64 vcc, exec, s[42:43]
	s_cbranch_vccnz .LBB151_356
; %bb.352:
	s_andn2_b64 vcc, exec, s[60:61]
	s_cbranch_vccnz .LBB151_357
; %bb.353:
	s_add_i32 s81, s81, 1
	s_cmp_eq_u32 s76, 2
	s_cbranch_scc1 .LBB151_358
; %bb.354:
	s_and_b32 s80, s81, 28
	s_mov_b32 s82, 0
	v_mov_b32_e32 v2, 0
	s_mov_b64 s[60:61], s[34:35]
	v_mov_b32_e32 v3, v11
.LBB151_355:                            ; =>This Inner Loop Header: Depth=1
	s_load_dwordx8 s[16:23], s[60:61], 0x4
	s_load_dwordx4 s[28:31], s[60:61], 0x24
	s_load_dwordx4 s[36:39], s[58:59], 0x0
	s_add_u32 s60, s60, 48
	s_addc_u32 s61, s61, 0
	s_waitcnt lgkmcnt(0)
	v_mul_hi_u32 v8, s17, v3
	s_add_i32 s82, s82, 4
	s_add_u32 s58, s58, 16
	s_addc_u32 s59, s59, 0
	v_add_u32_e32 v8, v3, v8
	v_lshrrev_b32_e32 v8, s18, v8
	v_mul_lo_u32 v9, v8, s16
	v_mul_hi_u32 v26, s20, v8
	s_cmp_eq_u32 s80, s82
	v_sub_u32_e32 v3, v3, v9
	v_add_u32_e32 v9, v8, v26
	v_lshrrev_b32_e32 v9, s21, v9
	v_mul_lo_u32 v26, v3, s36
	v_mul_hi_u32 v3, s23, v9
	v_mul_lo_u32 v28, v9, s19
	v_add_u32_e32 v3, v9, v3
	v_lshrrev_b32_e32 v27, s28, v3
	v_mul_hi_u32 v3, s30, v27
	v_sub_u32_e32 v8, v8, v28
	v_mul_lo_u32 v28, v27, s22
	v_mul_lo_u32 v8, v8, s37
	v_add_u32_e32 v3, v27, v3
	v_lshrrev_b32_e32 v3, s31, v3
	v_mul_lo_u32 v29, v3, s29
	v_sub_u32_e32 v9, v9, v28
	v_mul_lo_u32 v9, v9, s38
	v_add3_u32 v2, v26, v2, v8
	v_sub_u32_e32 v27, v27, v29
	v_mul_lo_u32 v27, v27, s39
	v_add3_u32 v2, v9, v2, v27
	s_cbranch_scc0 .LBB151_355
	s_branch .LBB151_359
.LBB151_356:
	s_mov_b64 s[16:17], -1
                                        ; implicit-def: $vgpr2
	s_branch .LBB151_363
.LBB151_357:
	v_mov_b32_e32 v2, 0
	s_branch .LBB151_362
.LBB151_358:
	v_mov_b32_e32 v2, 0
	s_mov_b32 s80, 0
	v_mov_b32_e32 v3, v11
.LBB151_359:
	s_and_b32 s20, s81, 3
	s_cmp_eq_u32 s20, 0
	s_cbranch_scc1 .LBB151_362
; %bb.360:
	s_lshl_b32 s16, s80, 2
	s_add_u32 s16, s34, s16
	s_addc_u32 s17, s35, 0
	s_add_u32 s16, s16, 0xc4
	s_addc_u32 s17, s17, 0
	s_mul_i32 s18, s80, 12
	s_add_u32 s18, s34, s18
	s_addc_u32 s19, s35, 0
.LBB151_361:                            ; =>This Inner Loop Header: Depth=1
	s_load_dwordx2 s[22:23], s[18:19], 0x4
	s_load_dword s21, s[18:19], 0xc
	s_add_u32 s18, s18, 12
	s_addc_u32 s19, s19, 0
	s_waitcnt lgkmcnt(0)
	v_mul_hi_u32 v8, s23, v3
	s_load_dword s23, s[16:17], 0x0
	s_add_u32 s16, s16, 4
	s_addc_u32 s17, s17, 0
	v_add_u32_e32 v8, v3, v8
	v_lshrrev_b32_e32 v8, s21, v8
	v_mul_lo_u32 v9, v8, s22
	s_add_i32 s20, s20, -1
	s_cmp_lg_u32 s20, 0
	v_sub_u32_e32 v3, v3, v9
	s_waitcnt lgkmcnt(0)
	v_mad_u64_u32 v[2:3], s[22:23], v3, s23, v[2:3]
	v_mov_b32_e32 v3, v8
	s_cbranch_scc1 .LBB151_361
.LBB151_362:
	s_mov_b64 s[16:17], 0
.LBB151_363:
	s_andn2_b64 vcc, exec, s[16:17]
	s_cbranch_vccnz .LBB151_366
; %bb.364:
	s_waitcnt lgkmcnt(0)
	v_mul_hi_u32 v2, s25, v11
	s_andn2_b64 vcc, exec, s[56:57]
	v_add_u32_e32 v2, v11, v2
	v_lshrrev_b32_e32 v3, s26, v2
	v_mul_lo_u32 v2, v3, s24
	v_sub_u32_e32 v2, v11, v2
	v_mul_lo_u32 v2, v2, s52
	s_cbranch_vccnz .LBB151_366
; %bb.365:
	v_mul_hi_u32 v8, s54, v3
	v_add_u32_e32 v8, v3, v8
	v_lshrrev_b32_e32 v8, s55, v8
	v_mul_lo_u32 v8, v8, s27
	v_sub_u32_e32 v3, v3, v8
	v_mad_u64_u32 v[2:3], s[16:17], v3, s53, v[2:3]
.LBB151_366:
	v_mov_b32_e32 v3, s51
	s_and_b32 s20, 0xffff, s77
	v_add_co_u32_e32 v8, vcc, s50, v2
	s_cmp_lt_i32 s20, 11
	v_addc_co_u32_e32 v9, vcc, 0, v3, vcc
	s_cbranch_scc1 .LBB151_416
; %bb.367:
	s_mov_b64 s[18:19], -1
	s_cmp_gt_i32 s20, 25
	s_mov_b64 s[16:17], s[72:73]
	s_cbranch_scc0 .LBB151_395
; %bb.368:
	s_cmp_gt_i32 s20, 28
	s_mov_b64 s[16:17], s[72:73]
	s_cbranch_scc0 .LBB151_382
; %bb.369:
	;; [unrolled: 4-line block ×4, first 2 shown]
	s_cmp_eq_u32 s20, 46
	s_mov_b64 s[16:17], -1
	s_cbranch_scc0 .LBB151_373
; %bb.372:
	global_store_dword v[8:9], v14, off
	s_mov_b64 s[16:17], 0
.LBB151_373:
	s_mov_b64 s[18:19], 0
.LBB151_374:
	s_and_b64 vcc, exec, s[18:19]
	s_cbranch_vccz .LBB151_377
; %bb.375:
	s_cmp_eq_u32 s20, 44
	s_mov_b64 s[16:17], -1
	s_cbranch_scc0 .LBB151_377
; %bb.376:
	v_mov_b32_e32 v2, s79
	global_store_byte v[8:9], v2, off
	s_mov_b64 s[16:17], 0
.LBB151_377:
	s_mov_b64 s[18:19], 0
.LBB151_378:
	s_and_b64 vcc, exec, s[18:19]
	s_cbranch_vccz .LBB151_381
; %bb.379:
	s_cmp_eq_u32 s20, 29
	s_mov_b64 s[16:17], -1
	s_cbranch_scc0 .LBB151_381
; %bb.380:
	global_store_dwordx2 v[8:9], v[6:7], off
	s_mov_b64 s[16:17], 0
.LBB151_381:
	s_mov_b64 s[18:19], 0
.LBB151_382:
	s_and_b64 vcc, exec, s[18:19]
	s_cbranch_vccz .LBB151_394
; %bb.383:
	s_cmp_lt_i32 s20, 27
	s_mov_b64 s[18:19], -1
	s_cbranch_scc1 .LBB151_389
; %bb.384:
	s_cmp_gt_i32 s20, 27
	s_cbranch_scc0 .LBB151_386
; %bb.385:
	s_mov_b64 s[18:19], 0
	global_store_dword v[8:9], v25, off
.LBB151_386:
	s_andn2_b64 vcc, exec, s[18:19]
	s_cbranch_vccnz .LBB151_388
; %bb.387:
	global_store_short v[8:9], v25, off
.LBB151_388:
	s_mov_b64 s[18:19], 0
.LBB151_389:
	s_andn2_b64 vcc, exec, s[18:19]
	s_cbranch_vccnz .LBB151_394
; %bb.390:
	s_andn2_b64 vcc, exec, s[14:15]
	v_mov_b32_e32 v2, 0x80
	s_cbranch_vccnz .LBB151_393
; %bb.391:
	s_or_b64 s[14:15], s[12:13], s[48:49]
	s_andn2_b64 vcc, exec, s[14:15]
	v_mov_b32_e32 v2, 0
	s_cbranch_vccnz .LBB151_393
; %bb.392:
	v_cndmask_b32_e64 v2, v24, v23, s[12:13]
.LBB151_393:
	global_store_byte v[8:9], v2, off
.LBB151_394:
	s_mov_b64 s[18:19], 0
.LBB151_395:
	s_mov_b64 s[12:13], 0
	s_and_b64 vcc, exec, s[18:19]
	s_cbranch_vccz .LBB151_417
; %bb.396:
	s_cmp_gt_i32 s20, 22
	s_mov_b64 s[14:15], -1
	s_cbranch_scc0 .LBB151_409
; %bb.397:
	s_cmp_lt_i32 s20, 24
	s_cbranch_scc1 .LBB151_406
; %bb.398:
	s_cmp_gt_i32 s20, 24
	s_cbranch_scc0 .LBB151_403
; %bb.399:
	s_andn2_b64 vcc, exec, s[4:5]
	v_mov_b32_e32 v2, 0x80
	s_cbranch_vccnz .LBB151_402
; %bb.400:
	s_or_b64 s[4:5], s[2:3], s[46:47]
	s_andn2_b64 vcc, exec, s[4:5]
	v_mov_b32_e32 v2, 0
	s_cbranch_vccnz .LBB151_402
; %bb.401:
	v_cndmask_b32_e64 v2, v21, v20, s[2:3]
.LBB151_402:
	s_mov_b64 s[14:15], 0
	global_store_byte v[8:9], v2, off
.LBB151_403:
	s_and_b64 vcc, exec, s[14:15]
	s_cbranch_vccz .LBB151_405
; %bb.404:
	v_cndmask_b32_e64 v2, v16, v22, s[10:11]
	v_cndmask_b32_e64 v2, v2, v17, s[8:9]
	global_store_byte v[8:9], v2, off
.LBB151_405:
	s_mov_b64 s[14:15], 0
.LBB151_406:
	s_andn2_b64 vcc, exec, s[14:15]
	s_cbranch_vccnz .LBB151_408
; %bb.407:
	v_cndmask_b32_e64 v2, v18, v19, s[6:7]
	v_cndmask_b32_e64 v2, v2, v15, s[0:1]
	global_store_byte v[8:9], v2, off
.LBB151_408:
	s_mov_b64 s[14:15], 0
.LBB151_409:
	s_andn2_b64 vcc, exec, s[14:15]
	s_mov_b64 s[0:1], 0
	s_cbranch_vccnz .LBB151_418
; %bb.410:
	s_cmp_gt_i32 s20, 14
	s_mov_b64 s[2:3], -1
	s_cbranch_scc0 .LBB151_414
; %bb.411:
	s_cmp_eq_u32 s20, 15
	s_mov_b64 s[16:17], -1
	s_cbranch_scc0 .LBB151_413
; %bb.412:
	global_store_short v[8:9], v14, off
	s_mov_b64 s[16:17], 0
.LBB151_413:
	s_mov_b64 s[2:3], 0
.LBB151_414:
	s_and_b64 vcc, exec, s[2:3]
	s_cbranch_vccz .LBB151_418
; %bb.415:
	s_cmp_lg_u32 s20, 11
	s_cselect_b64 s[2:3], -1, 0
	s_andn2_b64 s[4:5], s[16:17], exec
	s_and_b64 s[2:3], s[2:3], exec
	s_mov_b64 s[0:1], -1
	s_or_b64 s[16:17], s[4:5], s[2:3]
	s_branch .LBB151_418
.LBB151_416:
	s_mov_b64 s[0:1], 0
	s_mov_b64 s[12:13], -1
	s_mov_b64 s[16:17], s[72:73]
	s_branch .LBB151_418
.LBB151_417:
	s_mov_b64 s[0:1], 0
.LBB151_418:
	s_and_b64 s[18:19], s[0:1], exec
	s_andn2_b64 s[0:1], s[72:73], exec
	s_and_b64 s[2:3], s[16:17], exec
	s_and_b64 s[22:23], s[12:13], exec
	s_or_b64 s[20:21], s[0:1], s[2:3]
.LBB151_419:
	s_or_b64 exec, exec, s[74:75]
	s_andn2_b64 s[0:1], s[72:73], exec
	s_and_b64 s[2:3], s[20:21], exec
	s_and_b64 s[22:23], s[22:23], exec
	;; [unrolled: 1-line block ×3, first 2 shown]
	s_or_b64 s[72:73], s[0:1], s[2:3]
.LBB151_420:
	s_or_b64 exec, exec, s[70:71]
	s_andn2_b64 s[0:1], s[66:67], exec
	s_and_b64 s[2:3], s[72:73], exec
	s_and_b64 s[20:21], s[22:23], exec
	;; [unrolled: 1-line block ×3, first 2 shown]
	s_or_b64 s[66:67], s[0:1], s[2:3]
.LBB151_421:
	s_or_b64 exec, exec, s[68:69]
	s_andn2_b64 s[0:1], s[62:63], exec
	s_and_b64 s[2:3], s[66:67], exec
	s_and_b64 s[16:17], s[20:21], exec
	;; [unrolled: 1-line block ×3, first 2 shown]
	s_or_b64 s[62:63], s[0:1], s[2:3]
	s_or_b64 exec, exec, s[64:65]
	s_mov_b64 s[0:1], 0
	s_and_saveexec_b64 s[2:3], s[62:63]
	s_cbranch_execz .LBB151_122
.LBB151_422:
	s_mov_b64 s[0:1], exec
	s_andn2_b64 s[68:69], s[68:69], exec
	s_trap 2
	s_or_b64 exec, exec, s[2:3]
	s_and_saveexec_b64 s[2:3], s[68:69]
	s_xor_b64 s[2:3], exec, s[2:3]
	s_cbranch_execnz .LBB151_123
.LBB151_423:
	s_or_b64 exec, exec, s[2:3]
	s_and_saveexec_b64 s[2:3], s[16:17]
	s_xor_b64 s[2:3], exec, s[2:3]
	s_cbranch_execz .LBB151_461
.LBB151_424:
	s_sext_i32_i16 s6, s77
	s_cmp_lt_i32 s6, 5
	s_mov_b64 s[4:5], -1
	s_cbranch_scc1 .LBB151_445
; %bb.425:
	s_cmp_lt_i32 s6, 8
	s_cbranch_scc1 .LBB151_435
; %bb.426:
	s_cmp_lt_i32 s6, 9
	s_cbranch_scc1 .LBB151_432
; %bb.427:
	s_cmp_gt_i32 s6, 9
	s_cbranch_scc0 .LBB151_429
; %bb.428:
	v_mov_b32_e32 v2, 0
	v_mov_b32_e32 v3, v2
	s_mov_b64 s[4:5], 0
	global_store_dwordx4 v[8:9], v[0:3], off
.LBB151_429:
	s_andn2_b64 vcc, exec, s[4:5]
	s_cbranch_vccnz .LBB151_431
; %bb.430:
	v_mov_b32_e32 v2, s78
	v_mov_b32_e32 v3, 0
	global_store_dwordx2 v[8:9], v[2:3], off
.LBB151_431:
	s_mov_b64 s[4:5], 0
.LBB151_432:
	s_andn2_b64 vcc, exec, s[4:5]
	s_cbranch_vccnz .LBB151_434
; %bb.433:
	global_store_dword v[8:9], v12, off
.LBB151_434:
	s_mov_b64 s[4:5], 0
.LBB151_435:
	s_andn2_b64 vcc, exec, s[4:5]
	s_cbranch_vccnz .LBB151_444
; %bb.436:
	s_sext_i32_i16 s6, s77
	s_cmp_lt_i32 s6, 6
	s_mov_b64 s[4:5], -1
	s_cbranch_scc1 .LBB151_442
; %bb.437:
	s_cmp_gt_i32 s6, 6
	s_cbranch_scc0 .LBB151_439
; %bb.438:
	s_mov_b64 s[4:5], 0
	global_store_dwordx2 v[8:9], v[0:1], off
.LBB151_439:
	s_andn2_b64 vcc, exec, s[4:5]
	s_cbranch_vccnz .LBB151_441
; %bb.440:
	global_store_dword v[8:9], v13, off
.LBB151_441:
	s_mov_b64 s[4:5], 0
.LBB151_442:
	s_andn2_b64 vcc, exec, s[4:5]
	s_cbranch_vccnz .LBB151_444
; %bb.443:
	global_store_short v[8:9], v12, off
.LBB151_444:
	s_mov_b64 s[4:5], 0
.LBB151_445:
	s_andn2_b64 vcc, exec, s[4:5]
	s_cbranch_vccnz .LBB151_461
; %bb.446:
	s_sext_i32_i16 s6, s77
	s_cmp_lt_i32 s6, 2
	s_mov_b64 s[4:5], -1
	s_cbranch_scc1 .LBB151_456
; %bb.447:
	s_cmp_lt_i32 s6, 3
	s_cbranch_scc1 .LBB151_453
; %bb.448:
	s_cmp_gt_i32 s6, 3
	s_cbranch_scc0 .LBB151_450
; %bb.449:
	s_mov_b64 s[4:5], 0
	global_store_dwordx2 v[8:9], v[4:5], off
.LBB151_450:
	s_andn2_b64 vcc, exec, s[4:5]
	s_cbranch_vccnz .LBB151_452
; %bb.451:
	global_store_dword v[8:9], v10, off
.LBB151_452:
	s_mov_b64 s[4:5], 0
.LBB151_453:
	s_andn2_b64 vcc, exec, s[4:5]
	s_cbranch_vccnz .LBB151_455
; %bb.454:
	global_store_short v[8:9], v10, off
.LBB151_455:
	s_mov_b64 s[4:5], 0
.LBB151_456:
	s_andn2_b64 vcc, exec, s[4:5]
	s_cbranch_vccnz .LBB151_461
; %bb.457:
	s_sext_i32_i16 s4, s77
	s_cmp_gt_i32 s4, 0
	s_mov_b64 s[4:5], -1
	s_cbranch_scc0 .LBB151_459
; %bb.458:
	s_mov_b64 s[4:5], 0
	global_store_byte v[8:9], v10, off
.LBB151_459:
	s_andn2_b64 vcc, exec, s[4:5]
	s_cbranch_vccnz .LBB151_461
; %bb.460:
	global_store_byte v[8:9], v4, off
.LBB151_461:
	s_or_b64 exec, exec, s[2:3]
	s_and_b64 s[20:21], s[0:1], exec
                                        ; implicit-def: $vgpr8
                                        ; implicit-def: $vgpr11
.LBB151_462:
	s_or_saveexec_b64 s[22:23], s[44:45]
	s_mov_b64 s[2:3], 0
                                        ; implicit-def: $sgpr13
                                        ; implicit-def: $vgpr0_vgpr1
                                        ; implicit-def: $sgpr12
	s_xor_b64 exec, exec, s[22:23]
	s_cbranch_execz .LBB151_937
; %bb.463:
	v_cndmask_b32_e64 v0, 0, 1, s[42:43]
	v_cmp_ne_u32_e64 s[0:1], 1, v0
	s_andn2_b64 vcc, exec, s[42:43]
	s_cbranch_vccnz .LBB151_469
; %bb.464:
	s_cmp_lg_u32 s33, 0
	s_waitcnt lgkmcnt(0)
	s_mov_b32 s26, 0
	s_cbranch_scc0 .LBB151_470
; %bb.465:
	s_min_u32 s27, s76, 15
	s_add_i32 s27, s27, 1
	s_cmp_eq_u32 s76, 2
	s_cbranch_scc1 .LBB151_471
; %bb.466:
	s_and_b32 s26, s27, 28
	s_add_u32 s2, s34, 0xc4
	s_addc_u32 s3, s35, 0
	s_mov_b32 s28, 0
	v_mov_b32_e32 v6, 0
	s_mov_b64 s[24:25], s[34:35]
	v_mov_b32_e32 v0, v11
.LBB151_467:                            ; =>This Inner Loop Header: Depth=1
	s_load_dwordx8 s[4:11], s[24:25], 0x4
	s_load_dwordx4 s[12:15], s[24:25], 0x24
	s_load_dwordx4 s[16:19], s[2:3], 0x0
	s_add_u32 s24, s24, 48
	s_addc_u32 s25, s25, 0
	s_waitcnt lgkmcnt(0)
	v_mul_hi_u32 v1, s5, v0
	s_add_i32 s28, s28, 4
	s_add_u32 s2, s2, 16
	s_addc_u32 s3, s3, 0
	v_add_u32_e32 v1, v0, v1
	v_lshrrev_b32_e32 v1, s6, v1
	v_mul_lo_u32 v2, v1, s4
	v_mul_hi_u32 v3, s8, v1
	s_cmp_lg_u32 s26, s28
	v_sub_u32_e32 v0, v0, v2
	v_add_u32_e32 v2, v1, v3
	v_lshrrev_b32_e32 v2, s9, v2
	v_mul_lo_u32 v3, v0, s16
	v_mul_hi_u32 v0, s11, v2
	v_mul_lo_u32 v5, v2, s7
	v_add_u32_e32 v0, v2, v0
	v_lshrrev_b32_e32 v4, s12, v0
	v_mul_hi_u32 v0, s14, v4
	v_sub_u32_e32 v1, v1, v5
	v_mul_lo_u32 v5, v4, s10
	v_mul_lo_u32 v1, v1, s17
	v_add_u32_e32 v0, v4, v0
	v_lshrrev_b32_e32 v0, s15, v0
	v_mul_lo_u32 v7, v0, s13
	v_sub_u32_e32 v2, v2, v5
	v_mul_lo_u32 v2, v2, s18
	v_add3_u32 v1, v3, v6, v1
	v_sub_u32_e32 v4, v4, v7
	v_mul_lo_u32 v4, v4, s19
	v_add3_u32 v6, v2, v1, v4
	s_cbranch_scc1 .LBB151_467
; %bb.468:
	s_and_b32 s6, s27, 3
	s_cmp_eq_u32 s6, 0
	s_cbranch_scc0 .LBB151_472
	s_branch .LBB151_474
.LBB151_469:
                                        ; implicit-def: $vgpr6
	s_branch .LBB151_475
.LBB151_470:
	v_mov_b32_e32 v6, 0
	s_branch .LBB151_474
.LBB151_471:
	v_mov_b32_e32 v6, 0
	v_mov_b32_e32 v0, v11
	s_and_b32 s6, s27, 3
	s_cmp_eq_u32 s6, 0
	s_cbranch_scc1 .LBB151_474
.LBB151_472:
	s_lshl_b32 s2, s26, 2
	s_add_u32 s2, s34, s2
	s_addc_u32 s3, s35, 0
	s_add_u32 s2, s2, 0xc4
	s_addc_u32 s3, s3, 0
	s_mul_i32 s4, s26, 12
	s_add_u32 s4, s34, s4
	s_addc_u32 s5, s35, 0
.LBB151_473:                            ; =>This Inner Loop Header: Depth=1
	s_load_dwordx2 s[8:9], s[4:5], 0x4
	s_load_dword s7, s[4:5], 0xc
	s_add_u32 s4, s4, 12
	s_addc_u32 s5, s5, 0
	s_waitcnt lgkmcnt(0)
	v_mul_hi_u32 v1, s9, v0
	s_load_dword s9, s[2:3], 0x0
	s_add_u32 s2, s2, 4
	s_addc_u32 s3, s3, 0
	v_add_u32_e32 v1, v0, v1
	v_lshrrev_b32_e32 v1, s7, v1
	v_mul_lo_u32 v2, v1, s8
	s_add_i32 s6, s6, -1
	s_cmp_lg_u32 s6, 0
	v_sub_u32_e32 v0, v0, v2
	s_waitcnt lgkmcnt(0)
	v_mad_u64_u32 v[6:7], s[8:9], v0, s9, v[6:7]
	v_mov_b32_e32 v0, v1
	s_cbranch_scc1 .LBB151_473
.LBB151_474:
	s_cbranch_execnz .LBB151_477
.LBB151_475:
	s_load_dwordx4 s[4:7], s[34:35], 0x4
	s_load_dword s2, s[34:35], 0xc4
	s_cmp_lt_u32 s33, 2
	s_waitcnt lgkmcnt(0)
	v_mul_hi_u32 v0, s5, v11
	v_add_u32_e32 v0, v11, v0
	v_lshrrev_b32_e32 v0, s6, v0
	v_mul_lo_u32 v1, v0, s4
	v_sub_u32_e32 v1, v11, v1
	v_mul_lo_u32 v6, v1, s2
	s_cbranch_scc1 .LBB151_477
; %bb.476:
	s_load_dwordx4 s[4:7], s[34:35], 0x10
	s_load_dword s2, s[34:35], 0xc8
	s_waitcnt lgkmcnt(0)
	v_mul_hi_u32 v1, s5, v0
	v_add_u32_e32 v1, v0, v1
	v_lshrrev_b32_e32 v1, s6, v1
	v_mul_lo_u32 v1, v1, s4
	v_sub_u32_e32 v0, v0, v1
	v_mad_u64_u32 v[6:7], s[2:3], v0, s2, v[6:7]
.LBB151_477:
	s_and_b64 vcc, exec, s[0:1]
	v_add_u32_e32 v0, 0x80, v11
	s_cbranch_vccnz .LBB151_483
; %bb.478:
	s_cmp_lg_u32 s33, 0
	s_waitcnt lgkmcnt(0)
	s_mov_b32 s26, 0
	s_cbranch_scc0 .LBB151_484
; %bb.479:
	s_min_u32 s27, s76, 15
	s_add_i32 s27, s27, 1
	s_cmp_eq_u32 s76, 2
	s_cbranch_scc1 .LBB151_485
; %bb.480:
	s_and_b32 s26, s27, 28
	s_add_u32 s2, s34, 0xc4
	s_addc_u32 s3, s35, 0
	s_mov_b32 s28, 0
	v_mov_b32_e32 v4, 0
	s_mov_b64 s[24:25], s[34:35]
	v_mov_b32_e32 v1, v0
.LBB151_481:                            ; =>This Inner Loop Header: Depth=1
	s_load_dwordx8 s[4:11], s[24:25], 0x4
	s_load_dwordx4 s[12:15], s[24:25], 0x24
	s_load_dwordx4 s[16:19], s[2:3], 0x0
	s_add_u32 s24, s24, 48
	s_addc_u32 s25, s25, 0
	s_waitcnt lgkmcnt(0)
	v_mul_hi_u32 v2, s5, v1
	s_add_i32 s28, s28, 4
	s_add_u32 s2, s2, 16
	s_addc_u32 s3, s3, 0
	v_add_u32_e32 v2, v1, v2
	v_lshrrev_b32_e32 v2, s6, v2
	v_mul_lo_u32 v3, v2, s4
	v_mul_hi_u32 v5, s8, v2
	s_cmp_lg_u32 s26, s28
	v_sub_u32_e32 v1, v1, v3
	v_add_u32_e32 v3, v2, v5
	v_lshrrev_b32_e32 v3, s9, v3
	v_mul_lo_u32 v5, v1, s16
	v_mul_hi_u32 v1, s11, v3
	v_mul_lo_u32 v9, v3, s7
	v_add_u32_e32 v1, v3, v1
	v_lshrrev_b32_e32 v7, s12, v1
	v_mul_hi_u32 v1, s14, v7
	v_sub_u32_e32 v2, v2, v9
	v_mul_lo_u32 v9, v7, s10
	v_mul_lo_u32 v2, v2, s17
	v_add_u32_e32 v1, v7, v1
	v_lshrrev_b32_e32 v1, s15, v1
	v_mul_lo_u32 v10, v1, s13
	v_sub_u32_e32 v3, v3, v9
	v_mul_lo_u32 v3, v3, s18
	v_add3_u32 v2, v5, v4, v2
	v_sub_u32_e32 v7, v7, v10
	v_mul_lo_u32 v7, v7, s19
	v_add3_u32 v4, v3, v2, v7
	s_cbranch_scc1 .LBB151_481
; %bb.482:
	s_and_b32 s6, s27, 3
	s_cmp_eq_u32 s6, 0
	s_cbranch_scc0 .LBB151_486
	s_branch .LBB151_488
.LBB151_483:
                                        ; implicit-def: $vgpr4
	s_branch .LBB151_489
.LBB151_484:
	v_mov_b32_e32 v4, 0
	s_branch .LBB151_488
.LBB151_485:
	v_mov_b32_e32 v4, 0
	v_mov_b32_e32 v1, v0
	s_and_b32 s6, s27, 3
	s_cmp_eq_u32 s6, 0
	s_cbranch_scc1 .LBB151_488
.LBB151_486:
	s_lshl_b32 s2, s26, 2
	s_add_u32 s2, s34, s2
	s_addc_u32 s3, s35, 0
	s_add_u32 s2, s2, 0xc4
	s_addc_u32 s3, s3, 0
	s_mul_i32 s4, s26, 12
	s_add_u32 s4, s34, s4
	s_addc_u32 s5, s35, 0
.LBB151_487:                            ; =>This Inner Loop Header: Depth=1
	s_load_dwordx2 s[8:9], s[4:5], 0x4
	s_load_dword s7, s[4:5], 0xc
	s_add_u32 s4, s4, 12
	s_addc_u32 s5, s5, 0
	s_waitcnt lgkmcnt(0)
	v_mul_hi_u32 v2, s9, v1
	s_load_dword s9, s[2:3], 0x0
	s_add_u32 s2, s2, 4
	s_addc_u32 s3, s3, 0
	v_add_u32_e32 v2, v1, v2
	v_lshrrev_b32_e32 v2, s7, v2
	v_mul_lo_u32 v3, v2, s8
	s_add_i32 s6, s6, -1
	s_cmp_lg_u32 s6, 0
	v_sub_u32_e32 v1, v1, v3
	s_waitcnt lgkmcnt(0)
	v_mad_u64_u32 v[4:5], s[8:9], v1, s9, v[4:5]
	v_mov_b32_e32 v1, v2
	s_cbranch_scc1 .LBB151_487
.LBB151_488:
	s_cbranch_execnz .LBB151_491
.LBB151_489:
	s_load_dwordx4 s[4:7], s[34:35], 0x4
	s_load_dword s2, s[34:35], 0xc4
	s_cmp_lt_u32 s33, 2
	s_waitcnt lgkmcnt(0)
	v_mul_hi_u32 v1, s5, v0
	v_add_u32_e32 v1, v0, v1
	v_lshrrev_b32_e32 v1, s6, v1
	v_mul_lo_u32 v2, v1, s4
	v_sub_u32_e32 v0, v0, v2
	v_mul_lo_u32 v4, v0, s2
	s_cbranch_scc1 .LBB151_491
; %bb.490:
	s_load_dwordx4 s[4:7], s[34:35], 0x10
	s_load_dword s2, s[34:35], 0xc8
	s_waitcnt lgkmcnt(0)
	v_mul_hi_u32 v0, s5, v1
	v_add_u32_e32 v0, v1, v0
	v_lshrrev_b32_e32 v0, s6, v0
	v_mul_lo_u32 v0, v0, s4
	v_sub_u32_e32 v0, v1, v0
	v_mad_u64_u32 v[4:5], s[2:3], v0, s2, v[4:5]
.LBB151_491:
	s_and_b64 vcc, exec, s[0:1]
	v_add_u32_e32 v0, 0x100, v11
	s_cbranch_vccnz .LBB151_497
; %bb.492:
	s_cmp_lg_u32 s33, 0
	s_waitcnt lgkmcnt(0)
	s_mov_b32 s26, 0
	s_cbranch_scc0 .LBB151_498
; %bb.493:
	s_min_u32 s27, s76, 15
	s_add_i32 s27, s27, 1
	s_cmp_eq_u32 s76, 2
	s_cbranch_scc1 .LBB151_499
; %bb.494:
	s_and_b32 s26, s27, 28
	s_add_u32 s2, s34, 0xc4
	s_addc_u32 s3, s35, 0
	s_mov_b32 s28, 0
	v_mov_b32_e32 v2, 0
	s_mov_b64 s[24:25], s[34:35]
	v_mov_b32_e32 v1, v0
.LBB151_495:                            ; =>This Inner Loop Header: Depth=1
	s_load_dwordx8 s[4:11], s[24:25], 0x4
	s_load_dwordx4 s[12:15], s[24:25], 0x24
	s_load_dwordx4 s[16:19], s[2:3], 0x0
	s_add_u32 s24, s24, 48
	s_addc_u32 s25, s25, 0
	s_waitcnt lgkmcnt(0)
	v_mul_hi_u32 v3, s5, v1
	s_add_i32 s28, s28, 4
	s_add_u32 s2, s2, 16
	s_addc_u32 s3, s3, 0
	v_add_u32_e32 v3, v1, v3
	v_lshrrev_b32_e32 v3, s6, v3
	v_mul_lo_u32 v5, v3, s4
	v_mul_hi_u32 v7, s8, v3
	s_cmp_lg_u32 s26, s28
	v_sub_u32_e32 v1, v1, v5
	v_add_u32_e32 v5, v3, v7
	v_lshrrev_b32_e32 v5, s9, v5
	v_mul_lo_u32 v7, v1, s16
	v_mul_hi_u32 v1, s11, v5
	v_mul_lo_u32 v10, v5, s7
	v_add_u32_e32 v1, v5, v1
	v_lshrrev_b32_e32 v9, s12, v1
	v_mul_hi_u32 v1, s14, v9
	v_sub_u32_e32 v3, v3, v10
	v_mul_lo_u32 v10, v9, s10
	v_mul_lo_u32 v3, v3, s17
	v_add_u32_e32 v1, v9, v1
	v_lshrrev_b32_e32 v1, s15, v1
	v_mul_lo_u32 v11, v1, s13
	v_sub_u32_e32 v5, v5, v10
	v_mul_lo_u32 v5, v5, s18
	v_add3_u32 v2, v7, v2, v3
	v_sub_u32_e32 v9, v9, v11
	v_mul_lo_u32 v9, v9, s19
	v_add3_u32 v2, v5, v2, v9
	s_cbranch_scc1 .LBB151_495
; %bb.496:
	s_and_b32 s6, s27, 3
	s_cmp_eq_u32 s6, 0
	s_cbranch_scc0 .LBB151_500
	s_branch .LBB151_502
.LBB151_497:
                                        ; implicit-def: $vgpr2
	s_branch .LBB151_503
.LBB151_498:
	v_mov_b32_e32 v2, 0
	s_branch .LBB151_502
.LBB151_499:
	v_mov_b32_e32 v2, 0
	v_mov_b32_e32 v1, v0
	s_and_b32 s6, s27, 3
	s_cmp_eq_u32 s6, 0
	s_cbranch_scc1 .LBB151_502
.LBB151_500:
	s_lshl_b32 s2, s26, 2
	s_add_u32 s2, s34, s2
	s_addc_u32 s3, s35, 0
	s_add_u32 s2, s2, 0xc4
	s_addc_u32 s3, s3, 0
	s_mul_i32 s4, s26, 12
	s_add_u32 s4, s34, s4
	s_addc_u32 s5, s35, 0
.LBB151_501:                            ; =>This Inner Loop Header: Depth=1
	s_load_dwordx2 s[8:9], s[4:5], 0x4
	s_load_dword s7, s[4:5], 0xc
	s_add_u32 s4, s4, 12
	s_addc_u32 s5, s5, 0
	s_waitcnt lgkmcnt(0)
	v_mul_hi_u32 v3, s9, v1
	s_load_dword s9, s[2:3], 0x0
	s_add_u32 s2, s2, 4
	s_addc_u32 s3, s3, 0
	v_add_u32_e32 v3, v1, v3
	v_lshrrev_b32_e32 v5, s7, v3
	v_mul_lo_u32 v3, v5, s8
	s_add_i32 s6, s6, -1
	s_cmp_lg_u32 s6, 0
	v_sub_u32_e32 v1, v1, v3
	s_waitcnt lgkmcnt(0)
	v_mad_u64_u32 v[2:3], s[8:9], v1, s9, v[2:3]
	v_mov_b32_e32 v1, v5
	s_cbranch_scc1 .LBB151_501
.LBB151_502:
	s_cbranch_execnz .LBB151_505
.LBB151_503:
	s_load_dwordx4 s[4:7], s[34:35], 0x4
	s_load_dword s2, s[34:35], 0xc4
	s_cmp_lt_u32 s33, 2
	s_waitcnt lgkmcnt(0)
	v_mul_hi_u32 v1, s5, v0
	v_add_u32_e32 v1, v0, v1
	v_lshrrev_b32_e32 v1, s6, v1
	v_mul_lo_u32 v2, v1, s4
	v_sub_u32_e32 v0, v0, v2
	v_mul_lo_u32 v2, v0, s2
	s_cbranch_scc1 .LBB151_505
; %bb.504:
	s_load_dwordx4 s[4:7], s[34:35], 0x10
	s_load_dword s2, s[34:35], 0xc8
	s_waitcnt lgkmcnt(0)
	v_mul_hi_u32 v0, s5, v1
	v_add_u32_e32 v0, v1, v0
	v_lshrrev_b32_e32 v0, s6, v0
	v_mul_lo_u32 v0, v0, s4
	v_sub_u32_e32 v0, v1, v0
	v_mad_u64_u32 v[2:3], s[2:3], v0, s2, v[2:3]
.LBB151_505:
	s_and_b64 vcc, exec, s[0:1]
	s_cbranch_vccnz .LBB151_511
; %bb.506:
	s_cmp_lg_u32 s33, 0
	s_waitcnt lgkmcnt(0)
	s_mov_b32 s24, 0
	s_cbranch_scc0 .LBB151_512
; %bb.507:
	s_min_u32 s25, s76, 15
	s_add_i32 s25, s25, 1
	s_cmp_eq_u32 s76, 2
	s_cbranch_scc1 .LBB151_513
; %bb.508:
	s_and_b32 s24, s25, 28
	s_add_u32 s16, s34, 0xc4
	s_addc_u32 s17, s35, 0
	s_mov_b32 s26, 0
	v_mov_b32_e32 v0, 0
	s_mov_b64 s[18:19], s[34:35]
	v_mov_b32_e32 v1, v8
.LBB151_509:                            ; =>This Inner Loop Header: Depth=1
	s_load_dwordx8 s[0:7], s[18:19], 0x4
	s_load_dwordx4 s[8:11], s[18:19], 0x24
	s_load_dwordx4 s[12:15], s[16:17], 0x0
	s_add_u32 s18, s18, 48
	s_addc_u32 s19, s19, 0
	s_waitcnt lgkmcnt(0)
	v_mul_hi_u32 v3, s1, v1
	s_add_i32 s26, s26, 4
	s_add_u32 s16, s16, 16
	s_addc_u32 s17, s17, 0
	v_add_u32_e32 v3, v1, v3
	v_lshrrev_b32_e32 v3, s2, v3
	v_mul_lo_u32 v5, v3, s0
	v_mul_hi_u32 v7, s4, v3
	s_cmp_lg_u32 s24, s26
	v_sub_u32_e32 v1, v1, v5
	v_add_u32_e32 v5, v3, v7
	v_lshrrev_b32_e32 v5, s5, v5
	v_mul_lo_u32 v7, v1, s12
	v_mul_hi_u32 v1, s7, v5
	v_mul_lo_u32 v10, v5, s3
	v_add_u32_e32 v1, v5, v1
	v_lshrrev_b32_e32 v9, s8, v1
	v_mul_hi_u32 v1, s10, v9
	v_sub_u32_e32 v3, v3, v10
	v_mul_lo_u32 v10, v9, s6
	v_mul_lo_u32 v3, v3, s13
	v_add_u32_e32 v1, v9, v1
	v_lshrrev_b32_e32 v1, s11, v1
	v_mul_lo_u32 v11, v1, s9
	v_sub_u32_e32 v5, v5, v10
	v_mul_lo_u32 v5, v5, s14
	v_add3_u32 v0, v7, v0, v3
	v_sub_u32_e32 v9, v9, v11
	v_mul_lo_u32 v9, v9, s15
	v_add3_u32 v0, v5, v0, v9
	s_cbranch_scc1 .LBB151_509
; %bb.510:
	s_and_b32 s4, s25, 3
	s_cmp_eq_u32 s4, 0
	s_cbranch_scc0 .LBB151_514
	s_branch .LBB151_516
.LBB151_511:
                                        ; implicit-def: $vgpr0
	s_branch .LBB151_517
.LBB151_512:
	v_mov_b32_e32 v0, 0
	s_branch .LBB151_516
.LBB151_513:
	v_mov_b32_e32 v0, 0
	v_mov_b32_e32 v1, v8
	s_and_b32 s4, s25, 3
	s_cmp_eq_u32 s4, 0
	s_cbranch_scc1 .LBB151_516
.LBB151_514:
	s_lshl_b32 s0, s24, 2
	s_add_u32 s0, s34, s0
	s_addc_u32 s1, s35, 0
	s_add_u32 s0, s0, 0xc4
	s_addc_u32 s1, s1, 0
	s_mul_i32 s2, s24, 12
	s_add_u32 s2, s34, s2
	s_addc_u32 s3, s35, 0
.LBB151_515:                            ; =>This Inner Loop Header: Depth=1
	s_load_dwordx2 s[6:7], s[2:3], 0x4
	s_load_dword s5, s[2:3], 0xc
	s_add_u32 s2, s2, 12
	s_addc_u32 s3, s3, 0
	s_waitcnt lgkmcnt(0)
	v_mul_hi_u32 v3, s7, v1
	s_load_dword s7, s[0:1], 0x0
	s_add_u32 s0, s0, 4
	s_addc_u32 s1, s1, 0
	v_add_u32_e32 v3, v1, v3
	v_lshrrev_b32_e32 v3, s5, v3
	v_mul_lo_u32 v5, v3, s6
	s_add_i32 s4, s4, -1
	s_cmp_lg_u32 s4, 0
	v_sub_u32_e32 v1, v1, v5
	s_waitcnt lgkmcnt(0)
	v_mad_u64_u32 v[0:1], s[6:7], v1, s7, v[0:1]
	v_mov_b32_e32 v1, v3
	s_cbranch_scc1 .LBB151_515
.LBB151_516:
	s_cbranch_execnz .LBB151_519
.LBB151_517:
	s_load_dwordx4 s[0:3], s[34:35], 0x4
	s_waitcnt lgkmcnt(0)
	s_load_dword s3, s[34:35], 0xc4
	s_cmp_lt_u32 s33, 2
	v_mul_hi_u32 v0, s1, v8
	v_add_u32_e32 v0, v8, v0
	v_lshrrev_b32_e32 v1, s2, v0
	v_mul_lo_u32 v0, v1, s0
	v_sub_u32_e32 v0, v8, v0
	s_waitcnt lgkmcnt(0)
	v_mul_lo_u32 v0, v0, s3
	s_cbranch_scc1 .LBB151_519
; %bb.518:
	s_load_dwordx4 s[0:3], s[34:35], 0x10
	s_waitcnt lgkmcnt(0)
	s_load_dword s3, s[34:35], 0xc8
	v_mul_hi_u32 v3, s1, v1
	v_add_u32_e32 v3, v1, v3
	v_lshrrev_b32_e32 v3, s2, v3
	v_mul_lo_u32 v3, v3, s0
	v_sub_u32_e32 v1, v1, v3
	s_waitcnt lgkmcnt(0)
	v_mad_u64_u32 v[0:1], s[0:1], v1, s3, v[0:1]
.LBB151_519:
	s_load_dwordx2 s[2:3], s[34:35], 0x108
	s_load_dword s12, s[34:35], 0x110
	s_waitcnt lgkmcnt(0)
	v_mov_b32_e32 v1, s3
	s_bfe_u32 s13, s12, 0x80008
	v_add_co_u32_e32 v5, vcc, s2, v6
	s_cmp_lt_i32 s13, 11
	v_addc_co_u32_e32 v6, vcc, 0, v1, vcc
	s_cbranch_scc1 .LBB151_545
; %bb.520:
	s_and_b32 s10, 0xffff, s13
	s_mov_b64 s[8:9], -1
	s_mov_b64 s[4:5], 0
	s_cmp_gt_i32 s10, 25
	s_mov_b64 s[6:7], 0
	s_mov_b64 s[0:1], 0
	s_cbranch_scc0 .LBB151_555
; %bb.521:
	s_cmp_gt_i32 s10, 28
	s_cbranch_scc0 .LBB151_534
; %bb.522:
	s_cmp_gt_i32 s10, 43
	;; [unrolled: 3-line block ×3, first 2 shown]
	s_cbranch_scc0 .LBB151_526
; %bb.524:
	s_mov_b64 s[0:1], -1
	s_mov_b64 s[8:9], 0
	s_cmp_eq_u32 s10, 46
	s_cbranch_scc0 .LBB151_526
; %bb.525:
	s_and_b32 s0, s12, 0xff
	s_lshl_b32 s1, s0, 23
	s_cmpk_lg_i32 s0, 0xff
	v_mov_b32_e32 v1, 0x7f800001
	v_mov_b32_e32 v3, s1
	s_cselect_b64 vcc, -1, 0
	s_cmp_lg_u32 s0, 0
	v_cndmask_b32_e32 v1, v1, v3, vcc
	v_mov_b32_e32 v3, 0x400000
	s_cselect_b64 vcc, -1, 0
	v_cndmask_b32_e32 v1, v3, v1, vcc
	v_add_u32_e32 v3, 0x7fff, v1
	v_cmp_o_f32_e32 vcc, v1, v1
	v_mov_b32_e32 v1, 0x7fc0
	v_cndmask_b32_sdwa v1, v1, v3, vcc dst_sel:DWORD dst_unused:UNUSED_PAD src0_sel:DWORD src1_sel:WORD_1
	global_store_dword v[5:6], v1, off
	s_mov_b64 s[0:1], 0
	s_mov_b64 s[6:7], -1
.LBB151_526:
	s_and_b64 vcc, exec, s[8:9]
	s_cbranch_vccz .LBB151_529
; %bb.527:
	s_cmp_eq_u32 s10, 44
	s_mov_b64 s[0:1], -1
	s_cbranch_scc0 .LBB151_529
; %bb.528:
	v_mov_b32_e32 v1, s12
	global_store_byte v[5:6], v1, off
	s_mov_b64 s[0:1], 0
	s_mov_b64 s[6:7], -1
.LBB151_529:
	s_mov_b64 s[8:9], 0
.LBB151_530:
	s_and_b64 vcc, exec, s[8:9]
	s_cbranch_vccz .LBB151_533
; %bb.531:
	s_cmp_eq_u32 s10, 29
	s_mov_b64 s[0:1], -1
	s_cbranch_scc0 .LBB151_533
; %bb.532:
	s_and_b32 s0, s12, 0xff
	s_lshl_b32 s1, s0, 23
	v_trunc_f32_e32 v1, s1
	v_mul_f32_e32 v3, 0x2f800000, v1
	v_floor_f32_e32 v3, v3
	v_fmac_f32_e32 v1, 0xcf800000, v3
	v_cvt_u32_f32_e32 v3, v3
	v_cvt_u32_f32_e32 v1, v1
	s_cmp_lg_u32 s0, 0
	s_cselect_b64 vcc, -1, 0
	v_cndmask_b32_e32 v8, 0, v3, vcc
	v_cndmask_b32_e32 v7, 0, v1, vcc
	global_store_dwordx2 v[5:6], v[7:8], off
	s_mov_b64 s[0:1], 0
	s_mov_b64 s[6:7], -1
.LBB151_533:
	s_mov_b64 s[8:9], 0
.LBB151_534:
	s_and_b64 vcc, exec, s[8:9]
	s_cbranch_vccz .LBB151_554
; %bb.535:
	s_cmp_lt_i32 s10, 27
	s_mov_b64 s[6:7], -1
	s_cbranch_scc1 .LBB151_541
; %bb.536:
	s_cmp_gt_i32 s10, 27
	s_cbranch_scc0 .LBB151_538
; %bb.537:
	s_and_b32 s6, s12, 0xff
	s_lshl_b32 s7, s6, 23
	v_cvt_u32_f32_e32 v1, s7
	s_cmp_lg_u32 s6, 0
	s_cselect_b64 vcc, -1, 0
	s_mov_b64 s[6:7], 0
	v_cndmask_b32_e32 v1, 0, v1, vcc
	global_store_dword v[5:6], v1, off
.LBB151_538:
	s_andn2_b64 vcc, exec, s[6:7]
	s_cbranch_vccnz .LBB151_540
; %bb.539:
	s_and_b32 s6, s12, 0xff
	s_lshl_b32 s7, s6, 23
	v_cvt_u32_f32_e32 v1, s7
	s_cmp_lg_u32 s6, 0
	s_cselect_b64 vcc, -1, 0
	v_cndmask_b32_e32 v1, 0, v1, vcc
	global_store_short v[5:6], v1, off
.LBB151_540:
	s_mov_b64 s[6:7], 0
.LBB151_541:
	s_andn2_b64 vcc, exec, s[6:7]
	s_cbranch_vccnz .LBB151_553
; %bb.542:
	s_and_b32 s6, s12, 0xff
	s_lshl_b32 s7, s6, 23
	s_cmpk_lg_i32 s6, 0xff
	v_mov_b32_e32 v1, 0x7f800001
	v_mov_b32_e32 v3, s7
	s_cselect_b64 vcc, -1, 0
	s_cmp_lg_u32 s6, 0
	v_cndmask_b32_e32 v1, v1, v3, vcc
	v_mov_b32_e32 v3, 0x400000
	s_cselect_b64 vcc, -1, 0
	v_cndmask_b32_e32 v1, v3, v1, vcc
	s_mov_b32 s7, 0x437fffff
	v_cmp_lt_u32_e32 vcc, s7, v1
	v_readfirstlane_b32 s6, v1
	v_mov_b32_e32 v7, 0x80
	s_cbranch_vccnz .LBB151_552
; %bb.543:
	s_cmp_gt_u32 s6, 0x3bffffff
	s_cbranch_scc0 .LBB151_547
; %bb.544:
	s_bfe_u32 s7, s6, 0x10014
	s_add_i32 s6, s6, s7
	s_add_i32 s6, s6, 0x487ffff
	s_lshr_b32 s11, s6, 20
	s_mov_b64 s[8:9], 0
	s_mov_b64 s[6:7], -1
	s_branch .LBB151_548
.LBB151_545:
	s_mov_b64 s[6:7], 0
	s_mov_b64 s[0:1], s[20:21]
	s_cbranch_execnz .LBB151_605
.LBB151_546:
	s_andn2_b64 vcc, exec, s[6:7]
	s_cbranch_vccz .LBB151_643
	s_branch .LBB151_935
.LBB151_547:
	s_mov_b64 s[8:9], -1
	s_mov_b64 s[6:7], 0
                                        ; implicit-def: $sgpr11
.LBB151_548:
	s_andn2_b64 vcc, exec, s[8:9]
	v_mov_b32_e32 v3, s11
	s_cbranch_vccnz .LBB151_550
; %bb.549:
	v_add_f32_e32 v1, 0x46000000, v1
	v_and_b32_e32 v3, 0xff, v1
	v_cmp_ne_u32_e64 s[6:7], 0, v3
.LBB151_550:
	s_andn2_b64 vcc, exec, s[6:7]
	v_mov_b32_e32 v7, 0
	s_cbranch_vccnz .LBB151_552
; %bb.551:
	v_mov_b32_e32 v7, v3
.LBB151_552:
	global_store_byte v[5:6], v7, off
.LBB151_553:
	s_mov_b64 s[6:7], -1
.LBB151_554:
	s_mov_b64 s[8:9], 0
.LBB151_555:
	s_and_b64 vcc, exec, s[8:9]
	s_cbranch_vccz .LBB151_601
; %bb.556:
	s_cmp_gt_i32 s10, 22
	s_mov_b64 s[4:5], -1
	s_cbranch_scc0 .LBB151_594
; %bb.557:
	s_cmp_lt_i32 s10, 24
	s_cbranch_scc1 .LBB151_581
; %bb.558:
	s_cmp_gt_i32 s10, 24
	s_cbranch_scc0 .LBB151_568
; %bb.559:
	s_and_b32 s4, s12, 0xff
	s_lshl_b32 s5, s4, 23
	s_cmpk_lg_i32 s4, 0xff
	v_mov_b32_e32 v1, 0x7f800001
	v_mov_b32_e32 v3, s5
	s_cselect_b64 vcc, -1, 0
	s_cmp_lg_u32 s4, 0
	v_cndmask_b32_e32 v1, v1, v3, vcc
	v_mov_b32_e32 v3, 0x400000
	s_cselect_b64 vcc, -1, 0
	v_cndmask_b32_e32 v1, v3, v1, vcc
	s_mov_b32 s5, 0x477fffff
	v_cmp_lt_u32_e32 vcc, s5, v1
	v_readfirstlane_b32 s4, v1
	v_mov_b32_e32 v7, 0x80
	s_cbranch_vccnz .LBB151_567
; %bb.560:
	s_cmp_gt_u32 s4, 0x37ffffff
	s_cbranch_scc0 .LBB151_562
; %bb.561:
	s_bfe_u32 s5, s4, 0x10015
	s_add_i32 s4, s4, s5
	s_add_i32 s4, s4, 0x88fffff
	s_lshr_b32 s8, s4, 21
	s_mov_b64 s[6:7], 0
	s_mov_b64 s[4:5], -1
	s_branch .LBB151_563
.LBB151_562:
	s_mov_b64 s[6:7], -1
	s_mov_b64 s[4:5], 0
                                        ; implicit-def: $sgpr8
.LBB151_563:
	s_andn2_b64 vcc, exec, s[6:7]
	v_mov_b32_e32 v3, s8
	s_cbranch_vccnz .LBB151_565
; %bb.564:
	v_add_f32_e32 v1, 0x42800000, v1
	v_and_b32_e32 v3, 0xff, v1
	v_cmp_ne_u32_e64 s[4:5], 0, v3
.LBB151_565:
	s_andn2_b64 vcc, exec, s[4:5]
	v_mov_b32_e32 v7, 0
	s_cbranch_vccnz .LBB151_567
; %bb.566:
	v_mov_b32_e32 v7, v3
.LBB151_567:
	s_mov_b64 s[4:5], 0
	global_store_byte v[5:6], v7, off
.LBB151_568:
	s_and_b64 vcc, exec, s[4:5]
	s_cbranch_vccz .LBB151_580
; %bb.569:
	s_and_b32 s4, s12, 0xff
	s_lshl_b32 s5, s4, 23
	s_cmpk_lg_i32 s4, 0xff
	v_mov_b32_e32 v1, 0x7f800001
	v_mov_b32_e32 v3, s5
	s_cselect_b64 vcc, -1, 0
	s_cmp_lg_u32 s4, 0
	v_cndmask_b32_e32 v1, v1, v3, vcc
	v_mov_b32_e32 v3, 0x400000
	s_cselect_b64 vcc, -1, 0
	v_cndmask_b32_e32 v1, v3, v1, vcc
	s_mov_b32 s4, 0x43f00000
	v_cmp_gt_u32_e32 vcc, s4, v1
	v_readfirstlane_b32 s6, v1
	s_cbranch_vccz .LBB151_572
; %bb.570:
	s_cmp_gt_u32 s6, 0x3c7fffff
	s_cbranch_scc0 .LBB151_573
; %bb.571:
	s_bfe_u32 s4, s6, 0x10014
	s_add_i32 s4, s6, s4
	s_add_i32 s4, s4, 0x407ffff
	s_lshr_b32 s5, s4, 20
	s_and_b32 s4, s4, 0xff00000
	s_cmp_lg_u32 s4, 0x7f00000
	s_cselect_b32 s7, s5, 0x7e
	s_mov_b64 s[4:5], 0
	s_branch .LBB151_574
.LBB151_572:
	s_mov_b64 s[4:5], -1
                                        ; implicit-def: $vgpr3
	s_branch .LBB151_577
.LBB151_573:
	s_mov_b64 s[4:5], -1
                                        ; implicit-def: $sgpr7
.LBB151_574:
	s_andn2_b64 vcc, exec, s[4:5]
	v_mov_b32_e32 v3, s7
	s_cbranch_vccnz .LBB151_576
; %bb.575:
	v_add_f32_e32 v3, 0x46800000, v1
.LBB151_576:
	s_mov_b64 s[4:5], 0
.LBB151_577:
	s_andn2_b64 vcc, exec, s[4:5]
	s_cbranch_vccnz .LBB151_579
; %bb.578:
	s_cmp_gt_u32 s6, 0x7f800000
	s_movk_i32 s4, 0x7f
	s_cselect_b32 s4, s4, 0x7e
	v_mov_b32_e32 v3, s4
.LBB151_579:
	global_store_byte v[5:6], v3, off
.LBB151_580:
	s_mov_b64 s[4:5], 0
.LBB151_581:
	s_andn2_b64 vcc, exec, s[4:5]
	s_cbranch_vccnz .LBB151_593
; %bb.582:
	s_and_b32 s4, s12, 0xff
	s_lshl_b32 s5, s4, 23
	s_cmpk_lg_i32 s4, 0xff
	v_mov_b32_e32 v1, 0x7f800001
	v_mov_b32_e32 v3, s5
	s_cselect_b64 vcc, -1, 0
	s_cmp_lg_u32 s4, 0
	v_cndmask_b32_e32 v1, v1, v3, vcc
	v_mov_b32_e32 v3, 0x400000
	s_cselect_b64 vcc, -1, 0
	v_cndmask_b32_e32 v1, v3, v1, vcc
	s_mov_b32 s4, 0x47800000
	v_cmp_gt_u32_e32 vcc, s4, v1
	v_readfirstlane_b32 s6, v1
	s_cbranch_vccz .LBB151_585
; %bb.583:
	s_cmp_gt_u32 s6, 0x387fffff
	s_cbranch_scc0 .LBB151_586
; %bb.584:
	s_bfe_u32 s4, s6, 0x10015
	s_add_i32 s4, s6, s4
	s_add_i32 s4, s4, 0x80fffff
	s_lshr_b32 s7, s4, 21
	s_mov_b64 s[4:5], 0
	s_branch .LBB151_587
.LBB151_585:
	s_mov_b64 s[4:5], -1
                                        ; implicit-def: $vgpr3
	s_branch .LBB151_590
.LBB151_586:
	s_mov_b64 s[4:5], -1
                                        ; implicit-def: $sgpr7
.LBB151_587:
	s_andn2_b64 vcc, exec, s[4:5]
	v_mov_b32_e32 v3, s7
	s_cbranch_vccnz .LBB151_589
; %bb.588:
	v_add_f32_e32 v3, 0x43000000, v1
.LBB151_589:
	s_mov_b64 s[4:5], 0
.LBB151_590:
	s_andn2_b64 vcc, exec, s[4:5]
	s_cbranch_vccnz .LBB151_592
; %bb.591:
	s_cmp_gt_u32 s6, 0x7f800000
	s_movk_i32 s4, 0x7f
	s_cselect_b32 s4, s4, 0x7c
	v_mov_b32_e32 v3, s4
.LBB151_592:
	global_store_byte v[5:6], v3, off
.LBB151_593:
	s_mov_b64 s[4:5], 0
	s_mov_b64 s[6:7], -1
.LBB151_594:
	s_andn2_b64 vcc, exec, s[4:5]
	s_mov_b64 s[4:5], 0
	s_cbranch_vccnz .LBB151_601
; %bb.595:
	s_cmp_gt_i32 s10, 14
	s_mov_b64 s[8:9], -1
	s_cbranch_scc0 .LBB151_599
; %bb.596:
	s_cmp_eq_u32 s10, 15
	s_mov_b64 s[0:1], -1
	s_cbranch_scc0 .LBB151_598
; %bb.597:
	s_and_b32 s0, s12, 0xff
	s_lshl_b32 s1, s0, 23
	s_cmpk_lg_i32 s0, 0xff
	v_mov_b32_e32 v1, 0x7f800001
	v_mov_b32_e32 v3, s1
	s_cselect_b64 vcc, -1, 0
	s_cmp_lg_u32 s0, 0
	v_cndmask_b32_e32 v1, v1, v3, vcc
	v_mov_b32_e32 v3, 0x400000
	s_cselect_b64 vcc, -1, 0
	v_cndmask_b32_e32 v1, v3, v1, vcc
	v_add_u32_e32 v3, 0x7fff, v1
	v_cmp_o_f32_e32 vcc, v1, v1
	v_mov_b32_e32 v1, 0x7fc0
	v_cndmask_b32_sdwa v1, v1, v3, vcc dst_sel:DWORD dst_unused:UNUSED_PAD src0_sel:DWORD src1_sel:WORD_1
	global_store_short v[5:6], v1, off
	s_mov_b64 s[0:1], 0
	s_mov_b64 s[6:7], -1
.LBB151_598:
	s_mov_b64 s[8:9], 0
.LBB151_599:
	s_and_b64 vcc, exec, s[8:9]
	s_cbranch_vccz .LBB151_601
; %bb.600:
	s_cmp_lg_u32 s10, 11
	s_mov_b64 s[4:5], -1
	s_cselect_b64 s[0:1], -1, 0
.LBB151_601:
	s_and_b64 vcc, exec, s[0:1]
	s_mov_b64 s[0:1], s[20:21]
	s_cbranch_vccnz .LBB151_671
; %bb.602:
	s_andn2_b64 vcc, exec, s[4:5]
	s_cbranch_vccnz .LBB151_604
.LBB151_603:
	v_mov_b32_e32 v1, 1
	global_store_byte v[5:6], v1, off
	s_mov_b64 s[6:7], -1
.LBB151_604:
	s_branch .LBB151_546
.LBB151_605:
	s_and_b32 s6, 0xffff, s13
	s_cmp_lt_i32 s6, 5
	s_mov_b64 s[4:5], -1
	s_cbranch_scc1 .LBB151_626
; %bb.606:
	s_cmp_lt_i32 s6, 8
	s_cbranch_scc1 .LBB151_616
; %bb.607:
	s_cmp_lt_i32 s6, 9
	s_cbranch_scc1 .LBB151_613
; %bb.608:
	s_cmp_gt_i32 s6, 9
	s_cbranch_scc0 .LBB151_610
; %bb.609:
	s_and_b32 s4, s12, 0xff
	s_lshl_b32 s5, s4, 23
	v_cvt_f64_f32_e32 v[7:8], s5
	s_cmpk_lg_i32 s4, 0xff
	v_bfrev_b32_e32 v1, 4
	s_cselect_b64 vcc, -1, 0
	v_mov_b32_e32 v3, 0x7ff80000
	s_cmp_lg_u32 s4, 0
	v_cndmask_b32_e32 v1, v1, v7, vcc
	v_cndmask_b32_e32 v3, v3, v8, vcc
	v_bfrev_b32_e32 v7, 28
	s_cselect_b64 vcc, -1, 0
	v_mov_b32_e32 v9, 0
	v_cndmask_b32_e32 v8, v7, v3, vcc
	v_cndmask_b32_e32 v7, 0, v1, vcc
	v_mov_b32_e32 v10, v9
	global_store_dwordx4 v[5:6], v[7:10], off
	s_mov_b64 s[4:5], 0
.LBB151_610:
	s_andn2_b64 vcc, exec, s[4:5]
	s_cbranch_vccnz .LBB151_612
; %bb.611:
	s_and_b32 s4, s12, 0xff
	s_lshl_b32 s5, s4, 23
	s_cmpk_lg_i32 s4, 0xff
	s_cselect_b32 s5, s5, 0x7f800001
	s_cmp_lg_u32 s4, 0
	s_cselect_b32 s4, s5, 0x400000
	v_mov_b32_e32 v7, s4
	v_mov_b32_e32 v8, 0
	global_store_dwordx2 v[5:6], v[7:8], off
.LBB151_612:
	s_mov_b64 s[4:5], 0
.LBB151_613:
	s_andn2_b64 vcc, exec, s[4:5]
	s_cbranch_vccnz .LBB151_615
; %bb.614:
	s_and_b32 s4, s12, 0xff
	s_lshl_b32 s5, s4, 23
	v_cvt_f16_f32_e32 v1, s5
	s_cmpk_lg_i32 s4, 0xff
	v_mov_b32_e32 v3, 0x7e00
	s_cselect_b64 vcc, -1, 0
	s_cmp_lg_u32 s4, 0
	v_cndmask_b32_e32 v1, v3, v1, vcc
	s_cselect_b64 vcc, -1, 0
	v_cndmask_b32_e32 v1, 0, v1, vcc
	global_store_dword v[5:6], v1, off
.LBB151_615:
	s_mov_b64 s[4:5], 0
.LBB151_616:
	s_andn2_b64 vcc, exec, s[4:5]
	s_cbranch_vccnz .LBB151_625
; %bb.617:
	s_cmp_lt_i32 s6, 6
	s_mov_b64 s[4:5], -1
	s_cbranch_scc1 .LBB151_623
; %bb.618:
	s_cmp_gt_i32 s6, 6
	s_cbranch_scc0 .LBB151_620
; %bb.619:
	s_and_b32 s4, s12, 0xff
	s_lshl_b32 s5, s4, 23
	v_cvt_f64_f32_e32 v[7:8], s5
	s_cmpk_lg_i32 s4, 0xff
	v_bfrev_b32_e32 v1, 4
	s_cselect_b64 vcc, -1, 0
	v_mov_b32_e32 v3, 0x7ff80000
	s_cmp_lg_u32 s4, 0
	v_cndmask_b32_e32 v1, v1, v7, vcc
	v_cndmask_b32_e32 v3, v3, v8, vcc
	v_bfrev_b32_e32 v7, 28
	s_cselect_b64 vcc, -1, 0
	v_cndmask_b32_e32 v8, v7, v3, vcc
	v_cndmask_b32_e32 v7, 0, v1, vcc
	global_store_dwordx2 v[5:6], v[7:8], off
	s_mov_b64 s[4:5], 0
.LBB151_620:
	s_andn2_b64 vcc, exec, s[4:5]
	s_cbranch_vccnz .LBB151_622
; %bb.621:
	s_and_b32 s4, s12, 0xff
	s_lshl_b32 s5, s4, 23
	s_cmpk_lg_i32 s4, 0xff
	v_mov_b32_e32 v1, 0x7f800001
	v_mov_b32_e32 v3, s5
	s_cselect_b64 vcc, -1, 0
	s_cmp_lg_u32 s4, 0
	v_cndmask_b32_e32 v1, v1, v3, vcc
	v_mov_b32_e32 v3, 0x400000
	s_cselect_b64 vcc, -1, 0
	v_cndmask_b32_e32 v1, v3, v1, vcc
	global_store_dword v[5:6], v1, off
.LBB151_622:
	s_mov_b64 s[4:5], 0
.LBB151_623:
	s_andn2_b64 vcc, exec, s[4:5]
	s_cbranch_vccnz .LBB151_625
; %bb.624:
	s_and_b32 s4, s12, 0xff
	s_lshl_b32 s5, s4, 23
	v_cvt_f16_f32_e32 v1, s5
	s_cmpk_lg_i32 s4, 0xff
	v_mov_b32_e32 v3, 0x7e00
	s_cselect_b64 vcc, -1, 0
	s_cmp_lg_u32 s4, 0
	v_cndmask_b32_e32 v1, v3, v1, vcc
	s_cselect_b64 vcc, -1, 0
	v_cndmask_b32_e32 v1, 0, v1, vcc
	global_store_short v[5:6], v1, off
.LBB151_625:
	s_mov_b64 s[4:5], 0
.LBB151_626:
	s_andn2_b64 vcc, exec, s[4:5]
	s_cbranch_vccnz .LBB151_642
; %bb.627:
	s_cmp_lt_i32 s6, 2
	s_mov_b64 s[4:5], -1
	s_cbranch_scc1 .LBB151_637
; %bb.628:
	s_cmp_lt_i32 s6, 3
	s_cbranch_scc1 .LBB151_634
; %bb.629:
	s_cmp_gt_i32 s6, 3
	s_cbranch_scc0 .LBB151_631
; %bb.630:
	s_and_b32 s4, s12, 0xff
	s_lshl_b32 s5, s4, 23
	v_trunc_f32_e32 v1, s5
	s_mov_b32 s5, 0x2f800000
	v_mul_f32_e64 v3, |v1|, s5
	v_floor_f32_e32 v3, v3
	s_mov_b32 s5, 0xcf800000
	v_fma_f32 v7, v3, s5, |v1|
	v_cvt_u32_f32_e32 v7, v7
	v_cvt_u32_f32_e32 v3, v3
	v_ashrrev_i32_e32 v1, 31, v1
	s_cmp_lg_u32 s4, 0
	v_xor_b32_e32 v7, v7, v1
	v_xor_b32_e32 v3, v3, v1
	v_sub_co_u32_e32 v7, vcc, v7, v1
	v_subb_co_u32_e32 v1, vcc, v3, v1, vcc
	s_cselect_b64 vcc, -1, 0
	v_cndmask_b32_e32 v8, 0, v1, vcc
	v_cndmask_b32_e32 v7, 0, v7, vcc
	global_store_dwordx2 v[5:6], v[7:8], off
	s_mov_b64 s[4:5], 0
.LBB151_631:
	s_andn2_b64 vcc, exec, s[4:5]
	s_cbranch_vccnz .LBB151_633
; %bb.632:
	s_and_b32 s4, s12, 0xff
	s_lshl_b32 s5, s4, 23
	v_cvt_i32_f32_e32 v1, s5
	s_cmp_lg_u32 s4, 0
	s_cselect_b64 vcc, -1, 0
	v_cndmask_b32_e32 v1, 0, v1, vcc
	global_store_dword v[5:6], v1, off
.LBB151_633:
	s_mov_b64 s[4:5], 0
.LBB151_634:
	s_andn2_b64 vcc, exec, s[4:5]
	s_cbranch_vccnz .LBB151_636
; %bb.635:
	s_and_b32 s4, s12, 0xff
	s_lshl_b32 s5, s4, 23
	v_cvt_i32_f32_e32 v1, s5
	s_cmp_lg_u32 s4, 0
	s_cselect_b64 vcc, -1, 0
	v_cndmask_b32_e32 v1, 0, v1, vcc
	global_store_short v[5:6], v1, off
.LBB151_636:
	s_mov_b64 s[4:5], 0
.LBB151_637:
	s_andn2_b64 vcc, exec, s[4:5]
	s_cbranch_vccnz .LBB151_642
; %bb.638:
	s_cmp_gt_i32 s6, 0
	s_mov_b64 s[4:5], -1
	s_cbranch_scc0 .LBB151_640
; %bb.639:
	s_and_b32 s4, s12, 0xff
	s_lshl_b32 s5, s4, 23
	v_cvt_i32_f32_e32 v1, s5
	s_cmp_lg_u32 s4, 0
	s_cselect_b64 vcc, -1, 0
	s_mov_b64 s[4:5], 0
	v_cndmask_b32_e32 v1, 0, v1, vcc
	global_store_byte v[5:6], v1, off
.LBB151_640:
	s_andn2_b64 vcc, exec, s[4:5]
	s_cbranch_vccnz .LBB151_642
; %bb.641:
	s_and_b32 s4, s12, 0xff
	s_lshl_b32 s5, s4, 23
	v_trunc_f32_e32 v1, s5
	s_mov_b32 s5, 0x2f800000
	v_mul_f32_e64 v3, |v1|, s5
	v_floor_f32_e32 v3, v3
	s_mov_b32 s5, 0xcf800000
	v_fma_f32 v3, v3, s5, |v1|
	v_cvt_u32_f32_e32 v3, v3
	v_ashrrev_i32_e32 v1, 31, v1
	s_cmp_lg_u32 s4, 0
	s_cselect_b64 vcc, -1, 0
	v_xor_b32_e32 v3, v3, v1
	v_sub_u32_e32 v1, v3, v1
	v_cndmask_b32_e32 v1, 0, v1, vcc
	global_store_byte v[5:6], v1, off
.LBB151_642:
.LBB151_643:
	v_mov_b32_e32 v1, s3
	s_and_b32 s14, 0xffff, s13
	v_add_co_u32_e32 v3, vcc, s2, v4
	s_cmp_lt_i32 s14, 11
	v_addc_co_u32_e32 v4, vcc, 0, v1, vcc
	s_cbranch_scc1 .LBB151_669
; %bb.644:
	s_mov_b64 s[10:11], -1
	s_mov_b64 s[6:7], 0
	s_cmp_gt_i32 s14, 25
	s_mov_b64 s[8:9], 0
	s_mov_b64 s[4:5], 0
	s_cbranch_scc0 .LBB151_680
; %bb.645:
	s_cmp_gt_i32 s14, 28
	s_cbranch_scc0 .LBB151_658
; %bb.646:
	s_cmp_gt_i32 s14, 43
	;; [unrolled: 3-line block ×3, first 2 shown]
	s_cbranch_scc0 .LBB151_650
; %bb.648:
	s_mov_b64 s[4:5], -1
	s_mov_b64 s[10:11], 0
	s_cmp_eq_u32 s14, 46
	s_cbranch_scc0 .LBB151_650
; %bb.649:
	s_and_b32 s4, s12, 0xff
	s_lshl_b32 s5, s4, 23
	s_cmpk_lg_i32 s4, 0xff
	v_mov_b32_e32 v1, 0x7f800001
	v_mov_b32_e32 v5, s5
	s_cselect_b64 vcc, -1, 0
	s_cmp_lg_u32 s4, 0
	v_cndmask_b32_e32 v1, v1, v5, vcc
	v_mov_b32_e32 v5, 0x400000
	s_cselect_b64 vcc, -1, 0
	v_cndmask_b32_e32 v1, v5, v1, vcc
	v_add_u32_e32 v5, 0x7fff, v1
	v_cmp_o_f32_e32 vcc, v1, v1
	v_mov_b32_e32 v1, 0x7fc0
	v_cndmask_b32_sdwa v1, v1, v5, vcc dst_sel:DWORD dst_unused:UNUSED_PAD src0_sel:DWORD src1_sel:WORD_1
	global_store_dword v[3:4], v1, off
	s_mov_b64 s[4:5], 0
	s_mov_b64 s[8:9], -1
.LBB151_650:
	s_and_b64 vcc, exec, s[10:11]
	s_cbranch_vccz .LBB151_653
; %bb.651:
	s_cmp_eq_u32 s14, 44
	s_mov_b64 s[4:5], -1
	s_cbranch_scc0 .LBB151_653
; %bb.652:
	v_mov_b32_e32 v1, s12
	global_store_byte v[3:4], v1, off
	s_mov_b64 s[4:5], 0
	s_mov_b64 s[8:9], -1
.LBB151_653:
	s_mov_b64 s[10:11], 0
.LBB151_654:
	s_and_b64 vcc, exec, s[10:11]
	s_cbranch_vccz .LBB151_657
; %bb.655:
	s_cmp_eq_u32 s14, 29
	s_mov_b64 s[4:5], -1
	s_cbranch_scc0 .LBB151_657
; %bb.656:
	s_and_b32 s4, s12, 0xff
	s_lshl_b32 s5, s4, 23
	v_trunc_f32_e32 v1, s5
	v_mul_f32_e32 v5, 0x2f800000, v1
	v_floor_f32_e32 v5, v5
	v_fmac_f32_e32 v1, 0xcf800000, v5
	v_cvt_u32_f32_e32 v5, v5
	v_cvt_u32_f32_e32 v1, v1
	s_cmp_lg_u32 s4, 0
	s_cselect_b64 vcc, -1, 0
	v_cndmask_b32_e32 v6, 0, v5, vcc
	v_cndmask_b32_e32 v5, 0, v1, vcc
	global_store_dwordx2 v[3:4], v[5:6], off
	s_mov_b64 s[4:5], 0
	s_mov_b64 s[8:9], -1
.LBB151_657:
	s_mov_b64 s[10:11], 0
.LBB151_658:
	s_and_b64 vcc, exec, s[10:11]
	s_cbranch_vccz .LBB151_679
; %bb.659:
	s_cmp_lt_i32 s14, 27
	s_mov_b64 s[8:9], -1
	s_cbranch_scc1 .LBB151_665
; %bb.660:
	s_cmp_gt_i32 s14, 27
	s_cbranch_scc0 .LBB151_662
; %bb.661:
	s_and_b32 s8, s12, 0xff
	s_lshl_b32 s9, s8, 23
	v_cvt_u32_f32_e32 v1, s9
	s_cmp_lg_u32 s8, 0
	s_cselect_b64 vcc, -1, 0
	s_mov_b64 s[8:9], 0
	v_cndmask_b32_e32 v1, 0, v1, vcc
	global_store_dword v[3:4], v1, off
.LBB151_662:
	s_andn2_b64 vcc, exec, s[8:9]
	s_cbranch_vccnz .LBB151_664
; %bb.663:
	s_and_b32 s8, s12, 0xff
	s_lshl_b32 s9, s8, 23
	v_cvt_u32_f32_e32 v1, s9
	s_cmp_lg_u32 s8, 0
	s_cselect_b64 vcc, -1, 0
	v_cndmask_b32_e32 v1, 0, v1, vcc
	global_store_short v[3:4], v1, off
.LBB151_664:
	s_mov_b64 s[8:9], 0
.LBB151_665:
	s_andn2_b64 vcc, exec, s[8:9]
	s_cbranch_vccnz .LBB151_678
; %bb.666:
	s_and_b32 s8, s12, 0xff
	s_lshl_b32 s9, s8, 23
	s_cmpk_lg_i32 s8, 0xff
	v_mov_b32_e32 v1, 0x7f800001
	v_mov_b32_e32 v5, s9
	s_cselect_b64 vcc, -1, 0
	s_cmp_lg_u32 s8, 0
	v_cndmask_b32_e32 v1, v1, v5, vcc
	v_mov_b32_e32 v5, 0x400000
	s_cselect_b64 vcc, -1, 0
	v_cndmask_b32_e32 v1, v5, v1, vcc
	s_mov_b32 s9, 0x437fffff
	v_cmp_lt_u32_e32 vcc, s9, v1
	v_readfirstlane_b32 s8, v1
	v_mov_b32_e32 v6, 0x80
	s_cbranch_vccnz .LBB151_677
; %bb.667:
	s_cmp_gt_u32 s8, 0x3bffffff
	s_cbranch_scc0 .LBB151_672
; %bb.668:
	s_bfe_u32 s9, s8, 0x10014
	s_add_i32 s8, s8, s9
	s_add_i32 s8, s8, 0x487ffff
	s_lshr_b32 s15, s8, 20
	s_mov_b64 s[10:11], 0
	s_mov_b64 s[8:9], -1
	s_branch .LBB151_673
.LBB151_669:
	s_mov_b64 s[8:9], 0
	s_cbranch_execnz .LBB151_730
.LBB151_670:
	s_andn2_b64 vcc, exec, s[8:9]
	s_cbranch_vccz .LBB151_768
	s_branch .LBB151_935
.LBB151_671:
	s_or_b64 s[0:1], s[20:21], exec
	s_trap 2
	s_cbranch_execz .LBB151_603
	s_branch .LBB151_604
.LBB151_672:
	s_mov_b64 s[10:11], -1
	s_mov_b64 s[8:9], 0
                                        ; implicit-def: $sgpr15
.LBB151_673:
	s_andn2_b64 vcc, exec, s[10:11]
	v_mov_b32_e32 v5, s15
	s_cbranch_vccnz .LBB151_675
; %bb.674:
	v_add_f32_e32 v1, 0x46000000, v1
	v_and_b32_e32 v5, 0xff, v1
	v_cmp_ne_u32_e64 s[8:9], 0, v5
.LBB151_675:
	s_andn2_b64 vcc, exec, s[8:9]
	v_mov_b32_e32 v6, 0
	s_cbranch_vccnz .LBB151_677
; %bb.676:
	v_mov_b32_e32 v6, v5
.LBB151_677:
	global_store_byte v[3:4], v6, off
.LBB151_678:
	s_mov_b64 s[8:9], -1
.LBB151_679:
	s_mov_b64 s[10:11], 0
.LBB151_680:
	s_and_b64 vcc, exec, s[10:11]
	s_cbranch_vccz .LBB151_726
; %bb.681:
	s_cmp_gt_i32 s14, 22
	s_mov_b64 s[6:7], -1
	s_cbranch_scc0 .LBB151_719
; %bb.682:
	s_cmp_lt_i32 s14, 24
	s_cbranch_scc1 .LBB151_706
; %bb.683:
	s_cmp_gt_i32 s14, 24
	s_cbranch_scc0 .LBB151_693
; %bb.684:
	s_and_b32 s6, s12, 0xff
	s_lshl_b32 s7, s6, 23
	s_cmpk_lg_i32 s6, 0xff
	v_mov_b32_e32 v1, 0x7f800001
	v_mov_b32_e32 v5, s7
	s_cselect_b64 vcc, -1, 0
	s_cmp_lg_u32 s6, 0
	v_cndmask_b32_e32 v1, v1, v5, vcc
	v_mov_b32_e32 v5, 0x400000
	s_cselect_b64 vcc, -1, 0
	v_cndmask_b32_e32 v1, v5, v1, vcc
	s_mov_b32 s7, 0x477fffff
	v_cmp_lt_u32_e32 vcc, s7, v1
	v_readfirstlane_b32 s6, v1
	v_mov_b32_e32 v6, 0x80
	s_cbranch_vccnz .LBB151_692
; %bb.685:
	s_cmp_gt_u32 s6, 0x37ffffff
	s_cbranch_scc0 .LBB151_687
; %bb.686:
	s_bfe_u32 s7, s6, 0x10015
	s_add_i32 s6, s6, s7
	s_add_i32 s6, s6, 0x88fffff
	s_lshr_b32 s10, s6, 21
	s_mov_b64 s[8:9], 0
	s_mov_b64 s[6:7], -1
	s_branch .LBB151_688
.LBB151_687:
	s_mov_b64 s[8:9], -1
	s_mov_b64 s[6:7], 0
                                        ; implicit-def: $sgpr10
.LBB151_688:
	s_andn2_b64 vcc, exec, s[8:9]
	v_mov_b32_e32 v5, s10
	s_cbranch_vccnz .LBB151_690
; %bb.689:
	v_add_f32_e32 v1, 0x42800000, v1
	v_and_b32_e32 v5, 0xff, v1
	v_cmp_ne_u32_e64 s[6:7], 0, v5
.LBB151_690:
	s_andn2_b64 vcc, exec, s[6:7]
	v_mov_b32_e32 v6, 0
	s_cbranch_vccnz .LBB151_692
; %bb.691:
	v_mov_b32_e32 v6, v5
.LBB151_692:
	s_mov_b64 s[6:7], 0
	global_store_byte v[3:4], v6, off
.LBB151_693:
	s_and_b64 vcc, exec, s[6:7]
	s_cbranch_vccz .LBB151_705
; %bb.694:
	s_and_b32 s6, s12, 0xff
	s_lshl_b32 s7, s6, 23
	s_cmpk_lg_i32 s6, 0xff
	v_mov_b32_e32 v1, 0x7f800001
	v_mov_b32_e32 v5, s7
	s_cselect_b64 vcc, -1, 0
	s_cmp_lg_u32 s6, 0
	v_cndmask_b32_e32 v1, v1, v5, vcc
	v_mov_b32_e32 v5, 0x400000
	s_cselect_b64 vcc, -1, 0
	v_cndmask_b32_e32 v1, v5, v1, vcc
	s_mov_b32 s6, 0x43f00000
	v_cmp_gt_u32_e32 vcc, s6, v1
	v_readfirstlane_b32 s8, v1
	s_cbranch_vccz .LBB151_697
; %bb.695:
	s_cmp_gt_u32 s8, 0x3c7fffff
	s_cbranch_scc0 .LBB151_698
; %bb.696:
	s_bfe_u32 s6, s8, 0x10014
	s_add_i32 s6, s8, s6
	s_add_i32 s6, s6, 0x407ffff
	s_lshr_b32 s7, s6, 20
	s_and_b32 s6, s6, 0xff00000
	s_cmp_lg_u32 s6, 0x7f00000
	s_cselect_b32 s9, s7, 0x7e
	s_mov_b64 s[6:7], 0
	s_branch .LBB151_699
.LBB151_697:
	s_mov_b64 s[6:7], -1
                                        ; implicit-def: $vgpr5
	s_branch .LBB151_702
.LBB151_698:
	s_mov_b64 s[6:7], -1
                                        ; implicit-def: $sgpr9
.LBB151_699:
	s_andn2_b64 vcc, exec, s[6:7]
	v_mov_b32_e32 v5, s9
	s_cbranch_vccnz .LBB151_701
; %bb.700:
	v_add_f32_e32 v5, 0x46800000, v1
.LBB151_701:
	s_mov_b64 s[6:7], 0
.LBB151_702:
	s_andn2_b64 vcc, exec, s[6:7]
	s_cbranch_vccnz .LBB151_704
; %bb.703:
	s_cmp_gt_u32 s8, 0x7f800000
	s_movk_i32 s6, 0x7f
	s_cselect_b32 s6, s6, 0x7e
	v_mov_b32_e32 v5, s6
.LBB151_704:
	global_store_byte v[3:4], v5, off
.LBB151_705:
	s_mov_b64 s[6:7], 0
.LBB151_706:
	s_andn2_b64 vcc, exec, s[6:7]
	s_cbranch_vccnz .LBB151_718
; %bb.707:
	s_and_b32 s6, s12, 0xff
	s_lshl_b32 s7, s6, 23
	s_cmpk_lg_i32 s6, 0xff
	v_mov_b32_e32 v1, 0x7f800001
	v_mov_b32_e32 v5, s7
	s_cselect_b64 vcc, -1, 0
	s_cmp_lg_u32 s6, 0
	v_cndmask_b32_e32 v1, v1, v5, vcc
	v_mov_b32_e32 v5, 0x400000
	s_cselect_b64 vcc, -1, 0
	v_cndmask_b32_e32 v1, v5, v1, vcc
	s_mov_b32 s6, 0x47800000
	v_cmp_gt_u32_e32 vcc, s6, v1
	v_readfirstlane_b32 s8, v1
	s_cbranch_vccz .LBB151_710
; %bb.708:
	s_cmp_gt_u32 s8, 0x387fffff
	s_cbranch_scc0 .LBB151_711
; %bb.709:
	s_bfe_u32 s6, s8, 0x10015
	s_add_i32 s6, s8, s6
	s_add_i32 s6, s6, 0x80fffff
	s_lshr_b32 s9, s6, 21
	s_mov_b64 s[6:7], 0
	s_branch .LBB151_712
.LBB151_710:
	s_mov_b64 s[6:7], -1
                                        ; implicit-def: $vgpr5
	s_branch .LBB151_715
.LBB151_711:
	s_mov_b64 s[6:7], -1
                                        ; implicit-def: $sgpr9
.LBB151_712:
	s_andn2_b64 vcc, exec, s[6:7]
	v_mov_b32_e32 v5, s9
	s_cbranch_vccnz .LBB151_714
; %bb.713:
	v_add_f32_e32 v5, 0x43000000, v1
.LBB151_714:
	s_mov_b64 s[6:7], 0
.LBB151_715:
	s_andn2_b64 vcc, exec, s[6:7]
	s_cbranch_vccnz .LBB151_717
; %bb.716:
	s_cmp_gt_u32 s8, 0x7f800000
	s_movk_i32 s6, 0x7f
	s_cselect_b32 s6, s6, 0x7c
	v_mov_b32_e32 v5, s6
.LBB151_717:
	global_store_byte v[3:4], v5, off
.LBB151_718:
	s_mov_b64 s[6:7], 0
	s_mov_b64 s[8:9], -1
.LBB151_719:
	s_andn2_b64 vcc, exec, s[6:7]
	s_mov_b64 s[6:7], 0
	s_cbranch_vccnz .LBB151_726
; %bb.720:
	s_cmp_gt_i32 s14, 14
	s_mov_b64 s[10:11], -1
	s_cbranch_scc0 .LBB151_724
; %bb.721:
	s_cmp_eq_u32 s14, 15
	s_mov_b64 s[4:5], -1
	s_cbranch_scc0 .LBB151_723
; %bb.722:
	s_and_b32 s4, s12, 0xff
	s_lshl_b32 s5, s4, 23
	s_cmpk_lg_i32 s4, 0xff
	v_mov_b32_e32 v1, 0x7f800001
	v_mov_b32_e32 v5, s5
	s_cselect_b64 vcc, -1, 0
	s_cmp_lg_u32 s4, 0
	v_cndmask_b32_e32 v1, v1, v5, vcc
	v_mov_b32_e32 v5, 0x400000
	s_cselect_b64 vcc, -1, 0
	v_cndmask_b32_e32 v1, v5, v1, vcc
	v_add_u32_e32 v5, 0x7fff, v1
	v_cmp_o_f32_e32 vcc, v1, v1
	v_mov_b32_e32 v1, 0x7fc0
	v_cndmask_b32_sdwa v1, v1, v5, vcc dst_sel:DWORD dst_unused:UNUSED_PAD src0_sel:DWORD src1_sel:WORD_1
	global_store_short v[3:4], v1, off
	s_mov_b64 s[4:5], 0
	s_mov_b64 s[8:9], -1
.LBB151_723:
	s_mov_b64 s[10:11], 0
.LBB151_724:
	s_and_b64 vcc, exec, s[10:11]
	s_cbranch_vccz .LBB151_726
; %bb.725:
	s_cmp_lg_u32 s14, 11
	s_mov_b64 s[6:7], -1
	s_cselect_b64 s[4:5], -1, 0
.LBB151_726:
	s_and_b64 vcc, exec, s[4:5]
	s_cbranch_vccnz .LBB151_824
; %bb.727:
	s_andn2_b64 vcc, exec, s[6:7]
	s_cbranch_vccnz .LBB151_729
.LBB151_728:
	v_mov_b32_e32 v1, 1
	s_mov_b64 s[8:9], -1
	global_store_byte v[3:4], v1, off
.LBB151_729:
	s_branch .LBB151_670
.LBB151_730:
	s_cmp_lt_i32 s14, 5
	s_mov_b64 s[4:5], -1
	s_cbranch_scc1 .LBB151_751
; %bb.731:
	s_cmp_lt_i32 s14, 8
	s_cbranch_scc1 .LBB151_741
; %bb.732:
	s_cmp_lt_i32 s14, 9
	s_cbranch_scc1 .LBB151_738
; %bb.733:
	s_cmp_gt_i32 s14, 9
	s_cbranch_scc0 .LBB151_735
; %bb.734:
	s_and_b32 s4, s12, 0xff
	s_lshl_b32 s5, s4, 23
	v_cvt_f64_f32_e32 v[5:6], s5
	s_cmpk_lg_i32 s4, 0xff
	v_bfrev_b32_e32 v1, 4
	s_cselect_b64 vcc, -1, 0
	v_cndmask_b32_e32 v1, v1, v5, vcc
	v_mov_b32_e32 v5, 0x7ff80000
	s_cmp_lg_u32 s4, 0
	v_cndmask_b32_e32 v5, v5, v6, vcc
	v_bfrev_b32_e32 v6, 28
	s_cselect_b64 vcc, -1, 0
	v_mov_b32_e32 v7, 0
	v_cndmask_b32_e32 v6, v6, v5, vcc
	v_cndmask_b32_e32 v5, 0, v1, vcc
	v_mov_b32_e32 v8, v7
	global_store_dwordx4 v[3:4], v[5:8], off
	s_mov_b64 s[4:5], 0
.LBB151_735:
	s_andn2_b64 vcc, exec, s[4:5]
	s_cbranch_vccnz .LBB151_737
; %bb.736:
	s_and_b32 s4, s12, 0xff
	s_lshl_b32 s5, s4, 23
	s_cmpk_lg_i32 s4, 0xff
	s_cselect_b32 s5, s5, 0x7f800001
	s_cmp_lg_u32 s4, 0
	s_cselect_b32 s4, s5, 0x400000
	v_mov_b32_e32 v5, s4
	v_mov_b32_e32 v6, 0
	global_store_dwordx2 v[3:4], v[5:6], off
.LBB151_737:
	s_mov_b64 s[4:5], 0
.LBB151_738:
	s_andn2_b64 vcc, exec, s[4:5]
	s_cbranch_vccnz .LBB151_740
; %bb.739:
	s_and_b32 s4, s12, 0xff
	s_lshl_b32 s5, s4, 23
	v_cvt_f16_f32_e32 v1, s5
	s_cmpk_lg_i32 s4, 0xff
	v_mov_b32_e32 v5, 0x7e00
	s_cselect_b64 vcc, -1, 0
	s_cmp_lg_u32 s4, 0
	v_cndmask_b32_e32 v1, v5, v1, vcc
	s_cselect_b64 vcc, -1, 0
	v_cndmask_b32_e32 v1, 0, v1, vcc
	global_store_dword v[3:4], v1, off
.LBB151_740:
	s_mov_b64 s[4:5], 0
.LBB151_741:
	s_andn2_b64 vcc, exec, s[4:5]
	s_cbranch_vccnz .LBB151_750
; %bb.742:
	s_cmp_lt_i32 s14, 6
	s_mov_b64 s[4:5], -1
	s_cbranch_scc1 .LBB151_748
; %bb.743:
	s_cmp_gt_i32 s14, 6
	s_cbranch_scc0 .LBB151_745
; %bb.744:
	s_and_b32 s4, s12, 0xff
	s_lshl_b32 s5, s4, 23
	v_cvt_f64_f32_e32 v[5:6], s5
	s_cmpk_lg_i32 s4, 0xff
	v_bfrev_b32_e32 v1, 4
	s_cselect_b64 vcc, -1, 0
	v_cndmask_b32_e32 v1, v1, v5, vcc
	v_mov_b32_e32 v5, 0x7ff80000
	s_cmp_lg_u32 s4, 0
	v_cndmask_b32_e32 v5, v5, v6, vcc
	v_bfrev_b32_e32 v6, 28
	s_cselect_b64 vcc, -1, 0
	v_cndmask_b32_e32 v6, v6, v5, vcc
	v_cndmask_b32_e32 v5, 0, v1, vcc
	global_store_dwordx2 v[3:4], v[5:6], off
	s_mov_b64 s[4:5], 0
.LBB151_745:
	s_andn2_b64 vcc, exec, s[4:5]
	s_cbranch_vccnz .LBB151_747
; %bb.746:
	s_and_b32 s4, s12, 0xff
	s_lshl_b32 s5, s4, 23
	s_cmpk_lg_i32 s4, 0xff
	v_mov_b32_e32 v1, 0x7f800001
	v_mov_b32_e32 v5, s5
	s_cselect_b64 vcc, -1, 0
	s_cmp_lg_u32 s4, 0
	v_cndmask_b32_e32 v1, v1, v5, vcc
	v_mov_b32_e32 v5, 0x400000
	s_cselect_b64 vcc, -1, 0
	v_cndmask_b32_e32 v1, v5, v1, vcc
	global_store_dword v[3:4], v1, off
.LBB151_747:
	s_mov_b64 s[4:5], 0
.LBB151_748:
	s_andn2_b64 vcc, exec, s[4:5]
	s_cbranch_vccnz .LBB151_750
; %bb.749:
	s_and_b32 s4, s12, 0xff
	s_lshl_b32 s5, s4, 23
	v_cvt_f16_f32_e32 v1, s5
	s_cmpk_lg_i32 s4, 0xff
	v_mov_b32_e32 v5, 0x7e00
	s_cselect_b64 vcc, -1, 0
	s_cmp_lg_u32 s4, 0
	v_cndmask_b32_e32 v1, v5, v1, vcc
	s_cselect_b64 vcc, -1, 0
	v_cndmask_b32_e32 v1, 0, v1, vcc
	global_store_short v[3:4], v1, off
.LBB151_750:
	s_mov_b64 s[4:5], 0
.LBB151_751:
	s_andn2_b64 vcc, exec, s[4:5]
	s_cbranch_vccnz .LBB151_767
; %bb.752:
	s_cmp_lt_i32 s14, 2
	s_mov_b64 s[4:5], -1
	s_cbranch_scc1 .LBB151_762
; %bb.753:
	s_cmp_lt_i32 s14, 3
	s_cbranch_scc1 .LBB151_759
; %bb.754:
	s_cmp_gt_i32 s14, 3
	s_cbranch_scc0 .LBB151_756
; %bb.755:
	s_and_b32 s4, s12, 0xff
	s_lshl_b32 s5, s4, 23
	v_trunc_f32_e32 v1, s5
	s_mov_b32 s5, 0x2f800000
	v_mul_f32_e64 v5, |v1|, s5
	v_floor_f32_e32 v5, v5
	s_mov_b32 s5, 0xcf800000
	v_fma_f32 v6, v5, s5, |v1|
	v_cvt_u32_f32_e32 v6, v6
	v_cvt_u32_f32_e32 v5, v5
	v_ashrrev_i32_e32 v1, 31, v1
	s_cmp_lg_u32 s4, 0
	v_xor_b32_e32 v6, v6, v1
	v_xor_b32_e32 v5, v5, v1
	v_sub_co_u32_e32 v7, vcc, v6, v1
	v_subb_co_u32_e32 v1, vcc, v5, v1, vcc
	s_cselect_b64 vcc, -1, 0
	v_cndmask_b32_e32 v6, 0, v1, vcc
	v_cndmask_b32_e32 v5, 0, v7, vcc
	global_store_dwordx2 v[3:4], v[5:6], off
	s_mov_b64 s[4:5], 0
.LBB151_756:
	s_andn2_b64 vcc, exec, s[4:5]
	s_cbranch_vccnz .LBB151_758
; %bb.757:
	s_and_b32 s4, s12, 0xff
	s_lshl_b32 s5, s4, 23
	v_cvt_i32_f32_e32 v1, s5
	s_cmp_lg_u32 s4, 0
	s_cselect_b64 vcc, -1, 0
	v_cndmask_b32_e32 v1, 0, v1, vcc
	global_store_dword v[3:4], v1, off
.LBB151_758:
	s_mov_b64 s[4:5], 0
.LBB151_759:
	s_andn2_b64 vcc, exec, s[4:5]
	s_cbranch_vccnz .LBB151_761
; %bb.760:
	s_and_b32 s4, s12, 0xff
	s_lshl_b32 s5, s4, 23
	v_cvt_i32_f32_e32 v1, s5
	s_cmp_lg_u32 s4, 0
	s_cselect_b64 vcc, -1, 0
	v_cndmask_b32_e32 v1, 0, v1, vcc
	global_store_short v[3:4], v1, off
.LBB151_761:
	s_mov_b64 s[4:5], 0
.LBB151_762:
	s_andn2_b64 vcc, exec, s[4:5]
	s_cbranch_vccnz .LBB151_767
; %bb.763:
	s_cmp_gt_i32 s14, 0
	s_mov_b64 s[4:5], -1
	s_cbranch_scc0 .LBB151_765
; %bb.764:
	s_and_b32 s4, s12, 0xff
	s_lshl_b32 s5, s4, 23
	v_cvt_i32_f32_e32 v1, s5
	s_cmp_lg_u32 s4, 0
	s_cselect_b64 vcc, -1, 0
	s_mov_b64 s[4:5], 0
	v_cndmask_b32_e32 v1, 0, v1, vcc
	global_store_byte v[3:4], v1, off
.LBB151_765:
	s_andn2_b64 vcc, exec, s[4:5]
	s_cbranch_vccnz .LBB151_767
; %bb.766:
	s_and_b32 s4, s12, 0xff
	s_lshl_b32 s5, s4, 23
	v_trunc_f32_e32 v1, s5
	s_mov_b32 s5, 0x2f800000
	v_mul_f32_e64 v5, |v1|, s5
	v_floor_f32_e32 v5, v5
	s_mov_b32 s5, 0xcf800000
	v_fma_f32 v5, v5, s5, |v1|
	v_cvt_u32_f32_e32 v5, v5
	v_ashrrev_i32_e32 v1, 31, v1
	s_cmp_lg_u32 s4, 0
	s_cselect_b64 vcc, -1, 0
	v_xor_b32_e32 v5, v5, v1
	v_sub_u32_e32 v1, v5, v1
	v_cndmask_b32_e32 v1, 0, v1, vcc
	global_store_byte v[3:4], v1, off
.LBB151_767:
.LBB151_768:
	v_mov_b32_e32 v3, s3
	v_add_co_u32_e32 v1, vcc, s2, v2
	s_cmp_lt_i32 s14, 11
	v_addc_co_u32_e32 v2, vcc, 0, v3, vcc
	s_cbranch_scc1 .LBB151_794
; %bb.769:
	s_mov_b64 s[10:11], -1
	s_mov_b64 s[6:7], 0
	s_cmp_gt_i32 s14, 25
	s_mov_b64 s[8:9], 0
	s_mov_b64 s[4:5], 0
	s_cbranch_scc0 .LBB151_833
; %bb.770:
	s_cmp_gt_i32 s14, 28
	s_cbranch_scc0 .LBB151_783
; %bb.771:
	s_cmp_gt_i32 s14, 43
	;; [unrolled: 3-line block ×3, first 2 shown]
	s_cbranch_scc0 .LBB151_775
; %bb.773:
	s_mov_b64 s[4:5], -1
	s_mov_b64 s[10:11], 0
	s_cmp_eq_u32 s14, 46
	s_cbranch_scc0 .LBB151_775
; %bb.774:
	s_and_b32 s4, s12, 0xff
	s_lshl_b32 s5, s4, 23
	s_cmpk_lg_i32 s4, 0xff
	v_mov_b32_e32 v3, 0x7f800001
	v_mov_b32_e32 v4, s5
	s_cselect_b64 vcc, -1, 0
	s_cmp_lg_u32 s4, 0
	v_cndmask_b32_e32 v3, v3, v4, vcc
	v_mov_b32_e32 v4, 0x400000
	s_cselect_b64 vcc, -1, 0
	v_cndmask_b32_e32 v3, v4, v3, vcc
	v_add_u32_e32 v4, 0x7fff, v3
	v_cmp_o_f32_e32 vcc, v3, v3
	v_mov_b32_e32 v3, 0x7fc0
	v_cndmask_b32_sdwa v3, v3, v4, vcc dst_sel:DWORD dst_unused:UNUSED_PAD src0_sel:DWORD src1_sel:WORD_1
	global_store_dword v[1:2], v3, off
	s_mov_b64 s[4:5], 0
	s_mov_b64 s[8:9], -1
.LBB151_775:
	s_and_b64 vcc, exec, s[10:11]
	s_cbranch_vccz .LBB151_778
; %bb.776:
	s_cmp_eq_u32 s14, 44
	s_mov_b64 s[4:5], -1
	s_cbranch_scc0 .LBB151_778
; %bb.777:
	v_mov_b32_e32 v3, s12
	global_store_byte v[1:2], v3, off
	s_mov_b64 s[4:5], 0
	s_mov_b64 s[8:9], -1
.LBB151_778:
	s_mov_b64 s[10:11], 0
.LBB151_779:
	s_and_b64 vcc, exec, s[10:11]
	s_cbranch_vccz .LBB151_782
; %bb.780:
	s_cmp_eq_u32 s14, 29
	s_mov_b64 s[4:5], -1
	s_cbranch_scc0 .LBB151_782
; %bb.781:
	s_and_b32 s4, s12, 0xff
	s_lshl_b32 s5, s4, 23
	v_trunc_f32_e32 v3, s5
	v_mul_f32_e32 v4, 0x2f800000, v3
	v_floor_f32_e32 v4, v4
	v_fmac_f32_e32 v3, 0xcf800000, v4
	v_cvt_u32_f32_e32 v4, v4
	v_cvt_u32_f32_e32 v3, v3
	s_cmp_lg_u32 s4, 0
	s_cselect_b64 vcc, -1, 0
	v_cndmask_b32_e32 v4, 0, v4, vcc
	v_cndmask_b32_e32 v3, 0, v3, vcc
	global_store_dwordx2 v[1:2], v[3:4], off
	s_mov_b64 s[4:5], 0
	s_mov_b64 s[8:9], -1
.LBB151_782:
	s_mov_b64 s[10:11], 0
.LBB151_783:
	s_and_b64 vcc, exec, s[10:11]
	s_cbranch_vccz .LBB151_832
; %bb.784:
	s_cmp_lt_i32 s14, 27
	s_mov_b64 s[8:9], -1
	s_cbranch_scc1 .LBB151_790
; %bb.785:
	s_cmp_gt_i32 s14, 27
	s_cbranch_scc0 .LBB151_787
; %bb.786:
	s_and_b32 s8, s12, 0xff
	s_lshl_b32 s9, s8, 23
	v_cvt_u32_f32_e32 v3, s9
	s_cmp_lg_u32 s8, 0
	s_cselect_b64 vcc, -1, 0
	s_mov_b64 s[8:9], 0
	v_cndmask_b32_e32 v3, 0, v3, vcc
	global_store_dword v[1:2], v3, off
.LBB151_787:
	s_andn2_b64 vcc, exec, s[8:9]
	s_cbranch_vccnz .LBB151_789
; %bb.788:
	s_and_b32 s8, s12, 0xff
	s_lshl_b32 s9, s8, 23
	v_cvt_u32_f32_e32 v3, s9
	s_cmp_lg_u32 s8, 0
	s_cselect_b64 vcc, -1, 0
	v_cndmask_b32_e32 v3, 0, v3, vcc
	global_store_short v[1:2], v3, off
.LBB151_789:
	s_mov_b64 s[8:9], 0
.LBB151_790:
	s_andn2_b64 vcc, exec, s[8:9]
	s_cbranch_vccnz .LBB151_831
; %bb.791:
	s_and_b32 s8, s12, 0xff
	s_lshl_b32 s9, s8, 23
	s_cmpk_lg_i32 s8, 0xff
	v_mov_b32_e32 v3, 0x7f800001
	v_mov_b32_e32 v4, s9
	s_cselect_b64 vcc, -1, 0
	s_cmp_lg_u32 s8, 0
	v_cndmask_b32_e32 v3, v3, v4, vcc
	v_mov_b32_e32 v4, 0x400000
	s_cselect_b64 vcc, -1, 0
	v_cndmask_b32_e32 v3, v4, v3, vcc
	s_mov_b32 s9, 0x437fffff
	v_cmp_lt_u32_e32 vcc, s9, v3
	v_readfirstlane_b32 s8, v3
	v_mov_b32_e32 v5, 0x80
	s_cbranch_vccnz .LBB151_830
; %bb.792:
	s_cmp_gt_u32 s8, 0x3bffffff
	s_cbranch_scc0 .LBB151_825
; %bb.793:
	s_bfe_u32 s9, s8, 0x10014
	s_add_i32 s8, s8, s9
	s_add_i32 s8, s8, 0x487ffff
	s_lshr_b32 s15, s8, 20
	s_mov_b64 s[10:11], 0
	s_mov_b64 s[8:9], -1
	s_branch .LBB151_826
.LBB151_794:
	s_mov_b64 s[8:9], 0
	s_cbranch_execnz .LBB151_897
.LBB151_795:
	s_andn2_b64 vcc, exec, s[8:9]
	s_cbranch_vccnz .LBB151_935
.LBB151_796:
	v_mov_b32_e32 v1, s3
	v_add_co_u32_e32 v0, vcc, s2, v0
	s_cmp_lt_i32 s14, 11
	v_addc_co_u32_e32 v1, vcc, 0, v1, vcc
	s_cbranch_scc1 .LBB151_823
; %bb.797:
	s_mov_b64 s[6:7], -1
	s_mov_b64 s[4:5], 0
	s_cmp_gt_i32 s14, 25
	s_mov_b64 s[2:3], 0
	s_cbranch_scc0 .LBB151_847
; %bb.798:
	s_cmp_gt_i32 s14, 28
	s_cbranch_scc0 .LBB151_812
; %bb.799:
	s_cmp_gt_i32 s14, 43
	s_cbranch_scc0 .LBB151_808
; %bb.800:
	s_cmp_gt_i32 s14, 45
	s_cbranch_scc0 .LBB151_804
; %bb.801:
	s_cmp_eq_u32 s14, 46
	s_mov_b64 s[2:3], -1
	s_cbranch_scc0 .LBB151_803
; %bb.802:
	s_and_b32 s2, s12, 0xff
	s_lshl_b32 s3, s2, 23
	s_cmpk_lg_i32 s2, 0xff
	v_mov_b32_e32 v2, 0x7f800001
	v_mov_b32_e32 v3, s3
	s_cselect_b64 vcc, -1, 0
	s_cmp_lg_u32 s2, 0
	v_cndmask_b32_e32 v2, v2, v3, vcc
	v_mov_b32_e32 v3, 0x400000
	s_cselect_b64 vcc, -1, 0
	v_cndmask_b32_e32 v2, v3, v2, vcc
	v_add_u32_e32 v3, 0x7fff, v2
	v_cmp_o_f32_e32 vcc, v2, v2
	v_mov_b32_e32 v2, 0x7fc0
	v_cndmask_b32_sdwa v2, v2, v3, vcc dst_sel:DWORD dst_unused:UNUSED_PAD src0_sel:DWORD src1_sel:WORD_1
	global_store_dword v[0:1], v2, off
	s_mov_b64 s[2:3], 0
.LBB151_803:
	s_mov_b64 s[6:7], 0
.LBB151_804:
	s_and_b64 vcc, exec, s[6:7]
	s_cbranch_vccz .LBB151_807
; %bb.805:
	s_cmp_eq_u32 s14, 44
	s_mov_b64 s[2:3], -1
	s_cbranch_scc0 .LBB151_807
; %bb.806:
	v_mov_b32_e32 v2, s12
	global_store_byte v[0:1], v2, off
	s_mov_b64 s[2:3], 0
.LBB151_807:
	s_mov_b64 s[6:7], 0
.LBB151_808:
	s_and_b64 vcc, exec, s[6:7]
	s_cbranch_vccz .LBB151_811
; %bb.809:
	s_cmp_eq_u32 s14, 29
	s_mov_b64 s[2:3], -1
	s_cbranch_scc0 .LBB151_811
; %bb.810:
	s_and_b32 s2, s12, 0xff
	s_lshl_b32 s3, s2, 23
	v_trunc_f32_e32 v2, s3
	v_mul_f32_e32 v3, 0x2f800000, v2
	v_floor_f32_e32 v3, v3
	v_fmac_f32_e32 v2, 0xcf800000, v3
	v_cvt_u32_f32_e32 v3, v3
	v_cvt_u32_f32_e32 v2, v2
	s_cmp_lg_u32 s2, 0
	s_cselect_b64 vcc, -1, 0
	v_cndmask_b32_e32 v3, 0, v3, vcc
	v_cndmask_b32_e32 v2, 0, v2, vcc
	global_store_dwordx2 v[0:1], v[2:3], off
	s_mov_b64 s[2:3], 0
.LBB151_811:
	s_mov_b64 s[6:7], 0
.LBB151_812:
	s_and_b64 vcc, exec, s[6:7]
	s_cbranch_vccz .LBB151_846
; %bb.813:
	s_cmp_lt_i32 s14, 27
	s_mov_b64 s[6:7], -1
	s_cbranch_scc1 .LBB151_819
; %bb.814:
	s_cmp_gt_i32 s14, 27
	s_cbranch_scc0 .LBB151_816
; %bb.815:
	s_and_b32 s6, s12, 0xff
	s_lshl_b32 s7, s6, 23
	v_cvt_u32_f32_e32 v2, s7
	s_cmp_lg_u32 s6, 0
	s_cselect_b64 vcc, -1, 0
	s_mov_b64 s[6:7], 0
	v_cndmask_b32_e32 v2, 0, v2, vcc
	global_store_dword v[0:1], v2, off
.LBB151_816:
	s_andn2_b64 vcc, exec, s[6:7]
	s_cbranch_vccnz .LBB151_818
; %bb.817:
	s_and_b32 s6, s12, 0xff
	s_lshl_b32 s7, s6, 23
	v_cvt_u32_f32_e32 v2, s7
	s_cmp_lg_u32 s6, 0
	s_cselect_b64 vcc, -1, 0
	v_cndmask_b32_e32 v2, 0, v2, vcc
	global_store_short v[0:1], v2, off
.LBB151_818:
	s_mov_b64 s[6:7], 0
.LBB151_819:
	s_andn2_b64 vcc, exec, s[6:7]
	s_cbranch_vccnz .LBB151_846
; %bb.820:
	s_and_b32 s6, s12, 0xff
	s_lshl_b32 s7, s6, 23
	s_cmpk_lg_i32 s6, 0xff
	v_mov_b32_e32 v2, 0x7f800001
	v_mov_b32_e32 v3, s7
	s_cselect_b64 vcc, -1, 0
	s_cmp_lg_u32 s6, 0
	v_cndmask_b32_e32 v2, v2, v3, vcc
	v_mov_b32_e32 v3, 0x400000
	s_cselect_b64 vcc, -1, 0
	v_cndmask_b32_e32 v2, v3, v2, vcc
	s_mov_b32 s7, 0x437fffff
	v_cmp_lt_u32_e32 vcc, s7, v2
	v_readfirstlane_b32 s6, v2
	v_mov_b32_e32 v4, 0x80
	s_cbranch_vccnz .LBB151_845
; %bb.821:
	s_cmp_gt_u32 s6, 0x3bffffff
	s_cbranch_scc0 .LBB151_840
; %bb.822:
	s_bfe_u32 s7, s6, 0x10014
	s_add_i32 s6, s6, s7
	s_add_i32 s6, s6, 0x487ffff
	s_lshr_b32 s10, s6, 20
	s_mov_b64 s[8:9], 0
	s_mov_b64 s[6:7], -1
	s_branch .LBB151_841
.LBB151_823:
	s_mov_b64 s[4:5], 0
	s_mov_b64 s[2:3], -1
	s_branch .LBB151_936
.LBB151_824:
	s_trap 2
	s_or_b64 s[0:1], s[0:1], exec
	s_cbranch_execz .LBB151_728
	s_branch .LBB151_729
.LBB151_825:
	s_mov_b64 s[10:11], -1
	s_mov_b64 s[8:9], 0
                                        ; implicit-def: $sgpr15
.LBB151_826:
	s_andn2_b64 vcc, exec, s[10:11]
	v_mov_b32_e32 v4, s15
	s_cbranch_vccnz .LBB151_828
; %bb.827:
	v_add_f32_e32 v3, 0x46000000, v3
	v_and_b32_e32 v4, 0xff, v3
	v_cmp_ne_u32_e64 s[8:9], 0, v4
.LBB151_828:
	s_andn2_b64 vcc, exec, s[8:9]
	v_mov_b32_e32 v5, 0
	s_cbranch_vccnz .LBB151_830
; %bb.829:
	v_mov_b32_e32 v5, v4
.LBB151_830:
	global_store_byte v[1:2], v5, off
.LBB151_831:
	s_mov_b64 s[8:9], -1
.LBB151_832:
	s_mov_b64 s[10:11], 0
.LBB151_833:
	s_and_b64 vcc, exec, s[10:11]
	s_cbranch_vccz .LBB151_893
; %bb.834:
	s_cmp_gt_i32 s14, 22
	s_mov_b64 s[6:7], -1
	s_cbranch_scc0 .LBB151_886
; %bb.835:
	s_cmp_lt_i32 s14, 24
	s_cbranch_scc1 .LBB151_873
; %bb.836:
	s_cmp_gt_i32 s14, 24
	s_cbranch_scc0 .LBB151_860
; %bb.837:
	s_and_b32 s6, s12, 0xff
	s_lshl_b32 s7, s6, 23
	s_cmpk_lg_i32 s6, 0xff
	v_mov_b32_e32 v3, 0x7f800001
	v_mov_b32_e32 v4, s7
	s_cselect_b64 vcc, -1, 0
	s_cmp_lg_u32 s6, 0
	v_cndmask_b32_e32 v3, v3, v4, vcc
	v_mov_b32_e32 v4, 0x400000
	s_cselect_b64 vcc, -1, 0
	v_cndmask_b32_e32 v3, v4, v3, vcc
	s_mov_b32 s7, 0x477fffff
	v_cmp_lt_u32_e32 vcc, s7, v3
	v_readfirstlane_b32 s6, v3
	v_mov_b32_e32 v5, 0x80
	s_cbranch_vccnz .LBB151_859
; %bb.838:
	s_cmp_gt_u32 s6, 0x37ffffff
	s_cbranch_scc0 .LBB151_854
; %bb.839:
	s_bfe_u32 s7, s6, 0x10015
	s_add_i32 s6, s6, s7
	s_add_i32 s6, s6, 0x88fffff
	s_lshr_b32 s10, s6, 21
	s_mov_b64 s[8:9], 0
	s_mov_b64 s[6:7], -1
	s_branch .LBB151_855
.LBB151_840:
	s_mov_b64 s[8:9], -1
	s_mov_b64 s[6:7], 0
                                        ; implicit-def: $sgpr10
.LBB151_841:
	s_andn2_b64 vcc, exec, s[8:9]
	v_mov_b32_e32 v3, s10
	s_cbranch_vccnz .LBB151_843
; %bb.842:
	v_add_f32_e32 v2, 0x46000000, v2
	v_and_b32_e32 v3, 0xff, v2
	v_cmp_ne_u32_e64 s[6:7], 0, v3
.LBB151_843:
	s_andn2_b64 vcc, exec, s[6:7]
	v_mov_b32_e32 v4, 0
	s_cbranch_vccnz .LBB151_845
; %bb.844:
	v_mov_b32_e32 v4, v3
.LBB151_845:
	global_store_byte v[0:1], v4, off
.LBB151_846:
	s_mov_b64 s[6:7], 0
.LBB151_847:
	s_and_b64 vcc, exec, s[6:7]
	s_cbranch_vccz .LBB151_1020
; %bb.848:
	s_cmp_gt_i32 s14, 22
	s_mov_b64 s[4:5], -1
	s_cbranch_scc0 .LBB151_1013
; %bb.849:
	s_cmp_lt_i32 s14, 24
	s_cbranch_scc1 .LBB151_1000
; %bb.850:
	s_cmp_gt_i32 s14, 24
	s_cbranch_scc0 .LBB151_987
; %bb.851:
	s_and_b32 s4, s12, 0xff
	s_lshl_b32 s5, s4, 23
	s_cmpk_lg_i32 s4, 0xff
	v_mov_b32_e32 v2, 0x7f800001
	v_mov_b32_e32 v3, s5
	s_cselect_b64 vcc, -1, 0
	s_cmp_lg_u32 s4, 0
	v_cndmask_b32_e32 v2, v2, v3, vcc
	v_mov_b32_e32 v3, 0x400000
	s_cselect_b64 vcc, -1, 0
	v_cndmask_b32_e32 v2, v3, v2, vcc
	s_mov_b32 s5, 0x477fffff
	v_cmp_lt_u32_e32 vcc, s5, v2
	v_readfirstlane_b32 s4, v2
	v_mov_b32_e32 v4, 0x80
	s_cbranch_vccnz .LBB151_986
; %bb.852:
	s_cmp_gt_u32 s4, 0x37ffffff
	s_cbranch_scc0 .LBB151_981
; %bb.853:
	s_bfe_u32 s5, s4, 0x10015
	s_add_i32 s4, s4, s5
	s_add_i32 s4, s4, 0x88fffff
	s_lshr_b32 s8, s4, 21
	s_mov_b64 s[6:7], 0
	s_mov_b64 s[4:5], -1
	s_branch .LBB151_982
.LBB151_854:
	s_mov_b64 s[8:9], -1
	s_mov_b64 s[6:7], 0
                                        ; implicit-def: $sgpr10
.LBB151_855:
	s_andn2_b64 vcc, exec, s[8:9]
	v_mov_b32_e32 v4, s10
	s_cbranch_vccnz .LBB151_857
; %bb.856:
	v_add_f32_e32 v3, 0x42800000, v3
	v_and_b32_e32 v4, 0xff, v3
	v_cmp_ne_u32_e64 s[6:7], 0, v4
.LBB151_857:
	s_andn2_b64 vcc, exec, s[6:7]
	v_mov_b32_e32 v5, 0
	s_cbranch_vccnz .LBB151_859
; %bb.858:
	v_mov_b32_e32 v5, v4
.LBB151_859:
	s_mov_b64 s[6:7], 0
	global_store_byte v[1:2], v5, off
.LBB151_860:
	s_and_b64 vcc, exec, s[6:7]
	s_cbranch_vccz .LBB151_872
; %bb.861:
	s_and_b32 s6, s12, 0xff
	s_lshl_b32 s7, s6, 23
	s_cmpk_lg_i32 s6, 0xff
	v_mov_b32_e32 v3, 0x7f800001
	v_mov_b32_e32 v4, s7
	s_cselect_b64 vcc, -1, 0
	s_cmp_lg_u32 s6, 0
	v_cndmask_b32_e32 v3, v3, v4, vcc
	v_mov_b32_e32 v4, 0x400000
	s_cselect_b64 vcc, -1, 0
	v_cndmask_b32_e32 v3, v4, v3, vcc
	s_mov_b32 s6, 0x43f00000
	v_cmp_gt_u32_e32 vcc, s6, v3
	v_readfirstlane_b32 s8, v3
	s_cbranch_vccz .LBB151_864
; %bb.862:
	s_cmp_gt_u32 s8, 0x3c7fffff
	s_cbranch_scc0 .LBB151_865
; %bb.863:
	s_bfe_u32 s6, s8, 0x10014
	s_add_i32 s6, s8, s6
	s_add_i32 s6, s6, 0x407ffff
	s_lshr_b32 s7, s6, 20
	s_and_b32 s6, s6, 0xff00000
	s_cmp_lg_u32 s6, 0x7f00000
	s_cselect_b32 s9, s7, 0x7e
	s_mov_b64 s[6:7], 0
	s_branch .LBB151_866
.LBB151_864:
	s_mov_b64 s[6:7], -1
                                        ; implicit-def: $vgpr4
	s_branch .LBB151_869
.LBB151_865:
	s_mov_b64 s[6:7], -1
                                        ; implicit-def: $sgpr9
.LBB151_866:
	s_andn2_b64 vcc, exec, s[6:7]
	v_mov_b32_e32 v4, s9
	s_cbranch_vccnz .LBB151_868
; %bb.867:
	v_add_f32_e32 v4, 0x46800000, v3
.LBB151_868:
	s_mov_b64 s[6:7], 0
.LBB151_869:
	s_andn2_b64 vcc, exec, s[6:7]
	s_cbranch_vccnz .LBB151_871
; %bb.870:
	s_cmp_gt_u32 s8, 0x7f800000
	s_movk_i32 s6, 0x7f
	s_cselect_b32 s6, s6, 0x7e
	v_mov_b32_e32 v4, s6
.LBB151_871:
	global_store_byte v[1:2], v4, off
.LBB151_872:
	s_mov_b64 s[6:7], 0
.LBB151_873:
	s_andn2_b64 vcc, exec, s[6:7]
	s_cbranch_vccnz .LBB151_885
; %bb.874:
	s_and_b32 s6, s12, 0xff
	s_lshl_b32 s7, s6, 23
	s_cmpk_lg_i32 s6, 0xff
	v_mov_b32_e32 v3, 0x7f800001
	v_mov_b32_e32 v4, s7
	s_cselect_b64 vcc, -1, 0
	s_cmp_lg_u32 s6, 0
	v_cndmask_b32_e32 v3, v3, v4, vcc
	v_mov_b32_e32 v4, 0x400000
	s_cselect_b64 vcc, -1, 0
	v_cndmask_b32_e32 v3, v4, v3, vcc
	s_mov_b32 s6, 0x47800000
	v_cmp_gt_u32_e32 vcc, s6, v3
	v_readfirstlane_b32 s8, v3
	s_cbranch_vccz .LBB151_877
; %bb.875:
	s_cmp_gt_u32 s8, 0x387fffff
	s_cbranch_scc0 .LBB151_878
; %bb.876:
	s_bfe_u32 s6, s8, 0x10015
	s_add_i32 s6, s8, s6
	s_add_i32 s6, s6, 0x80fffff
	s_lshr_b32 s9, s6, 21
	s_mov_b64 s[6:7], 0
	s_branch .LBB151_879
.LBB151_877:
	s_mov_b64 s[6:7], -1
                                        ; implicit-def: $vgpr4
	s_branch .LBB151_882
.LBB151_878:
	s_mov_b64 s[6:7], -1
                                        ; implicit-def: $sgpr9
.LBB151_879:
	s_andn2_b64 vcc, exec, s[6:7]
	v_mov_b32_e32 v4, s9
	s_cbranch_vccnz .LBB151_881
; %bb.880:
	v_add_f32_e32 v4, 0x43000000, v3
.LBB151_881:
	s_mov_b64 s[6:7], 0
.LBB151_882:
	s_andn2_b64 vcc, exec, s[6:7]
	s_cbranch_vccnz .LBB151_884
; %bb.883:
	s_cmp_gt_u32 s8, 0x7f800000
	s_movk_i32 s6, 0x7f
	s_cselect_b32 s6, s6, 0x7c
	v_mov_b32_e32 v4, s6
.LBB151_884:
	global_store_byte v[1:2], v4, off
.LBB151_885:
	s_mov_b64 s[6:7], 0
	s_mov_b64 s[8:9], -1
.LBB151_886:
	s_andn2_b64 vcc, exec, s[6:7]
	s_mov_b64 s[6:7], 0
	s_cbranch_vccnz .LBB151_893
; %bb.887:
	s_cmp_gt_i32 s14, 14
	s_mov_b64 s[10:11], -1
	s_cbranch_scc0 .LBB151_891
; %bb.888:
	s_cmp_eq_u32 s14, 15
	s_mov_b64 s[4:5], -1
	s_cbranch_scc0 .LBB151_890
; %bb.889:
	s_and_b32 s4, s12, 0xff
	s_lshl_b32 s5, s4, 23
	s_cmpk_lg_i32 s4, 0xff
	v_mov_b32_e32 v3, 0x7f800001
	v_mov_b32_e32 v4, s5
	s_cselect_b64 vcc, -1, 0
	s_cmp_lg_u32 s4, 0
	v_cndmask_b32_e32 v3, v3, v4, vcc
	v_mov_b32_e32 v4, 0x400000
	s_cselect_b64 vcc, -1, 0
	v_cndmask_b32_e32 v3, v4, v3, vcc
	v_add_u32_e32 v4, 0x7fff, v3
	v_cmp_o_f32_e32 vcc, v3, v3
	v_mov_b32_e32 v3, 0x7fc0
	v_cndmask_b32_sdwa v3, v3, v4, vcc dst_sel:DWORD dst_unused:UNUSED_PAD src0_sel:DWORD src1_sel:WORD_1
	global_store_short v[1:2], v3, off
	s_mov_b64 s[4:5], 0
	s_mov_b64 s[8:9], -1
.LBB151_890:
	s_mov_b64 s[10:11], 0
.LBB151_891:
	s_and_b64 vcc, exec, s[10:11]
	s_cbranch_vccz .LBB151_893
; %bb.892:
	s_cmp_lg_u32 s14, 11
	s_mov_b64 s[6:7], -1
	s_cselect_b64 s[4:5], -1, 0
.LBB151_893:
	s_and_b64 vcc, exec, s[4:5]
	s_cbranch_vccnz .LBB151_980
; %bb.894:
	s_andn2_b64 vcc, exec, s[6:7]
	s_cbranch_vccnz .LBB151_896
.LBB151_895:
	v_mov_b32_e32 v3, 1
	s_mov_b64 s[8:9], -1
	global_store_byte v[1:2], v3, off
.LBB151_896:
	s_branch .LBB151_795
.LBB151_897:
	s_cmp_lt_i32 s14, 5
	s_mov_b64 s[4:5], -1
	s_cbranch_scc1 .LBB151_918
; %bb.898:
	s_cmp_lt_i32 s14, 8
	s_cbranch_scc1 .LBB151_908
; %bb.899:
	s_cmp_lt_i32 s14, 9
	s_cbranch_scc1 .LBB151_905
; %bb.900:
	s_cmp_gt_i32 s14, 9
	s_cbranch_scc0 .LBB151_902
; %bb.901:
	s_and_b32 s4, s12, 0xff
	s_lshl_b32 s5, s4, 23
	v_cvt_f64_f32_e32 v[3:4], s5
	s_cmpk_lg_i32 s4, 0xff
	v_bfrev_b32_e32 v5, 4
	s_cselect_b64 vcc, -1, 0
	v_cndmask_b32_e32 v3, v5, v3, vcc
	v_mov_b32_e32 v5, 0x7ff80000
	s_cmp_lg_u32 s4, 0
	v_cndmask_b32_e32 v4, v5, v4, vcc
	v_bfrev_b32_e32 v5, 28
	s_cselect_b64 vcc, -1, 0
	v_cndmask_b32_e32 v4, v5, v4, vcc
	v_mov_b32_e32 v5, 0
	v_cndmask_b32_e32 v3, 0, v3, vcc
	v_mov_b32_e32 v6, v5
	global_store_dwordx4 v[1:2], v[3:6], off
	s_mov_b64 s[4:5], 0
.LBB151_902:
	s_andn2_b64 vcc, exec, s[4:5]
	s_cbranch_vccnz .LBB151_904
; %bb.903:
	s_and_b32 s4, s12, 0xff
	s_lshl_b32 s5, s4, 23
	s_cmpk_lg_i32 s4, 0xff
	s_cselect_b32 s5, s5, 0x7f800001
	s_cmp_lg_u32 s4, 0
	s_cselect_b32 s4, s5, 0x400000
	v_mov_b32_e32 v3, s4
	v_mov_b32_e32 v4, 0
	global_store_dwordx2 v[1:2], v[3:4], off
.LBB151_904:
	s_mov_b64 s[4:5], 0
.LBB151_905:
	s_andn2_b64 vcc, exec, s[4:5]
	s_cbranch_vccnz .LBB151_907
; %bb.906:
	s_and_b32 s4, s12, 0xff
	s_lshl_b32 s5, s4, 23
	v_cvt_f16_f32_e32 v3, s5
	s_cmpk_lg_i32 s4, 0xff
	v_mov_b32_e32 v4, 0x7e00
	s_cselect_b64 vcc, -1, 0
	s_cmp_lg_u32 s4, 0
	v_cndmask_b32_e32 v3, v4, v3, vcc
	s_cselect_b64 vcc, -1, 0
	v_cndmask_b32_e32 v3, 0, v3, vcc
	global_store_dword v[1:2], v3, off
.LBB151_907:
	s_mov_b64 s[4:5], 0
.LBB151_908:
	s_andn2_b64 vcc, exec, s[4:5]
	s_cbranch_vccnz .LBB151_917
; %bb.909:
	s_cmp_lt_i32 s14, 6
	s_mov_b64 s[4:5], -1
	s_cbranch_scc1 .LBB151_915
; %bb.910:
	s_cmp_gt_i32 s14, 6
	s_cbranch_scc0 .LBB151_912
; %bb.911:
	s_and_b32 s4, s12, 0xff
	s_lshl_b32 s5, s4, 23
	v_cvt_f64_f32_e32 v[3:4], s5
	s_cmpk_lg_i32 s4, 0xff
	v_bfrev_b32_e32 v5, 4
	s_cselect_b64 vcc, -1, 0
	v_cndmask_b32_e32 v3, v5, v3, vcc
	v_mov_b32_e32 v5, 0x7ff80000
	s_cmp_lg_u32 s4, 0
	v_cndmask_b32_e32 v4, v5, v4, vcc
	v_bfrev_b32_e32 v5, 28
	s_cselect_b64 vcc, -1, 0
	v_cndmask_b32_e32 v4, v5, v4, vcc
	v_cndmask_b32_e32 v3, 0, v3, vcc
	global_store_dwordx2 v[1:2], v[3:4], off
	s_mov_b64 s[4:5], 0
.LBB151_912:
	s_andn2_b64 vcc, exec, s[4:5]
	s_cbranch_vccnz .LBB151_914
; %bb.913:
	s_and_b32 s4, s12, 0xff
	s_lshl_b32 s5, s4, 23
	s_cmpk_lg_i32 s4, 0xff
	v_mov_b32_e32 v3, 0x7f800001
	v_mov_b32_e32 v4, s5
	s_cselect_b64 vcc, -1, 0
	s_cmp_lg_u32 s4, 0
	v_cndmask_b32_e32 v3, v3, v4, vcc
	v_mov_b32_e32 v4, 0x400000
	s_cselect_b64 vcc, -1, 0
	v_cndmask_b32_e32 v3, v4, v3, vcc
	global_store_dword v[1:2], v3, off
.LBB151_914:
	s_mov_b64 s[4:5], 0
.LBB151_915:
	s_andn2_b64 vcc, exec, s[4:5]
	s_cbranch_vccnz .LBB151_917
; %bb.916:
	s_and_b32 s4, s12, 0xff
	s_lshl_b32 s5, s4, 23
	v_cvt_f16_f32_e32 v3, s5
	s_cmpk_lg_i32 s4, 0xff
	v_mov_b32_e32 v4, 0x7e00
	s_cselect_b64 vcc, -1, 0
	s_cmp_lg_u32 s4, 0
	v_cndmask_b32_e32 v3, v4, v3, vcc
	s_cselect_b64 vcc, -1, 0
	v_cndmask_b32_e32 v3, 0, v3, vcc
	global_store_short v[1:2], v3, off
.LBB151_917:
	s_mov_b64 s[4:5], 0
.LBB151_918:
	s_andn2_b64 vcc, exec, s[4:5]
	s_cbranch_vccnz .LBB151_934
; %bb.919:
	s_cmp_lt_i32 s14, 2
	s_mov_b64 s[4:5], -1
	s_cbranch_scc1 .LBB151_929
; %bb.920:
	s_cmp_lt_i32 s14, 3
	s_cbranch_scc1 .LBB151_926
; %bb.921:
	s_cmp_gt_i32 s14, 3
	s_cbranch_scc0 .LBB151_923
; %bb.922:
	s_and_b32 s4, s12, 0xff
	s_lshl_b32 s5, s4, 23
	v_trunc_f32_e32 v3, s5
	s_mov_b32 s5, 0x2f800000
	v_mul_f32_e64 v4, |v3|, s5
	v_floor_f32_e32 v4, v4
	s_mov_b32 s5, 0xcf800000
	v_fma_f32 v5, v4, s5, |v3|
	v_cvt_u32_f32_e32 v5, v5
	v_cvt_u32_f32_e32 v4, v4
	v_ashrrev_i32_e32 v3, 31, v3
	s_cmp_lg_u32 s4, 0
	v_xor_b32_e32 v5, v5, v3
	v_xor_b32_e32 v4, v4, v3
	v_sub_co_u32_e32 v5, vcc, v5, v3
	v_subb_co_u32_e32 v3, vcc, v4, v3, vcc
	s_cselect_b64 vcc, -1, 0
	v_cndmask_b32_e32 v4, 0, v3, vcc
	v_cndmask_b32_e32 v3, 0, v5, vcc
	global_store_dwordx2 v[1:2], v[3:4], off
	s_mov_b64 s[4:5], 0
.LBB151_923:
	s_andn2_b64 vcc, exec, s[4:5]
	s_cbranch_vccnz .LBB151_925
; %bb.924:
	s_and_b32 s4, s12, 0xff
	s_lshl_b32 s5, s4, 23
	v_cvt_i32_f32_e32 v3, s5
	s_cmp_lg_u32 s4, 0
	s_cselect_b64 vcc, -1, 0
	v_cndmask_b32_e32 v3, 0, v3, vcc
	global_store_dword v[1:2], v3, off
.LBB151_925:
	s_mov_b64 s[4:5], 0
.LBB151_926:
	s_andn2_b64 vcc, exec, s[4:5]
	s_cbranch_vccnz .LBB151_928
; %bb.927:
	s_and_b32 s4, s12, 0xff
	s_lshl_b32 s5, s4, 23
	v_cvt_i32_f32_e32 v3, s5
	s_cmp_lg_u32 s4, 0
	s_cselect_b64 vcc, -1, 0
	v_cndmask_b32_e32 v3, 0, v3, vcc
	global_store_short v[1:2], v3, off
.LBB151_928:
	s_mov_b64 s[4:5], 0
.LBB151_929:
	s_andn2_b64 vcc, exec, s[4:5]
	s_cbranch_vccnz .LBB151_934
; %bb.930:
	s_cmp_gt_i32 s14, 0
	s_mov_b64 s[4:5], -1
	s_cbranch_scc0 .LBB151_932
; %bb.931:
	s_and_b32 s4, s12, 0xff
	s_lshl_b32 s5, s4, 23
	v_cvt_i32_f32_e32 v3, s5
	s_cmp_lg_u32 s4, 0
	s_cselect_b64 vcc, -1, 0
	s_mov_b64 s[4:5], 0
	v_cndmask_b32_e32 v3, 0, v3, vcc
	global_store_byte v[1:2], v3, off
.LBB151_932:
	s_andn2_b64 vcc, exec, s[4:5]
	s_cbranch_vccnz .LBB151_934
; %bb.933:
	s_and_b32 s4, s12, 0xff
	s_lshl_b32 s5, s4, 23
	v_trunc_f32_e32 v3, s5
	s_mov_b32 s5, 0x2f800000
	v_mul_f32_e64 v4, |v3|, s5
	v_floor_f32_e32 v4, v4
	s_mov_b32 s5, 0xcf800000
	v_fma_f32 v4, v4, s5, |v3|
	v_cvt_u32_f32_e32 v4, v4
	v_ashrrev_i32_e32 v3, 31, v3
	s_cmp_lg_u32 s4, 0
	s_cselect_b64 vcc, -1, 0
	v_xor_b32_e32 v4, v4, v3
	v_sub_u32_e32 v3, v4, v3
	v_cndmask_b32_e32 v3, 0, v3, vcc
	global_store_byte v[1:2], v3, off
.LBB151_934:
	s_branch .LBB151_796
.LBB151_935:
	s_mov_b64 s[2:3], 0
	s_mov_b64 s[4:5], 0
                                        ; implicit-def: $sgpr13
                                        ; implicit-def: $vgpr0_vgpr1
.LBB151_936:
	s_and_b64 s[40:41], s[4:5], exec
	s_andn2_b64 s[4:5], s[20:21], exec
	s_and_b64 s[0:1], s[0:1], exec
	s_and_b64 s[2:3], s[2:3], exec
	s_or_b64 s[20:21], s[4:5], s[0:1]
.LBB151_937:
	s_or_b64 exec, exec, s[22:23]
	s_and_saveexec_b64 s[0:1], s[20:21]
	s_cbranch_execz .LBB151_940
; %bb.938:
	; divergent unreachable
	s_or_b64 exec, exec, s[0:1]
	s_and_saveexec_b64 s[0:1], s[40:41]
	s_xor_b64 s[0:1], exec, s[0:1]
	s_cbranch_execnz .LBB151_941
.LBB151_939:
	s_or_b64 exec, exec, s[0:1]
	s_and_saveexec_b64 s[0:1], s[2:3]
	s_cbranch_execnz .LBB151_942
	s_branch .LBB151_979
.LBB151_940:
	s_or_b64 exec, exec, s[0:1]
	s_and_saveexec_b64 s[0:1], s[40:41]
	s_xor_b64 s[0:1], exec, s[0:1]
	s_cbranch_execz .LBB151_939
.LBB151_941:
	v_mov_b32_e32 v2, 1
	global_store_byte v[0:1], v2, off
	s_or_b64 exec, exec, s[0:1]
	s_and_saveexec_b64 s[0:1], s[2:3]
	s_cbranch_execz .LBB151_979
.LBB151_942:
	s_sext_i32_i16 s2, s13
	s_cmp_lt_i32 s2, 5
	s_mov_b64 s[0:1], -1
	s_cbranch_scc1 .LBB151_963
; %bb.943:
	s_cmp_lt_i32 s2, 8
	s_cbranch_scc1 .LBB151_953
; %bb.944:
	s_cmp_lt_i32 s2, 9
	s_cbranch_scc1 .LBB151_950
; %bb.945:
	s_cmp_gt_i32 s2, 9
	s_cbranch_scc0 .LBB151_947
; %bb.946:
	s_and_b32 s0, s12, 0xff
	s_lshl_b32 s1, s0, 23
	v_cvt_f64_f32_e32 v[2:3], s1
	s_cmpk_lg_i32 s0, 0xff
	v_bfrev_b32_e32 v4, 4
	s_cselect_b64 vcc, -1, 0
	v_cndmask_b32_e32 v2, v4, v2, vcc
	v_mov_b32_e32 v4, 0x7ff80000
	s_cmp_lg_u32 s0, 0
	v_cndmask_b32_e32 v3, v4, v3, vcc
	v_bfrev_b32_e32 v4, 28
	s_cselect_b64 vcc, -1, 0
	v_cndmask_b32_e32 v3, v4, v3, vcc
	v_mov_b32_e32 v4, 0
	v_cndmask_b32_e32 v2, 0, v2, vcc
	v_mov_b32_e32 v5, v4
	global_store_dwordx4 v[0:1], v[2:5], off
	s_mov_b64 s[0:1], 0
.LBB151_947:
	s_andn2_b64 vcc, exec, s[0:1]
	s_cbranch_vccnz .LBB151_949
; %bb.948:
	s_and_b32 s0, s12, 0xff
	s_lshl_b32 s1, s0, 23
	s_cmpk_lg_i32 s0, 0xff
	s_cselect_b32 s1, s1, 0x7f800001
	s_cmp_lg_u32 s0, 0
	s_cselect_b32 s0, s1, 0x400000
	v_mov_b32_e32 v2, s0
	v_mov_b32_e32 v3, 0
	global_store_dwordx2 v[0:1], v[2:3], off
.LBB151_949:
	s_mov_b64 s[0:1], 0
.LBB151_950:
	s_andn2_b64 vcc, exec, s[0:1]
	s_cbranch_vccnz .LBB151_952
; %bb.951:
	s_and_b32 s0, s12, 0xff
	s_lshl_b32 s1, s0, 23
	v_cvt_f16_f32_e32 v2, s1
	s_cmpk_lg_i32 s0, 0xff
	v_mov_b32_e32 v3, 0x7e00
	s_cselect_b64 vcc, -1, 0
	s_cmp_lg_u32 s0, 0
	v_cndmask_b32_e32 v2, v3, v2, vcc
	s_cselect_b64 vcc, -1, 0
	v_cndmask_b32_e32 v2, 0, v2, vcc
	global_store_dword v[0:1], v2, off
.LBB151_952:
	s_mov_b64 s[0:1], 0
.LBB151_953:
	s_andn2_b64 vcc, exec, s[0:1]
	s_cbranch_vccnz .LBB151_962
; %bb.954:
	s_sext_i32_i16 s2, s13
	s_cmp_lt_i32 s2, 6
	s_mov_b64 s[0:1], -1
	s_cbranch_scc1 .LBB151_960
; %bb.955:
	s_cmp_gt_i32 s2, 6
	s_cbranch_scc0 .LBB151_957
; %bb.956:
	s_and_b32 s0, s12, 0xff
	s_lshl_b32 s1, s0, 23
	v_cvt_f64_f32_e32 v[2:3], s1
	s_cmpk_lg_i32 s0, 0xff
	v_bfrev_b32_e32 v4, 4
	s_cselect_b64 vcc, -1, 0
	v_cndmask_b32_e32 v2, v4, v2, vcc
	v_mov_b32_e32 v4, 0x7ff80000
	s_cmp_lg_u32 s0, 0
	v_cndmask_b32_e32 v3, v4, v3, vcc
	v_bfrev_b32_e32 v4, 28
	s_cselect_b64 vcc, -1, 0
	v_cndmask_b32_e32 v3, v4, v3, vcc
	v_cndmask_b32_e32 v2, 0, v2, vcc
	global_store_dwordx2 v[0:1], v[2:3], off
	s_mov_b64 s[0:1], 0
.LBB151_957:
	s_andn2_b64 vcc, exec, s[0:1]
	s_cbranch_vccnz .LBB151_959
; %bb.958:
	s_and_b32 s0, s12, 0xff
	s_lshl_b32 s1, s0, 23
	s_cmpk_lg_i32 s0, 0xff
	v_mov_b32_e32 v2, 0x7f800001
	v_mov_b32_e32 v3, s1
	s_cselect_b64 vcc, -1, 0
	s_cmp_lg_u32 s0, 0
	v_cndmask_b32_e32 v2, v2, v3, vcc
	v_mov_b32_e32 v3, 0x400000
	s_cselect_b64 vcc, -1, 0
	v_cndmask_b32_e32 v2, v3, v2, vcc
	global_store_dword v[0:1], v2, off
.LBB151_959:
	s_mov_b64 s[0:1], 0
.LBB151_960:
	s_andn2_b64 vcc, exec, s[0:1]
	s_cbranch_vccnz .LBB151_962
; %bb.961:
	s_and_b32 s0, s12, 0xff
	s_lshl_b32 s1, s0, 23
	v_cvt_f16_f32_e32 v2, s1
	s_cmpk_lg_i32 s0, 0xff
	v_mov_b32_e32 v3, 0x7e00
	s_cselect_b64 vcc, -1, 0
	s_cmp_lg_u32 s0, 0
	v_cndmask_b32_e32 v2, v3, v2, vcc
	s_cselect_b64 vcc, -1, 0
	v_cndmask_b32_e32 v2, 0, v2, vcc
	global_store_short v[0:1], v2, off
.LBB151_962:
	s_mov_b64 s[0:1], 0
.LBB151_963:
	s_andn2_b64 vcc, exec, s[0:1]
	s_cbranch_vccnz .LBB151_979
; %bb.964:
	s_sext_i32_i16 s2, s13
	s_cmp_lt_i32 s2, 2
	s_mov_b64 s[0:1], -1
	s_cbranch_scc1 .LBB151_974
; %bb.965:
	s_cmp_lt_i32 s2, 3
	s_cbranch_scc1 .LBB151_971
; %bb.966:
	s_cmp_gt_i32 s2, 3
	s_cbranch_scc0 .LBB151_968
; %bb.967:
	s_and_b32 s0, s12, 0xff
	s_lshl_b32 s1, s0, 23
	v_trunc_f32_e32 v2, s1
	s_mov_b32 s1, 0x2f800000
	v_mul_f32_e64 v3, |v2|, s1
	v_floor_f32_e32 v3, v3
	s_mov_b32 s1, 0xcf800000
	v_fma_f32 v4, v3, s1, |v2|
	v_cvt_u32_f32_e32 v4, v4
	v_cvt_u32_f32_e32 v3, v3
	v_ashrrev_i32_e32 v2, 31, v2
	s_cmp_lg_u32 s0, 0
	v_xor_b32_e32 v4, v4, v2
	v_xor_b32_e32 v3, v3, v2
	v_sub_co_u32_e32 v4, vcc, v4, v2
	v_subb_co_u32_e32 v2, vcc, v3, v2, vcc
	s_cselect_b64 vcc, -1, 0
	v_cndmask_b32_e32 v3, 0, v2, vcc
	v_cndmask_b32_e32 v2, 0, v4, vcc
	global_store_dwordx2 v[0:1], v[2:3], off
	s_mov_b64 s[0:1], 0
.LBB151_968:
	s_andn2_b64 vcc, exec, s[0:1]
	s_cbranch_vccnz .LBB151_970
; %bb.969:
	s_and_b32 s0, s12, 0xff
	s_lshl_b32 s1, s0, 23
	v_cvt_i32_f32_e32 v2, s1
	s_cmp_lg_u32 s0, 0
	s_cselect_b64 vcc, -1, 0
	v_cndmask_b32_e32 v2, 0, v2, vcc
	global_store_dword v[0:1], v2, off
.LBB151_970:
	s_mov_b64 s[0:1], 0
.LBB151_971:
	s_andn2_b64 vcc, exec, s[0:1]
	s_cbranch_vccnz .LBB151_973
; %bb.972:
	s_and_b32 s0, s12, 0xff
	s_lshl_b32 s1, s0, 23
	v_cvt_i32_f32_e32 v2, s1
	s_cmp_lg_u32 s0, 0
	s_cselect_b64 vcc, -1, 0
	v_cndmask_b32_e32 v2, 0, v2, vcc
	global_store_short v[0:1], v2, off
.LBB151_973:
	s_mov_b64 s[0:1], 0
.LBB151_974:
	s_andn2_b64 vcc, exec, s[0:1]
	s_cbranch_vccnz .LBB151_979
; %bb.975:
	s_sext_i32_i16 s0, s13
	s_cmp_gt_i32 s0, 0
	s_mov_b64 s[0:1], -1
	s_cbranch_scc0 .LBB151_977
; %bb.976:
	s_and_b32 s0, s12, 0xff
	s_lshl_b32 s1, s0, 23
	v_cvt_i32_f32_e32 v2, s1
	s_cmp_lg_u32 s0, 0
	s_cselect_b64 vcc, -1, 0
	s_mov_b64 s[0:1], 0
	v_cndmask_b32_e32 v2, 0, v2, vcc
	global_store_byte v[0:1], v2, off
.LBB151_977:
	s_andn2_b64 vcc, exec, s[0:1]
	s_cbranch_vccnz .LBB151_979
; %bb.978:
	s_and_b32 s0, s12, 0xff
	s_lshl_b32 s1, s0, 23
	v_trunc_f32_e32 v2, s1
	s_mov_b32 s1, 0x2f800000
	v_mul_f32_e64 v3, |v2|, s1
	v_floor_f32_e32 v3, v3
	s_mov_b32 s1, 0xcf800000
	v_fma_f32 v3, v3, s1, |v2|
	v_cvt_u32_f32_e32 v3, v3
	v_ashrrev_i32_e32 v2, 31, v2
	s_cmp_lg_u32 s0, 0
	s_cselect_b64 vcc, -1, 0
	v_xor_b32_e32 v3, v3, v2
	v_sub_u32_e32 v2, v3, v2
	v_cndmask_b32_e32 v2, 0, v2, vcc
	global_store_byte v[0:1], v2, off
	s_endpgm
.LBB151_979:
	s_endpgm
.LBB151_980:
	s_trap 2
	s_or_b64 s[0:1], s[0:1], exec
	s_cbranch_execz .LBB151_895
	s_branch .LBB151_896
.LBB151_981:
	s_mov_b64 s[6:7], -1
	s_mov_b64 s[4:5], 0
                                        ; implicit-def: $sgpr8
.LBB151_982:
	s_andn2_b64 vcc, exec, s[6:7]
	v_mov_b32_e32 v3, s8
	s_cbranch_vccnz .LBB151_984
; %bb.983:
	v_add_f32_e32 v2, 0x42800000, v2
	v_and_b32_e32 v3, 0xff, v2
	v_cmp_ne_u32_e64 s[4:5], 0, v3
.LBB151_984:
	s_andn2_b64 vcc, exec, s[4:5]
	v_mov_b32_e32 v4, 0
	s_cbranch_vccnz .LBB151_986
; %bb.985:
	v_mov_b32_e32 v4, v3
.LBB151_986:
	s_mov_b64 s[4:5], 0
	global_store_byte v[0:1], v4, off
.LBB151_987:
	s_and_b64 vcc, exec, s[4:5]
	s_cbranch_vccz .LBB151_999
; %bb.988:
	s_and_b32 s4, s12, 0xff
	s_lshl_b32 s5, s4, 23
	s_cmpk_lg_i32 s4, 0xff
	v_mov_b32_e32 v2, 0x7f800001
	v_mov_b32_e32 v3, s5
	s_cselect_b64 vcc, -1, 0
	s_cmp_lg_u32 s4, 0
	v_cndmask_b32_e32 v2, v2, v3, vcc
	v_mov_b32_e32 v3, 0x400000
	s_cselect_b64 vcc, -1, 0
	v_cndmask_b32_e32 v2, v3, v2, vcc
	s_mov_b32 s4, 0x43f00000
	v_cmp_gt_u32_e32 vcc, s4, v2
	v_readfirstlane_b32 s6, v2
	s_cbranch_vccz .LBB151_991
; %bb.989:
	s_cmp_gt_u32 s6, 0x3c7fffff
	s_cbranch_scc0 .LBB151_992
; %bb.990:
	s_bfe_u32 s4, s6, 0x10014
	s_add_i32 s4, s6, s4
	s_add_i32 s4, s4, 0x407ffff
	s_lshr_b32 s5, s4, 20
	s_and_b32 s4, s4, 0xff00000
	s_cmp_lg_u32 s4, 0x7f00000
	s_cselect_b32 s7, s5, 0x7e
	s_mov_b64 s[4:5], 0
	s_branch .LBB151_993
.LBB151_991:
	s_mov_b64 s[4:5], -1
                                        ; implicit-def: $vgpr3
	s_branch .LBB151_996
.LBB151_992:
	s_mov_b64 s[4:5], -1
                                        ; implicit-def: $sgpr7
.LBB151_993:
	s_andn2_b64 vcc, exec, s[4:5]
	v_mov_b32_e32 v3, s7
	s_cbranch_vccnz .LBB151_995
; %bb.994:
	v_add_f32_e32 v3, 0x46800000, v2
.LBB151_995:
	s_mov_b64 s[4:5], 0
.LBB151_996:
	s_andn2_b64 vcc, exec, s[4:5]
	s_cbranch_vccnz .LBB151_998
; %bb.997:
	s_cmp_gt_u32 s6, 0x7f800000
	s_movk_i32 s4, 0x7f
	s_cselect_b32 s4, s4, 0x7e
	v_mov_b32_e32 v3, s4
.LBB151_998:
	global_store_byte v[0:1], v3, off
.LBB151_999:
	s_mov_b64 s[4:5], 0
.LBB151_1000:
	s_andn2_b64 vcc, exec, s[4:5]
	s_cbranch_vccnz .LBB151_1012
; %bb.1001:
	s_and_b32 s4, s12, 0xff
	s_lshl_b32 s5, s4, 23
	s_cmpk_lg_i32 s4, 0xff
	v_mov_b32_e32 v2, 0x7f800001
	v_mov_b32_e32 v3, s5
	s_cselect_b64 vcc, -1, 0
	s_cmp_lg_u32 s4, 0
	v_cndmask_b32_e32 v2, v2, v3, vcc
	v_mov_b32_e32 v3, 0x400000
	s_cselect_b64 vcc, -1, 0
	v_cndmask_b32_e32 v2, v3, v2, vcc
	s_mov_b32 s4, 0x47800000
	v_cmp_gt_u32_e32 vcc, s4, v2
	v_readfirstlane_b32 s6, v2
	s_cbranch_vccz .LBB151_1004
; %bb.1002:
	s_cmp_gt_u32 s6, 0x387fffff
	s_cbranch_scc0 .LBB151_1005
; %bb.1003:
	s_bfe_u32 s4, s6, 0x10015
	s_add_i32 s4, s6, s4
	s_add_i32 s4, s4, 0x80fffff
	s_lshr_b32 s7, s4, 21
	s_mov_b64 s[4:5], 0
	s_branch .LBB151_1006
.LBB151_1004:
	s_mov_b64 s[4:5], -1
                                        ; implicit-def: $vgpr3
	s_branch .LBB151_1009
.LBB151_1005:
	s_mov_b64 s[4:5], -1
                                        ; implicit-def: $sgpr7
.LBB151_1006:
	s_andn2_b64 vcc, exec, s[4:5]
	v_mov_b32_e32 v3, s7
	s_cbranch_vccnz .LBB151_1008
; %bb.1007:
	v_add_f32_e32 v3, 0x43000000, v2
.LBB151_1008:
	s_mov_b64 s[4:5], 0
.LBB151_1009:
	s_andn2_b64 vcc, exec, s[4:5]
	s_cbranch_vccnz .LBB151_1011
; %bb.1010:
	s_cmp_gt_u32 s6, 0x7f800000
	s_movk_i32 s4, 0x7f
	s_cselect_b32 s4, s4, 0x7c
	v_mov_b32_e32 v3, s4
.LBB151_1011:
	global_store_byte v[0:1], v3, off
.LBB151_1012:
	s_mov_b64 s[4:5], 0
.LBB151_1013:
	s_andn2_b64 vcc, exec, s[4:5]
	s_mov_b64 s[4:5], 0
	s_cbranch_vccnz .LBB151_1020
; %bb.1014:
	s_cmp_gt_i32 s14, 14
	s_mov_b64 s[6:7], -1
	s_cbranch_scc0 .LBB151_1018
; %bb.1015:
	s_cmp_eq_u32 s14, 15
	s_mov_b64 s[2:3], -1
	s_cbranch_scc0 .LBB151_1017
; %bb.1016:
	s_and_b32 s2, s12, 0xff
	s_lshl_b32 s3, s2, 23
	s_cmpk_lg_i32 s2, 0xff
	v_mov_b32_e32 v2, 0x7f800001
	v_mov_b32_e32 v3, s3
	s_cselect_b64 vcc, -1, 0
	s_cmp_lg_u32 s2, 0
	v_cndmask_b32_e32 v2, v2, v3, vcc
	v_mov_b32_e32 v3, 0x400000
	s_cselect_b64 vcc, -1, 0
	v_cndmask_b32_e32 v2, v3, v2, vcc
	v_add_u32_e32 v3, 0x7fff, v2
	v_cmp_o_f32_e32 vcc, v2, v2
	v_mov_b32_e32 v2, 0x7fc0
	v_cndmask_b32_sdwa v2, v2, v3, vcc dst_sel:DWORD dst_unused:UNUSED_PAD src0_sel:DWORD src1_sel:WORD_1
	global_store_short v[0:1], v2, off
	s_mov_b64 s[2:3], 0
.LBB151_1017:
	s_mov_b64 s[6:7], 0
.LBB151_1018:
	s_and_b64 vcc, exec, s[6:7]
	s_cbranch_vccz .LBB151_1020
; %bb.1019:
	s_cmp_lg_u32 s14, 11
	s_mov_b64 s[4:5], -1
	s_cselect_b64 s[2:3], -1, 0
.LBB151_1020:
	s_and_b64 vcc, exec, s[2:3]
	s_cbranch_vccnz .LBB151_1022
.LBB151_1021:
	s_mov_b64 s[2:3], 0
	s_branch .LBB151_936
.LBB151_1022:
	s_mov_b64 s[4:5], 0
	s_or_b64 s[0:1], s[0:1], exec
	s_trap 2
	s_branch .LBB151_1021
	.section	.rodata,"a",@progbits
	.p2align	6, 0x0
	.amdhsa_kernel _ZN2at6native32elementwise_kernel_manual_unrollILi128ELi4EZNS0_15gpu_kernel_implINS0_11FillFunctorIN3c1014Float8_e8m0fnuEEEEEvRNS_18TensorIteratorBaseERKT_EUlibE0_EEviT1_
		.amdhsa_group_segment_fixed_size 0
		.amdhsa_private_segment_fixed_size 0
		.amdhsa_kernarg_size 288
		.amdhsa_user_sgpr_count 6
		.amdhsa_user_sgpr_private_segment_buffer 1
		.amdhsa_user_sgpr_dispatch_ptr 0
		.amdhsa_user_sgpr_queue_ptr 0
		.amdhsa_user_sgpr_kernarg_segment_ptr 1
		.amdhsa_user_sgpr_dispatch_id 0
		.amdhsa_user_sgpr_flat_scratch_init 0
		.amdhsa_user_sgpr_private_segment_size 0
		.amdhsa_uses_dynamic_stack 0
		.amdhsa_system_sgpr_private_segment_wavefront_offset 0
		.amdhsa_system_sgpr_workgroup_id_x 1
		.amdhsa_system_sgpr_workgroup_id_y 0
		.amdhsa_system_sgpr_workgroup_id_z 0
		.amdhsa_system_sgpr_workgroup_info 0
		.amdhsa_system_vgpr_workitem_id 0
		.amdhsa_next_free_vgpr 30
		.amdhsa_next_free_sgpr 85
		.amdhsa_reserve_vcc 1
		.amdhsa_reserve_flat_scratch 0
		.amdhsa_float_round_mode_32 0
		.amdhsa_float_round_mode_16_64 0
		.amdhsa_float_denorm_mode_32 3
		.amdhsa_float_denorm_mode_16_64 3
		.amdhsa_dx10_clamp 1
		.amdhsa_ieee_mode 1
		.amdhsa_fp16_overflow 0
		.amdhsa_exception_fp_ieee_invalid_op 0
		.amdhsa_exception_fp_denorm_src 0
		.amdhsa_exception_fp_ieee_div_zero 0
		.amdhsa_exception_fp_ieee_overflow 0
		.amdhsa_exception_fp_ieee_underflow 0
		.amdhsa_exception_fp_ieee_inexact 0
		.amdhsa_exception_int_div_zero 0
	.end_amdhsa_kernel
	.section	.text._ZN2at6native32elementwise_kernel_manual_unrollILi128ELi4EZNS0_15gpu_kernel_implINS0_11FillFunctorIN3c1014Float8_e8m0fnuEEEEEvRNS_18TensorIteratorBaseERKT_EUlibE0_EEviT1_,"axG",@progbits,_ZN2at6native32elementwise_kernel_manual_unrollILi128ELi4EZNS0_15gpu_kernel_implINS0_11FillFunctorIN3c1014Float8_e8m0fnuEEEEEvRNS_18TensorIteratorBaseERKT_EUlibE0_EEviT1_,comdat
.Lfunc_end151:
	.size	_ZN2at6native32elementwise_kernel_manual_unrollILi128ELi4EZNS0_15gpu_kernel_implINS0_11FillFunctorIN3c1014Float8_e8m0fnuEEEEEvRNS_18TensorIteratorBaseERKT_EUlibE0_EEviT1_, .Lfunc_end151-_ZN2at6native32elementwise_kernel_manual_unrollILi128ELi4EZNS0_15gpu_kernel_implINS0_11FillFunctorIN3c1014Float8_e8m0fnuEEEEEvRNS_18TensorIteratorBaseERKT_EUlibE0_EEviT1_
                                        ; -- End function
	.set _ZN2at6native32elementwise_kernel_manual_unrollILi128ELi4EZNS0_15gpu_kernel_implINS0_11FillFunctorIN3c1014Float8_e8m0fnuEEEEEvRNS_18TensorIteratorBaseERKT_EUlibE0_EEviT1_.num_vgpr, 30
	.set _ZN2at6native32elementwise_kernel_manual_unrollILi128ELi4EZNS0_15gpu_kernel_implINS0_11FillFunctorIN3c1014Float8_e8m0fnuEEEEEvRNS_18TensorIteratorBaseERKT_EUlibE0_EEviT1_.num_agpr, 0
	.set _ZN2at6native32elementwise_kernel_manual_unrollILi128ELi4EZNS0_15gpu_kernel_implINS0_11FillFunctorIN3c1014Float8_e8m0fnuEEEEEvRNS_18TensorIteratorBaseERKT_EUlibE0_EEviT1_.numbered_sgpr, 85
	.set _ZN2at6native32elementwise_kernel_manual_unrollILi128ELi4EZNS0_15gpu_kernel_implINS0_11FillFunctorIN3c1014Float8_e8m0fnuEEEEEvRNS_18TensorIteratorBaseERKT_EUlibE0_EEviT1_.num_named_barrier, 0
	.set _ZN2at6native32elementwise_kernel_manual_unrollILi128ELi4EZNS0_15gpu_kernel_implINS0_11FillFunctorIN3c1014Float8_e8m0fnuEEEEEvRNS_18TensorIteratorBaseERKT_EUlibE0_EEviT1_.private_seg_size, 0
	.set _ZN2at6native32elementwise_kernel_manual_unrollILi128ELi4EZNS0_15gpu_kernel_implINS0_11FillFunctorIN3c1014Float8_e8m0fnuEEEEEvRNS_18TensorIteratorBaseERKT_EUlibE0_EEviT1_.uses_vcc, 1
	.set _ZN2at6native32elementwise_kernel_manual_unrollILi128ELi4EZNS0_15gpu_kernel_implINS0_11FillFunctorIN3c1014Float8_e8m0fnuEEEEEvRNS_18TensorIteratorBaseERKT_EUlibE0_EEviT1_.uses_flat_scratch, 0
	.set _ZN2at6native32elementwise_kernel_manual_unrollILi128ELi4EZNS0_15gpu_kernel_implINS0_11FillFunctorIN3c1014Float8_e8m0fnuEEEEEvRNS_18TensorIteratorBaseERKT_EUlibE0_EEviT1_.has_dyn_sized_stack, 0
	.set _ZN2at6native32elementwise_kernel_manual_unrollILi128ELi4EZNS0_15gpu_kernel_implINS0_11FillFunctorIN3c1014Float8_e8m0fnuEEEEEvRNS_18TensorIteratorBaseERKT_EUlibE0_EEviT1_.has_recursion, 0
	.set _ZN2at6native32elementwise_kernel_manual_unrollILi128ELi4EZNS0_15gpu_kernel_implINS0_11FillFunctorIN3c1014Float8_e8m0fnuEEEEEvRNS_18TensorIteratorBaseERKT_EUlibE0_EEviT1_.has_indirect_call, 0
	.section	.AMDGPU.csdata,"",@progbits
; Kernel info:
; codeLenInByte = 19752
; TotalNumSgprs: 89
; NumVgprs: 30
; ScratchSize: 0
; MemoryBound: 0
; FloatMode: 240
; IeeeMode: 1
; LDSByteSize: 0 bytes/workgroup (compile time only)
; SGPRBlocks: 11
; VGPRBlocks: 7
; NumSGPRsForWavesPerEU: 89
; NumVGPRsForWavesPerEU: 30
; Occupancy: 8
; WaveLimiterHint : 1
; COMPUTE_PGM_RSRC2:SCRATCH_EN: 0
; COMPUTE_PGM_RSRC2:USER_SGPR: 6
; COMPUTE_PGM_RSRC2:TRAP_HANDLER: 0
; COMPUTE_PGM_RSRC2:TGID_X_EN: 1
; COMPUTE_PGM_RSRC2:TGID_Y_EN: 0
; COMPUTE_PGM_RSRC2:TGID_Z_EN: 0
; COMPUTE_PGM_RSRC2:TIDIG_COMP_CNT: 0
	.section	.text._ZN2at6native29vectorized_elementwise_kernelILi16ENS0_11FillFunctorItEESt5arrayIPcLm1EEEEviT0_T1_,"axG",@progbits,_ZN2at6native29vectorized_elementwise_kernelILi16ENS0_11FillFunctorItEESt5arrayIPcLm1EEEEviT0_T1_,comdat
	.protected	_ZN2at6native29vectorized_elementwise_kernelILi16ENS0_11FillFunctorItEESt5arrayIPcLm1EEEEviT0_T1_ ; -- Begin function _ZN2at6native29vectorized_elementwise_kernelILi16ENS0_11FillFunctorItEESt5arrayIPcLm1EEEEviT0_T1_
	.globl	_ZN2at6native29vectorized_elementwise_kernelILi16ENS0_11FillFunctorItEESt5arrayIPcLm1EEEEviT0_T1_
	.p2align	8
	.type	_ZN2at6native29vectorized_elementwise_kernelILi16ENS0_11FillFunctorItEESt5arrayIPcLm1EEEEviT0_T1_,@function
_ZN2at6native29vectorized_elementwise_kernelILi16ENS0_11FillFunctorItEESt5arrayIPcLm1EEEEviT0_T1_: ; @_ZN2at6native29vectorized_elementwise_kernelILi16ENS0_11FillFunctorItEESt5arrayIPcLm1EEEEviT0_T1_
; %bb.0:
	s_load_dwordx4 s[8:11], s[4:5], 0x0
	s_lshl_b32 s2, s6, 11
	s_mov_b64 s[0:1], -1
	s_waitcnt lgkmcnt(0)
	s_sub_i32 s4, s8, s2
	s_cmpk_gt_i32 s4, 0x7ff
	s_cbranch_scc0 .LBB152_2
; %bb.1:
	s_ashr_i32 s3, s2, 31
	s_lshl_b64 s[0:1], s[2:3], 1
	s_add_u32 s0, s10, s0
	s_pack_ll_b32_b16 s3, s9, s9
	s_addc_u32 s1, s11, s1
	v_lshlrev_b32_e32 v5, 4, v0
	v_mov_b32_e32 v1, s3
	v_mov_b32_e32 v2, s3
	;; [unrolled: 1-line block ×4, first 2 shown]
	global_store_dwordx4 v5, v[1:4], s[0:1]
	s_mov_b64 s[0:1], 0
.LBB152_2:
	s_andn2_b64 vcc, exec, s[0:1]
	s_cbranch_vccnz .LBB152_12
; %bb.3:
	s_and_b32 s0, 0xffff, s9
	v_mov_b32_e32 v1, s0
	v_cmp_gt_i32_e32 vcc, s4, v0
	v_cndmask_b32_e32 v2, 0, v1, vcc
	v_or_b32_e32 v5, 0x100, v0
	v_mov_b32_e32 v6, 0x5040100
	v_perm_b32 v3, s9, v2, v6
	v_cmp_gt_i32_e64 s[0:1], s4, v5
	v_cndmask_b32_e64 v4, v2, v3, s[0:1]
	v_or_b32_e32 v2, 0x200, v0
	v_cmp_gt_i32_e64 s[0:1], s4, v2
	v_cndmask_b32_e64 v2, 0, v1, s[0:1]
	v_or_b32_e32 v3, 0x300, v0
	v_perm_b32 v7, s9, v2, v6
	v_cmp_gt_i32_e64 s[0:1], s4, v3
	v_cndmask_b32_e64 v3, v2, v7, s[0:1]
	v_or_b32_e32 v2, 0x400, v0
	v_cmp_gt_i32_e64 s[0:1], s4, v2
	v_cndmask_b32_e64 v2, 0, v1, s[0:1]
	v_or_b32_e32 v7, 0x500, v0
	v_perm_b32 v8, s9, v2, v6
	v_cmp_gt_i32_e64 s[0:1], s4, v7
	v_or_b32_e32 v7, 0x600, v0
	v_cndmask_b32_e64 v2, v2, v8, s[0:1]
	v_cmp_gt_i32_e64 s[0:1], s4, v7
	v_cndmask_b32_e64 v1, 0, v1, s[0:1]
	v_or_b32_e32 v7, 0x700, v0
	v_perm_b32 v6, s9, v1, v6
	v_cmp_gt_i32_e64 s[0:1], s4, v7
	v_cndmask_b32_e64 v1, v1, v6, s[0:1]
	s_and_saveexec_b64 s[0:1], vcc
	s_cbranch_execnz .LBB152_13
; %bb.4:
	s_or_b64 exec, exec, s[0:1]
	v_cmp_gt_i32_e32 vcc, s4, v0
	s_and_saveexec_b64 s[0:1], vcc
	s_cbranch_execnz .LBB152_14
.LBB152_5:
	s_or_b64 exec, exec, s[0:1]
	v_cmp_gt_i32_e32 vcc, s4, v0
	s_and_saveexec_b64 s[0:1], vcc
	s_cbranch_execnz .LBB152_15
.LBB152_6:
	s_or_b64 exec, exec, s[0:1]
	v_cmp_gt_i32_e32 vcc, s4, v0
	s_and_saveexec_b64 s[0:1], vcc
	s_cbranch_execnz .LBB152_16
.LBB152_7:
	s_or_b64 exec, exec, s[0:1]
	v_cmp_gt_i32_e32 vcc, s4, v0
	s_and_saveexec_b64 s[0:1], vcc
	s_cbranch_execnz .LBB152_17
.LBB152_8:
	s_or_b64 exec, exec, s[0:1]
	v_cmp_gt_i32_e32 vcc, s4, v0
	s_and_saveexec_b64 s[0:1], vcc
	s_cbranch_execnz .LBB152_18
.LBB152_9:
	s_or_b64 exec, exec, s[0:1]
	v_cmp_gt_i32_e32 vcc, s4, v0
	s_and_saveexec_b64 s[0:1], vcc
	s_cbranch_execnz .LBB152_19
.LBB152_10:
	s_or_b64 exec, exec, s[0:1]
	v_cmp_gt_i32_e32 vcc, s4, v0
	s_and_saveexec_b64 s[0:1], vcc
	s_cbranch_execz .LBB152_12
.LBB152_11:
	v_add_u32_e32 v2, s2, v0
	v_mov_b32_e32 v3, 0
	v_lshlrev_b64 v[2:3], 1, v[2:3]
	v_mov_b32_e32 v0, s11
	v_add_co_u32_e32 v2, vcc, s10, v2
	v_addc_co_u32_e32 v3, vcc, v0, v3, vcc
	global_store_short_d16_hi v[2:3], v1, off
.LBB152_12:
	s_endpgm
.LBB152_13:
	v_or_b32_e32 v6, s2, v0
	v_mov_b32_e32 v7, 0
	v_lshlrev_b64 v[6:7], 1, v[6:7]
	v_mov_b32_e32 v0, s11
	v_add_co_u32_e32 v6, vcc, s10, v6
	v_addc_co_u32_e32 v7, vcc, v0, v7, vcc
	v_mov_b32_e32 v0, v5
	global_store_short v[6:7], v4, off
	s_or_b64 exec, exec, s[0:1]
	v_cmp_gt_i32_e32 vcc, s4, v0
	s_and_saveexec_b64 s[0:1], vcc
	s_cbranch_execz .LBB152_5
.LBB152_14:
	v_add_u32_e32 v5, s2, v0
	v_mov_b32_e32 v6, 0
	v_lshlrev_b64 v[5:6], 1, v[5:6]
	v_mov_b32_e32 v7, s11
	v_add_co_u32_e32 v5, vcc, s10, v5
	v_addc_co_u32_e32 v6, vcc, v7, v6, vcc
	v_add_u32_e32 v0, 0x100, v0
	global_store_short_d16_hi v[5:6], v4, off
	s_or_b64 exec, exec, s[0:1]
	v_cmp_gt_i32_e32 vcc, s4, v0
	s_and_saveexec_b64 s[0:1], vcc
	s_cbranch_execz .LBB152_6
.LBB152_15:
	v_add_u32_e32 v4, s2, v0
	v_mov_b32_e32 v5, 0
	v_lshlrev_b64 v[4:5], 1, v[4:5]
	v_mov_b32_e32 v6, s11
	v_add_co_u32_e32 v4, vcc, s10, v4
	v_addc_co_u32_e32 v5, vcc, v6, v5, vcc
	v_add_u32_e32 v0, 0x100, v0
	global_store_short v[4:5], v3, off
	s_or_b64 exec, exec, s[0:1]
	v_cmp_gt_i32_e32 vcc, s4, v0
	s_and_saveexec_b64 s[0:1], vcc
	s_cbranch_execz .LBB152_7
.LBB152_16:
	v_add_u32_e32 v4, s2, v0
	v_mov_b32_e32 v5, 0
	v_lshlrev_b64 v[4:5], 1, v[4:5]
	v_mov_b32_e32 v6, s11
	v_add_co_u32_e32 v4, vcc, s10, v4
	v_addc_co_u32_e32 v5, vcc, v6, v5, vcc
	v_add_u32_e32 v0, 0x100, v0
	global_store_short_d16_hi v[4:5], v3, off
	s_or_b64 exec, exec, s[0:1]
	v_cmp_gt_i32_e32 vcc, s4, v0
	s_and_saveexec_b64 s[0:1], vcc
	s_cbranch_execz .LBB152_8
.LBB152_17:
	v_add_u32_e32 v3, s2, v0
	v_mov_b32_e32 v4, 0
	v_lshlrev_b64 v[3:4], 1, v[3:4]
	v_mov_b32_e32 v5, s11
	v_add_co_u32_e32 v3, vcc, s10, v3
	v_addc_co_u32_e32 v4, vcc, v5, v4, vcc
	v_add_u32_e32 v0, 0x100, v0
	global_store_short v[3:4], v2, off
	s_or_b64 exec, exec, s[0:1]
	v_cmp_gt_i32_e32 vcc, s4, v0
	s_and_saveexec_b64 s[0:1], vcc
	s_cbranch_execz .LBB152_9
.LBB152_18:
	v_add_u32_e32 v3, s2, v0
	v_mov_b32_e32 v4, 0
	v_lshlrev_b64 v[3:4], 1, v[3:4]
	v_mov_b32_e32 v5, s11
	v_add_co_u32_e32 v3, vcc, s10, v3
	v_addc_co_u32_e32 v4, vcc, v5, v4, vcc
	v_add_u32_e32 v0, 0x100, v0
	global_store_short_d16_hi v[3:4], v2, off
	s_or_b64 exec, exec, s[0:1]
	v_cmp_gt_i32_e32 vcc, s4, v0
	s_and_saveexec_b64 s[0:1], vcc
	s_cbranch_execz .LBB152_10
.LBB152_19:
	v_add_u32_e32 v2, s2, v0
	v_mov_b32_e32 v3, 0
	v_lshlrev_b64 v[2:3], 1, v[2:3]
	v_mov_b32_e32 v4, s11
	v_add_co_u32_e32 v2, vcc, s10, v2
	v_addc_co_u32_e32 v3, vcc, v4, v3, vcc
	v_add_u32_e32 v0, 0x100, v0
	global_store_short v[2:3], v1, off
	s_or_b64 exec, exec, s[0:1]
	v_cmp_gt_i32_e32 vcc, s4, v0
	s_and_saveexec_b64 s[0:1], vcc
	s_cbranch_execnz .LBB152_11
	s_branch .LBB152_12
	.section	.rodata,"a",@progbits
	.p2align	6, 0x0
	.amdhsa_kernel _ZN2at6native29vectorized_elementwise_kernelILi16ENS0_11FillFunctorItEESt5arrayIPcLm1EEEEviT0_T1_
		.amdhsa_group_segment_fixed_size 0
		.amdhsa_private_segment_fixed_size 0
		.amdhsa_kernarg_size 16
		.amdhsa_user_sgpr_count 6
		.amdhsa_user_sgpr_private_segment_buffer 1
		.amdhsa_user_sgpr_dispatch_ptr 0
		.amdhsa_user_sgpr_queue_ptr 0
		.amdhsa_user_sgpr_kernarg_segment_ptr 1
		.amdhsa_user_sgpr_dispatch_id 0
		.amdhsa_user_sgpr_flat_scratch_init 0
		.amdhsa_user_sgpr_private_segment_size 0
		.amdhsa_uses_dynamic_stack 0
		.amdhsa_system_sgpr_private_segment_wavefront_offset 0
		.amdhsa_system_sgpr_workgroup_id_x 1
		.amdhsa_system_sgpr_workgroup_id_y 0
		.amdhsa_system_sgpr_workgroup_id_z 0
		.amdhsa_system_sgpr_workgroup_info 0
		.amdhsa_system_vgpr_workitem_id 0
		.amdhsa_next_free_vgpr 9
		.amdhsa_next_free_sgpr 12
		.amdhsa_reserve_vcc 1
		.amdhsa_reserve_flat_scratch 0
		.amdhsa_float_round_mode_32 0
		.amdhsa_float_round_mode_16_64 0
		.amdhsa_float_denorm_mode_32 3
		.amdhsa_float_denorm_mode_16_64 3
		.amdhsa_dx10_clamp 1
		.amdhsa_ieee_mode 1
		.amdhsa_fp16_overflow 0
		.amdhsa_exception_fp_ieee_invalid_op 0
		.amdhsa_exception_fp_denorm_src 0
		.amdhsa_exception_fp_ieee_div_zero 0
		.amdhsa_exception_fp_ieee_overflow 0
		.amdhsa_exception_fp_ieee_underflow 0
		.amdhsa_exception_fp_ieee_inexact 0
		.amdhsa_exception_int_div_zero 0
	.end_amdhsa_kernel
	.section	.text._ZN2at6native29vectorized_elementwise_kernelILi16ENS0_11FillFunctorItEESt5arrayIPcLm1EEEEviT0_T1_,"axG",@progbits,_ZN2at6native29vectorized_elementwise_kernelILi16ENS0_11FillFunctorItEESt5arrayIPcLm1EEEEviT0_T1_,comdat
.Lfunc_end152:
	.size	_ZN2at6native29vectorized_elementwise_kernelILi16ENS0_11FillFunctorItEESt5arrayIPcLm1EEEEviT0_T1_, .Lfunc_end152-_ZN2at6native29vectorized_elementwise_kernelILi16ENS0_11FillFunctorItEESt5arrayIPcLm1EEEEviT0_T1_
                                        ; -- End function
	.set _ZN2at6native29vectorized_elementwise_kernelILi16ENS0_11FillFunctorItEESt5arrayIPcLm1EEEEviT0_T1_.num_vgpr, 9
	.set _ZN2at6native29vectorized_elementwise_kernelILi16ENS0_11FillFunctorItEESt5arrayIPcLm1EEEEviT0_T1_.num_agpr, 0
	.set _ZN2at6native29vectorized_elementwise_kernelILi16ENS0_11FillFunctorItEESt5arrayIPcLm1EEEEviT0_T1_.numbered_sgpr, 12
	.set _ZN2at6native29vectorized_elementwise_kernelILi16ENS0_11FillFunctorItEESt5arrayIPcLm1EEEEviT0_T1_.num_named_barrier, 0
	.set _ZN2at6native29vectorized_elementwise_kernelILi16ENS0_11FillFunctorItEESt5arrayIPcLm1EEEEviT0_T1_.private_seg_size, 0
	.set _ZN2at6native29vectorized_elementwise_kernelILi16ENS0_11FillFunctorItEESt5arrayIPcLm1EEEEviT0_T1_.uses_vcc, 1
	.set _ZN2at6native29vectorized_elementwise_kernelILi16ENS0_11FillFunctorItEESt5arrayIPcLm1EEEEviT0_T1_.uses_flat_scratch, 0
	.set _ZN2at6native29vectorized_elementwise_kernelILi16ENS0_11FillFunctorItEESt5arrayIPcLm1EEEEviT0_T1_.has_dyn_sized_stack, 0
	.set _ZN2at6native29vectorized_elementwise_kernelILi16ENS0_11FillFunctorItEESt5arrayIPcLm1EEEEviT0_T1_.has_recursion, 0
	.set _ZN2at6native29vectorized_elementwise_kernelILi16ENS0_11FillFunctorItEESt5arrayIPcLm1EEEEviT0_T1_.has_indirect_call, 0
	.section	.AMDGPU.csdata,"",@progbits
; Kernel info:
; codeLenInByte = 900
; TotalNumSgprs: 16
; NumVgprs: 9
; ScratchSize: 0
; MemoryBound: 0
; FloatMode: 240
; IeeeMode: 1
; LDSByteSize: 0 bytes/workgroup (compile time only)
; SGPRBlocks: 1
; VGPRBlocks: 2
; NumSGPRsForWavesPerEU: 16
; NumVGPRsForWavesPerEU: 9
; Occupancy: 10
; WaveLimiterHint : 0
; COMPUTE_PGM_RSRC2:SCRATCH_EN: 0
; COMPUTE_PGM_RSRC2:USER_SGPR: 6
; COMPUTE_PGM_RSRC2:TRAP_HANDLER: 0
; COMPUTE_PGM_RSRC2:TGID_X_EN: 1
; COMPUTE_PGM_RSRC2:TGID_Y_EN: 0
; COMPUTE_PGM_RSRC2:TGID_Z_EN: 0
; COMPUTE_PGM_RSRC2:TIDIG_COMP_CNT: 0
	.section	.text._ZN2at6native29vectorized_elementwise_kernelILi8ENS0_11FillFunctorItEESt5arrayIPcLm1EEEEviT0_T1_,"axG",@progbits,_ZN2at6native29vectorized_elementwise_kernelILi8ENS0_11FillFunctorItEESt5arrayIPcLm1EEEEviT0_T1_,comdat
	.protected	_ZN2at6native29vectorized_elementwise_kernelILi8ENS0_11FillFunctorItEESt5arrayIPcLm1EEEEviT0_T1_ ; -- Begin function _ZN2at6native29vectorized_elementwise_kernelILi8ENS0_11FillFunctorItEESt5arrayIPcLm1EEEEviT0_T1_
	.globl	_ZN2at6native29vectorized_elementwise_kernelILi8ENS0_11FillFunctorItEESt5arrayIPcLm1EEEEviT0_T1_
	.p2align	8
	.type	_ZN2at6native29vectorized_elementwise_kernelILi8ENS0_11FillFunctorItEESt5arrayIPcLm1EEEEviT0_T1_,@function
_ZN2at6native29vectorized_elementwise_kernelILi8ENS0_11FillFunctorItEESt5arrayIPcLm1EEEEviT0_T1_: ; @_ZN2at6native29vectorized_elementwise_kernelILi8ENS0_11FillFunctorItEESt5arrayIPcLm1EEEEviT0_T1_
; %bb.0:
	s_load_dwordx4 s[8:11], s[4:5], 0x0
	s_lshl_b32 s2, s6, 11
	s_mov_b64 s[0:1], -1
	s_waitcnt lgkmcnt(0)
	s_sub_i32 s4, s8, s2
	s_cmpk_gt_i32 s4, 0x7ff
	s_cbranch_scc0 .LBB153_2
; %bb.1:
	s_ashr_i32 s3, s2, 31
	s_lshl_b64 s[0:1], s[2:3], 1
	s_add_u32 s0, s10, s0
	s_pack_ll_b32_b16 s3, s9, s9
	s_addc_u32 s1, s11, s1
	v_lshlrev_b32_e32 v5, 4, v0
	v_mov_b32_e32 v1, s3
	v_mov_b32_e32 v2, s3
	;; [unrolled: 1-line block ×4, first 2 shown]
	global_store_dwordx4 v5, v[1:4], s[0:1]
	s_mov_b64 s[0:1], 0
.LBB153_2:
	s_andn2_b64 vcc, exec, s[0:1]
	s_cbranch_vccnz .LBB153_12
; %bb.3:
	s_and_b32 s0, 0xffff, s9
	v_mov_b32_e32 v1, s0
	v_cmp_gt_i32_e32 vcc, s4, v0
	v_cndmask_b32_e32 v2, 0, v1, vcc
	v_or_b32_e32 v5, 0x100, v0
	v_mov_b32_e32 v6, 0x5040100
	v_perm_b32 v3, s9, v2, v6
	v_cmp_gt_i32_e64 s[0:1], s4, v5
	v_cndmask_b32_e64 v4, v2, v3, s[0:1]
	v_or_b32_e32 v2, 0x200, v0
	v_cmp_gt_i32_e64 s[0:1], s4, v2
	v_cndmask_b32_e64 v2, 0, v1, s[0:1]
	v_or_b32_e32 v3, 0x300, v0
	v_perm_b32 v7, s9, v2, v6
	v_cmp_gt_i32_e64 s[0:1], s4, v3
	v_cndmask_b32_e64 v3, v2, v7, s[0:1]
	v_or_b32_e32 v2, 0x400, v0
	v_cmp_gt_i32_e64 s[0:1], s4, v2
	v_cndmask_b32_e64 v2, 0, v1, s[0:1]
	v_or_b32_e32 v7, 0x500, v0
	v_perm_b32 v8, s9, v2, v6
	v_cmp_gt_i32_e64 s[0:1], s4, v7
	v_or_b32_e32 v7, 0x600, v0
	v_cndmask_b32_e64 v2, v2, v8, s[0:1]
	v_cmp_gt_i32_e64 s[0:1], s4, v7
	v_cndmask_b32_e64 v1, 0, v1, s[0:1]
	v_or_b32_e32 v7, 0x700, v0
	v_perm_b32 v6, s9, v1, v6
	v_cmp_gt_i32_e64 s[0:1], s4, v7
	v_cndmask_b32_e64 v1, v1, v6, s[0:1]
	s_and_saveexec_b64 s[0:1], vcc
	s_cbranch_execnz .LBB153_13
; %bb.4:
	s_or_b64 exec, exec, s[0:1]
	v_cmp_gt_i32_e32 vcc, s4, v0
	s_and_saveexec_b64 s[0:1], vcc
	s_cbranch_execnz .LBB153_14
.LBB153_5:
	s_or_b64 exec, exec, s[0:1]
	v_cmp_gt_i32_e32 vcc, s4, v0
	s_and_saveexec_b64 s[0:1], vcc
	s_cbranch_execnz .LBB153_15
.LBB153_6:
	s_or_b64 exec, exec, s[0:1]
	v_cmp_gt_i32_e32 vcc, s4, v0
	s_and_saveexec_b64 s[0:1], vcc
	s_cbranch_execnz .LBB153_16
.LBB153_7:
	s_or_b64 exec, exec, s[0:1]
	v_cmp_gt_i32_e32 vcc, s4, v0
	s_and_saveexec_b64 s[0:1], vcc
	s_cbranch_execnz .LBB153_17
.LBB153_8:
	s_or_b64 exec, exec, s[0:1]
	v_cmp_gt_i32_e32 vcc, s4, v0
	s_and_saveexec_b64 s[0:1], vcc
	s_cbranch_execnz .LBB153_18
.LBB153_9:
	s_or_b64 exec, exec, s[0:1]
	v_cmp_gt_i32_e32 vcc, s4, v0
	s_and_saveexec_b64 s[0:1], vcc
	s_cbranch_execnz .LBB153_19
.LBB153_10:
	s_or_b64 exec, exec, s[0:1]
	v_cmp_gt_i32_e32 vcc, s4, v0
	s_and_saveexec_b64 s[0:1], vcc
	s_cbranch_execz .LBB153_12
.LBB153_11:
	v_add_u32_e32 v2, s2, v0
	v_mov_b32_e32 v3, 0
	v_lshlrev_b64 v[2:3], 1, v[2:3]
	v_mov_b32_e32 v0, s11
	v_add_co_u32_e32 v2, vcc, s10, v2
	v_addc_co_u32_e32 v3, vcc, v0, v3, vcc
	global_store_short_d16_hi v[2:3], v1, off
.LBB153_12:
	s_endpgm
.LBB153_13:
	v_or_b32_e32 v6, s2, v0
	v_mov_b32_e32 v7, 0
	v_lshlrev_b64 v[6:7], 1, v[6:7]
	v_mov_b32_e32 v0, s11
	v_add_co_u32_e32 v6, vcc, s10, v6
	v_addc_co_u32_e32 v7, vcc, v0, v7, vcc
	v_mov_b32_e32 v0, v5
	global_store_short v[6:7], v4, off
	s_or_b64 exec, exec, s[0:1]
	v_cmp_gt_i32_e32 vcc, s4, v0
	s_and_saveexec_b64 s[0:1], vcc
	s_cbranch_execz .LBB153_5
.LBB153_14:
	v_add_u32_e32 v5, s2, v0
	v_mov_b32_e32 v6, 0
	v_lshlrev_b64 v[5:6], 1, v[5:6]
	v_mov_b32_e32 v7, s11
	v_add_co_u32_e32 v5, vcc, s10, v5
	v_addc_co_u32_e32 v6, vcc, v7, v6, vcc
	v_add_u32_e32 v0, 0x100, v0
	global_store_short_d16_hi v[5:6], v4, off
	s_or_b64 exec, exec, s[0:1]
	v_cmp_gt_i32_e32 vcc, s4, v0
	s_and_saveexec_b64 s[0:1], vcc
	s_cbranch_execz .LBB153_6
.LBB153_15:
	v_add_u32_e32 v4, s2, v0
	v_mov_b32_e32 v5, 0
	v_lshlrev_b64 v[4:5], 1, v[4:5]
	v_mov_b32_e32 v6, s11
	v_add_co_u32_e32 v4, vcc, s10, v4
	v_addc_co_u32_e32 v5, vcc, v6, v5, vcc
	v_add_u32_e32 v0, 0x100, v0
	global_store_short v[4:5], v3, off
	s_or_b64 exec, exec, s[0:1]
	v_cmp_gt_i32_e32 vcc, s4, v0
	s_and_saveexec_b64 s[0:1], vcc
	s_cbranch_execz .LBB153_7
.LBB153_16:
	v_add_u32_e32 v4, s2, v0
	v_mov_b32_e32 v5, 0
	v_lshlrev_b64 v[4:5], 1, v[4:5]
	v_mov_b32_e32 v6, s11
	v_add_co_u32_e32 v4, vcc, s10, v4
	v_addc_co_u32_e32 v5, vcc, v6, v5, vcc
	v_add_u32_e32 v0, 0x100, v0
	global_store_short_d16_hi v[4:5], v3, off
	s_or_b64 exec, exec, s[0:1]
	v_cmp_gt_i32_e32 vcc, s4, v0
	s_and_saveexec_b64 s[0:1], vcc
	s_cbranch_execz .LBB153_8
.LBB153_17:
	v_add_u32_e32 v3, s2, v0
	v_mov_b32_e32 v4, 0
	v_lshlrev_b64 v[3:4], 1, v[3:4]
	v_mov_b32_e32 v5, s11
	v_add_co_u32_e32 v3, vcc, s10, v3
	v_addc_co_u32_e32 v4, vcc, v5, v4, vcc
	v_add_u32_e32 v0, 0x100, v0
	global_store_short v[3:4], v2, off
	s_or_b64 exec, exec, s[0:1]
	v_cmp_gt_i32_e32 vcc, s4, v0
	s_and_saveexec_b64 s[0:1], vcc
	s_cbranch_execz .LBB153_9
.LBB153_18:
	v_add_u32_e32 v3, s2, v0
	v_mov_b32_e32 v4, 0
	v_lshlrev_b64 v[3:4], 1, v[3:4]
	v_mov_b32_e32 v5, s11
	v_add_co_u32_e32 v3, vcc, s10, v3
	v_addc_co_u32_e32 v4, vcc, v5, v4, vcc
	v_add_u32_e32 v0, 0x100, v0
	global_store_short_d16_hi v[3:4], v2, off
	s_or_b64 exec, exec, s[0:1]
	v_cmp_gt_i32_e32 vcc, s4, v0
	s_and_saveexec_b64 s[0:1], vcc
	s_cbranch_execz .LBB153_10
.LBB153_19:
	v_add_u32_e32 v2, s2, v0
	v_mov_b32_e32 v3, 0
	v_lshlrev_b64 v[2:3], 1, v[2:3]
	v_mov_b32_e32 v4, s11
	v_add_co_u32_e32 v2, vcc, s10, v2
	v_addc_co_u32_e32 v3, vcc, v4, v3, vcc
	v_add_u32_e32 v0, 0x100, v0
	global_store_short v[2:3], v1, off
	s_or_b64 exec, exec, s[0:1]
	v_cmp_gt_i32_e32 vcc, s4, v0
	s_and_saveexec_b64 s[0:1], vcc
	s_cbranch_execnz .LBB153_11
	s_branch .LBB153_12
	.section	.rodata,"a",@progbits
	.p2align	6, 0x0
	.amdhsa_kernel _ZN2at6native29vectorized_elementwise_kernelILi8ENS0_11FillFunctorItEESt5arrayIPcLm1EEEEviT0_T1_
		.amdhsa_group_segment_fixed_size 0
		.amdhsa_private_segment_fixed_size 0
		.amdhsa_kernarg_size 16
		.amdhsa_user_sgpr_count 6
		.amdhsa_user_sgpr_private_segment_buffer 1
		.amdhsa_user_sgpr_dispatch_ptr 0
		.amdhsa_user_sgpr_queue_ptr 0
		.amdhsa_user_sgpr_kernarg_segment_ptr 1
		.amdhsa_user_sgpr_dispatch_id 0
		.amdhsa_user_sgpr_flat_scratch_init 0
		.amdhsa_user_sgpr_private_segment_size 0
		.amdhsa_uses_dynamic_stack 0
		.amdhsa_system_sgpr_private_segment_wavefront_offset 0
		.amdhsa_system_sgpr_workgroup_id_x 1
		.amdhsa_system_sgpr_workgroup_id_y 0
		.amdhsa_system_sgpr_workgroup_id_z 0
		.amdhsa_system_sgpr_workgroup_info 0
		.amdhsa_system_vgpr_workitem_id 0
		.amdhsa_next_free_vgpr 9
		.amdhsa_next_free_sgpr 12
		.amdhsa_reserve_vcc 1
		.amdhsa_reserve_flat_scratch 0
		.amdhsa_float_round_mode_32 0
		.amdhsa_float_round_mode_16_64 0
		.amdhsa_float_denorm_mode_32 3
		.amdhsa_float_denorm_mode_16_64 3
		.amdhsa_dx10_clamp 1
		.amdhsa_ieee_mode 1
		.amdhsa_fp16_overflow 0
		.amdhsa_exception_fp_ieee_invalid_op 0
		.amdhsa_exception_fp_denorm_src 0
		.amdhsa_exception_fp_ieee_div_zero 0
		.amdhsa_exception_fp_ieee_overflow 0
		.amdhsa_exception_fp_ieee_underflow 0
		.amdhsa_exception_fp_ieee_inexact 0
		.amdhsa_exception_int_div_zero 0
	.end_amdhsa_kernel
	.section	.text._ZN2at6native29vectorized_elementwise_kernelILi8ENS0_11FillFunctorItEESt5arrayIPcLm1EEEEviT0_T1_,"axG",@progbits,_ZN2at6native29vectorized_elementwise_kernelILi8ENS0_11FillFunctorItEESt5arrayIPcLm1EEEEviT0_T1_,comdat
.Lfunc_end153:
	.size	_ZN2at6native29vectorized_elementwise_kernelILi8ENS0_11FillFunctorItEESt5arrayIPcLm1EEEEviT0_T1_, .Lfunc_end153-_ZN2at6native29vectorized_elementwise_kernelILi8ENS0_11FillFunctorItEESt5arrayIPcLm1EEEEviT0_T1_
                                        ; -- End function
	.set _ZN2at6native29vectorized_elementwise_kernelILi8ENS0_11FillFunctorItEESt5arrayIPcLm1EEEEviT0_T1_.num_vgpr, 9
	.set _ZN2at6native29vectorized_elementwise_kernelILi8ENS0_11FillFunctorItEESt5arrayIPcLm1EEEEviT0_T1_.num_agpr, 0
	.set _ZN2at6native29vectorized_elementwise_kernelILi8ENS0_11FillFunctorItEESt5arrayIPcLm1EEEEviT0_T1_.numbered_sgpr, 12
	.set _ZN2at6native29vectorized_elementwise_kernelILi8ENS0_11FillFunctorItEESt5arrayIPcLm1EEEEviT0_T1_.num_named_barrier, 0
	.set _ZN2at6native29vectorized_elementwise_kernelILi8ENS0_11FillFunctorItEESt5arrayIPcLm1EEEEviT0_T1_.private_seg_size, 0
	.set _ZN2at6native29vectorized_elementwise_kernelILi8ENS0_11FillFunctorItEESt5arrayIPcLm1EEEEviT0_T1_.uses_vcc, 1
	.set _ZN2at6native29vectorized_elementwise_kernelILi8ENS0_11FillFunctorItEESt5arrayIPcLm1EEEEviT0_T1_.uses_flat_scratch, 0
	.set _ZN2at6native29vectorized_elementwise_kernelILi8ENS0_11FillFunctorItEESt5arrayIPcLm1EEEEviT0_T1_.has_dyn_sized_stack, 0
	.set _ZN2at6native29vectorized_elementwise_kernelILi8ENS0_11FillFunctorItEESt5arrayIPcLm1EEEEviT0_T1_.has_recursion, 0
	.set _ZN2at6native29vectorized_elementwise_kernelILi8ENS0_11FillFunctorItEESt5arrayIPcLm1EEEEviT0_T1_.has_indirect_call, 0
	.section	.AMDGPU.csdata,"",@progbits
; Kernel info:
; codeLenInByte = 900
; TotalNumSgprs: 16
; NumVgprs: 9
; ScratchSize: 0
; MemoryBound: 0
; FloatMode: 240
; IeeeMode: 1
; LDSByteSize: 0 bytes/workgroup (compile time only)
; SGPRBlocks: 1
; VGPRBlocks: 2
; NumSGPRsForWavesPerEU: 16
; NumVGPRsForWavesPerEU: 9
; Occupancy: 10
; WaveLimiterHint : 0
; COMPUTE_PGM_RSRC2:SCRATCH_EN: 0
; COMPUTE_PGM_RSRC2:USER_SGPR: 6
; COMPUTE_PGM_RSRC2:TRAP_HANDLER: 0
; COMPUTE_PGM_RSRC2:TGID_X_EN: 1
; COMPUTE_PGM_RSRC2:TGID_Y_EN: 0
; COMPUTE_PGM_RSRC2:TGID_Z_EN: 0
; COMPUTE_PGM_RSRC2:TIDIG_COMP_CNT: 0
	.section	.text._ZN2at6native29vectorized_elementwise_kernelILi4ENS0_11FillFunctorItEESt5arrayIPcLm1EEEEviT0_T1_,"axG",@progbits,_ZN2at6native29vectorized_elementwise_kernelILi4ENS0_11FillFunctorItEESt5arrayIPcLm1EEEEviT0_T1_,comdat
	.protected	_ZN2at6native29vectorized_elementwise_kernelILi4ENS0_11FillFunctorItEESt5arrayIPcLm1EEEEviT0_T1_ ; -- Begin function _ZN2at6native29vectorized_elementwise_kernelILi4ENS0_11FillFunctorItEESt5arrayIPcLm1EEEEviT0_T1_
	.globl	_ZN2at6native29vectorized_elementwise_kernelILi4ENS0_11FillFunctorItEESt5arrayIPcLm1EEEEviT0_T1_
	.p2align	8
	.type	_ZN2at6native29vectorized_elementwise_kernelILi4ENS0_11FillFunctorItEESt5arrayIPcLm1EEEEviT0_T1_,@function
_ZN2at6native29vectorized_elementwise_kernelILi4ENS0_11FillFunctorItEESt5arrayIPcLm1EEEEviT0_T1_: ; @_ZN2at6native29vectorized_elementwise_kernelILi4ENS0_11FillFunctorItEESt5arrayIPcLm1EEEEviT0_T1_
; %bb.0:
	s_load_dwordx4 s[8:11], s[4:5], 0x0
	s_lshl_b32 s2, s6, 11
	s_mov_b64 s[0:1], -1
	s_waitcnt lgkmcnt(0)
	s_sub_i32 s4, s8, s2
	s_cmpk_gt_i32 s4, 0x7ff
	s_cbranch_scc0 .LBB154_2
; %bb.1:
	s_pack_ll_b32_b16 s0, s9, s9
	s_ashr_i32 s3, s2, 31
	s_lshl_b64 s[6:7], s[2:3], 1
	s_mov_b32 s1, s0
	s_add_u32 s6, s10, s6
	v_mov_b32_e32 v2, s1
	s_addc_u32 s7, s11, s7
	v_lshlrev_b32_e32 v3, 3, v0
	v_mov_b32_e32 v1, s0
	global_store_dwordx2 v3, v[1:2], s[6:7]
	global_store_dwordx2 v3, v[1:2], s[6:7] offset:2048
	s_mov_b64 s[0:1], 0
.LBB154_2:
	s_andn2_b64 vcc, exec, s[0:1]
	s_cbranch_vccnz .LBB154_12
; %bb.3:
	s_and_b32 s0, 0xffff, s9
	v_mov_b32_e32 v1, s0
	v_cmp_gt_i32_e32 vcc, s4, v0
	v_cndmask_b32_e32 v2, 0, v1, vcc
	v_or_b32_e32 v5, 0x100, v0
	v_mov_b32_e32 v6, 0x5040100
	v_perm_b32 v3, s9, v2, v6
	v_cmp_gt_i32_e64 s[0:1], s4, v5
	v_cndmask_b32_e64 v4, v2, v3, s[0:1]
	v_or_b32_e32 v2, 0x200, v0
	v_cmp_gt_i32_e64 s[0:1], s4, v2
	v_cndmask_b32_e64 v2, 0, v1, s[0:1]
	v_or_b32_e32 v3, 0x300, v0
	v_perm_b32 v7, s9, v2, v6
	v_cmp_gt_i32_e64 s[0:1], s4, v3
	v_cndmask_b32_e64 v3, v2, v7, s[0:1]
	v_or_b32_e32 v2, 0x400, v0
	v_cmp_gt_i32_e64 s[0:1], s4, v2
	v_cndmask_b32_e64 v2, 0, v1, s[0:1]
	v_or_b32_e32 v7, 0x500, v0
	v_perm_b32 v8, s9, v2, v6
	v_cmp_gt_i32_e64 s[0:1], s4, v7
	v_or_b32_e32 v7, 0x600, v0
	v_cndmask_b32_e64 v2, v2, v8, s[0:1]
	v_cmp_gt_i32_e64 s[0:1], s4, v7
	v_cndmask_b32_e64 v1, 0, v1, s[0:1]
	v_or_b32_e32 v7, 0x700, v0
	v_perm_b32 v6, s9, v1, v6
	v_cmp_gt_i32_e64 s[0:1], s4, v7
	v_cndmask_b32_e64 v1, v1, v6, s[0:1]
	s_and_saveexec_b64 s[0:1], vcc
	s_cbranch_execnz .LBB154_13
; %bb.4:
	s_or_b64 exec, exec, s[0:1]
	v_cmp_gt_i32_e32 vcc, s4, v0
	s_and_saveexec_b64 s[0:1], vcc
	s_cbranch_execnz .LBB154_14
.LBB154_5:
	s_or_b64 exec, exec, s[0:1]
	v_cmp_gt_i32_e32 vcc, s4, v0
	s_and_saveexec_b64 s[0:1], vcc
	s_cbranch_execnz .LBB154_15
.LBB154_6:
	s_or_b64 exec, exec, s[0:1]
	v_cmp_gt_i32_e32 vcc, s4, v0
	s_and_saveexec_b64 s[0:1], vcc
	s_cbranch_execnz .LBB154_16
.LBB154_7:
	s_or_b64 exec, exec, s[0:1]
	v_cmp_gt_i32_e32 vcc, s4, v0
	s_and_saveexec_b64 s[0:1], vcc
	s_cbranch_execnz .LBB154_17
.LBB154_8:
	s_or_b64 exec, exec, s[0:1]
	v_cmp_gt_i32_e32 vcc, s4, v0
	s_and_saveexec_b64 s[0:1], vcc
	s_cbranch_execnz .LBB154_18
.LBB154_9:
	s_or_b64 exec, exec, s[0:1]
	v_cmp_gt_i32_e32 vcc, s4, v0
	s_and_saveexec_b64 s[0:1], vcc
	s_cbranch_execnz .LBB154_19
.LBB154_10:
	s_or_b64 exec, exec, s[0:1]
	v_cmp_gt_i32_e32 vcc, s4, v0
	s_and_saveexec_b64 s[0:1], vcc
	s_cbranch_execz .LBB154_12
.LBB154_11:
	v_add_u32_e32 v2, s2, v0
	v_mov_b32_e32 v3, 0
	v_lshlrev_b64 v[2:3], 1, v[2:3]
	v_mov_b32_e32 v0, s11
	v_add_co_u32_e32 v2, vcc, s10, v2
	v_addc_co_u32_e32 v3, vcc, v0, v3, vcc
	global_store_short_d16_hi v[2:3], v1, off
.LBB154_12:
	s_endpgm
.LBB154_13:
	v_or_b32_e32 v6, s2, v0
	v_mov_b32_e32 v7, 0
	v_lshlrev_b64 v[6:7], 1, v[6:7]
	v_mov_b32_e32 v0, s11
	v_add_co_u32_e32 v6, vcc, s10, v6
	v_addc_co_u32_e32 v7, vcc, v0, v7, vcc
	v_mov_b32_e32 v0, v5
	global_store_short v[6:7], v4, off
	s_or_b64 exec, exec, s[0:1]
	v_cmp_gt_i32_e32 vcc, s4, v0
	s_and_saveexec_b64 s[0:1], vcc
	s_cbranch_execz .LBB154_5
.LBB154_14:
	v_add_u32_e32 v5, s2, v0
	v_mov_b32_e32 v6, 0
	v_lshlrev_b64 v[5:6], 1, v[5:6]
	v_mov_b32_e32 v7, s11
	v_add_co_u32_e32 v5, vcc, s10, v5
	v_addc_co_u32_e32 v6, vcc, v7, v6, vcc
	v_add_u32_e32 v0, 0x100, v0
	global_store_short_d16_hi v[5:6], v4, off
	s_or_b64 exec, exec, s[0:1]
	v_cmp_gt_i32_e32 vcc, s4, v0
	s_and_saveexec_b64 s[0:1], vcc
	s_cbranch_execz .LBB154_6
.LBB154_15:
	v_add_u32_e32 v4, s2, v0
	v_mov_b32_e32 v5, 0
	v_lshlrev_b64 v[4:5], 1, v[4:5]
	v_mov_b32_e32 v6, s11
	v_add_co_u32_e32 v4, vcc, s10, v4
	v_addc_co_u32_e32 v5, vcc, v6, v5, vcc
	v_add_u32_e32 v0, 0x100, v0
	global_store_short v[4:5], v3, off
	s_or_b64 exec, exec, s[0:1]
	v_cmp_gt_i32_e32 vcc, s4, v0
	s_and_saveexec_b64 s[0:1], vcc
	s_cbranch_execz .LBB154_7
.LBB154_16:
	v_add_u32_e32 v4, s2, v0
	v_mov_b32_e32 v5, 0
	v_lshlrev_b64 v[4:5], 1, v[4:5]
	v_mov_b32_e32 v6, s11
	v_add_co_u32_e32 v4, vcc, s10, v4
	v_addc_co_u32_e32 v5, vcc, v6, v5, vcc
	v_add_u32_e32 v0, 0x100, v0
	global_store_short_d16_hi v[4:5], v3, off
	s_or_b64 exec, exec, s[0:1]
	v_cmp_gt_i32_e32 vcc, s4, v0
	s_and_saveexec_b64 s[0:1], vcc
	s_cbranch_execz .LBB154_8
.LBB154_17:
	v_add_u32_e32 v3, s2, v0
	v_mov_b32_e32 v4, 0
	v_lshlrev_b64 v[3:4], 1, v[3:4]
	v_mov_b32_e32 v5, s11
	v_add_co_u32_e32 v3, vcc, s10, v3
	v_addc_co_u32_e32 v4, vcc, v5, v4, vcc
	v_add_u32_e32 v0, 0x100, v0
	global_store_short v[3:4], v2, off
	s_or_b64 exec, exec, s[0:1]
	v_cmp_gt_i32_e32 vcc, s4, v0
	s_and_saveexec_b64 s[0:1], vcc
	s_cbranch_execz .LBB154_9
.LBB154_18:
	v_add_u32_e32 v3, s2, v0
	v_mov_b32_e32 v4, 0
	v_lshlrev_b64 v[3:4], 1, v[3:4]
	v_mov_b32_e32 v5, s11
	v_add_co_u32_e32 v3, vcc, s10, v3
	v_addc_co_u32_e32 v4, vcc, v5, v4, vcc
	v_add_u32_e32 v0, 0x100, v0
	global_store_short_d16_hi v[3:4], v2, off
	s_or_b64 exec, exec, s[0:1]
	v_cmp_gt_i32_e32 vcc, s4, v0
	s_and_saveexec_b64 s[0:1], vcc
	s_cbranch_execz .LBB154_10
.LBB154_19:
	v_add_u32_e32 v2, s2, v0
	v_mov_b32_e32 v3, 0
	v_lshlrev_b64 v[2:3], 1, v[2:3]
	v_mov_b32_e32 v4, s11
	v_add_co_u32_e32 v2, vcc, s10, v2
	v_addc_co_u32_e32 v3, vcc, v4, v3, vcc
	v_add_u32_e32 v0, 0x100, v0
	global_store_short v[2:3], v1, off
	s_or_b64 exec, exec, s[0:1]
	v_cmp_gt_i32_e32 vcc, s4, v0
	s_and_saveexec_b64 s[0:1], vcc
	s_cbranch_execnz .LBB154_11
	s_branch .LBB154_12
	.section	.rodata,"a",@progbits
	.p2align	6, 0x0
	.amdhsa_kernel _ZN2at6native29vectorized_elementwise_kernelILi4ENS0_11FillFunctorItEESt5arrayIPcLm1EEEEviT0_T1_
		.amdhsa_group_segment_fixed_size 0
		.amdhsa_private_segment_fixed_size 0
		.amdhsa_kernarg_size 16
		.amdhsa_user_sgpr_count 6
		.amdhsa_user_sgpr_private_segment_buffer 1
		.amdhsa_user_sgpr_dispatch_ptr 0
		.amdhsa_user_sgpr_queue_ptr 0
		.amdhsa_user_sgpr_kernarg_segment_ptr 1
		.amdhsa_user_sgpr_dispatch_id 0
		.amdhsa_user_sgpr_flat_scratch_init 0
		.amdhsa_user_sgpr_private_segment_size 0
		.amdhsa_uses_dynamic_stack 0
		.amdhsa_system_sgpr_private_segment_wavefront_offset 0
		.amdhsa_system_sgpr_workgroup_id_x 1
		.amdhsa_system_sgpr_workgroup_id_y 0
		.amdhsa_system_sgpr_workgroup_id_z 0
		.amdhsa_system_sgpr_workgroup_info 0
		.amdhsa_system_vgpr_workitem_id 0
		.amdhsa_next_free_vgpr 9
		.amdhsa_next_free_sgpr 12
		.amdhsa_reserve_vcc 1
		.amdhsa_reserve_flat_scratch 0
		.amdhsa_float_round_mode_32 0
		.amdhsa_float_round_mode_16_64 0
		.amdhsa_float_denorm_mode_32 3
		.amdhsa_float_denorm_mode_16_64 3
		.amdhsa_dx10_clamp 1
		.amdhsa_ieee_mode 1
		.amdhsa_fp16_overflow 0
		.amdhsa_exception_fp_ieee_invalid_op 0
		.amdhsa_exception_fp_denorm_src 0
		.amdhsa_exception_fp_ieee_div_zero 0
		.amdhsa_exception_fp_ieee_overflow 0
		.amdhsa_exception_fp_ieee_underflow 0
		.amdhsa_exception_fp_ieee_inexact 0
		.amdhsa_exception_int_div_zero 0
	.end_amdhsa_kernel
	.section	.text._ZN2at6native29vectorized_elementwise_kernelILi4ENS0_11FillFunctorItEESt5arrayIPcLm1EEEEviT0_T1_,"axG",@progbits,_ZN2at6native29vectorized_elementwise_kernelILi4ENS0_11FillFunctorItEESt5arrayIPcLm1EEEEviT0_T1_,comdat
.Lfunc_end154:
	.size	_ZN2at6native29vectorized_elementwise_kernelILi4ENS0_11FillFunctorItEESt5arrayIPcLm1EEEEviT0_T1_, .Lfunc_end154-_ZN2at6native29vectorized_elementwise_kernelILi4ENS0_11FillFunctorItEESt5arrayIPcLm1EEEEviT0_T1_
                                        ; -- End function
	.set _ZN2at6native29vectorized_elementwise_kernelILi4ENS0_11FillFunctorItEESt5arrayIPcLm1EEEEviT0_T1_.num_vgpr, 9
	.set _ZN2at6native29vectorized_elementwise_kernelILi4ENS0_11FillFunctorItEESt5arrayIPcLm1EEEEviT0_T1_.num_agpr, 0
	.set _ZN2at6native29vectorized_elementwise_kernelILi4ENS0_11FillFunctorItEESt5arrayIPcLm1EEEEviT0_T1_.numbered_sgpr, 12
	.set _ZN2at6native29vectorized_elementwise_kernelILi4ENS0_11FillFunctorItEESt5arrayIPcLm1EEEEviT0_T1_.num_named_barrier, 0
	.set _ZN2at6native29vectorized_elementwise_kernelILi4ENS0_11FillFunctorItEESt5arrayIPcLm1EEEEviT0_T1_.private_seg_size, 0
	.set _ZN2at6native29vectorized_elementwise_kernelILi4ENS0_11FillFunctorItEESt5arrayIPcLm1EEEEviT0_T1_.uses_vcc, 1
	.set _ZN2at6native29vectorized_elementwise_kernelILi4ENS0_11FillFunctorItEESt5arrayIPcLm1EEEEviT0_T1_.uses_flat_scratch, 0
	.set _ZN2at6native29vectorized_elementwise_kernelILi4ENS0_11FillFunctorItEESt5arrayIPcLm1EEEEviT0_T1_.has_dyn_sized_stack, 0
	.set _ZN2at6native29vectorized_elementwise_kernelILi4ENS0_11FillFunctorItEESt5arrayIPcLm1EEEEviT0_T1_.has_recursion, 0
	.set _ZN2at6native29vectorized_elementwise_kernelILi4ENS0_11FillFunctorItEESt5arrayIPcLm1EEEEviT0_T1_.has_indirect_call, 0
	.section	.AMDGPU.csdata,"",@progbits
; Kernel info:
; codeLenInByte = 904
; TotalNumSgprs: 16
; NumVgprs: 9
; ScratchSize: 0
; MemoryBound: 0
; FloatMode: 240
; IeeeMode: 1
; LDSByteSize: 0 bytes/workgroup (compile time only)
; SGPRBlocks: 1
; VGPRBlocks: 2
; NumSGPRsForWavesPerEU: 16
; NumVGPRsForWavesPerEU: 9
; Occupancy: 10
; WaveLimiterHint : 1
; COMPUTE_PGM_RSRC2:SCRATCH_EN: 0
; COMPUTE_PGM_RSRC2:USER_SGPR: 6
; COMPUTE_PGM_RSRC2:TRAP_HANDLER: 0
; COMPUTE_PGM_RSRC2:TGID_X_EN: 1
; COMPUTE_PGM_RSRC2:TGID_Y_EN: 0
; COMPUTE_PGM_RSRC2:TGID_Z_EN: 0
; COMPUTE_PGM_RSRC2:TIDIG_COMP_CNT: 0
	.section	.text._ZN2at6native29vectorized_elementwise_kernelILi2ENS0_11FillFunctorItEESt5arrayIPcLm1EEEEviT0_T1_,"axG",@progbits,_ZN2at6native29vectorized_elementwise_kernelILi2ENS0_11FillFunctorItEESt5arrayIPcLm1EEEEviT0_T1_,comdat
	.protected	_ZN2at6native29vectorized_elementwise_kernelILi2ENS0_11FillFunctorItEESt5arrayIPcLm1EEEEviT0_T1_ ; -- Begin function _ZN2at6native29vectorized_elementwise_kernelILi2ENS0_11FillFunctorItEESt5arrayIPcLm1EEEEviT0_T1_
	.globl	_ZN2at6native29vectorized_elementwise_kernelILi2ENS0_11FillFunctorItEESt5arrayIPcLm1EEEEviT0_T1_
	.p2align	8
	.type	_ZN2at6native29vectorized_elementwise_kernelILi2ENS0_11FillFunctorItEESt5arrayIPcLm1EEEEviT0_T1_,@function
_ZN2at6native29vectorized_elementwise_kernelILi2ENS0_11FillFunctorItEESt5arrayIPcLm1EEEEviT0_T1_: ; @_ZN2at6native29vectorized_elementwise_kernelILi2ENS0_11FillFunctorItEESt5arrayIPcLm1EEEEviT0_T1_
; %bb.0:
	s_load_dwordx4 s[8:11], s[4:5], 0x0
	s_lshl_b32 s2, s6, 11
	s_mov_b64 s[0:1], -1
	s_waitcnt lgkmcnt(0)
	s_sub_i32 s4, s8, s2
	s_cmpk_gt_i32 s4, 0x7ff
	s_cbranch_scc0 .LBB155_2
; %bb.1:
	s_ashr_i32 s3, s2, 31
	s_lshl_b64 s[0:1], s[2:3], 1
	s_pack_ll_b32_b16 s5, s9, s9
	s_add_u32 s0, s10, s0
	s_addc_u32 s1, s11, s1
	v_lshlrev_b32_e32 v1, 2, v0
	v_mov_b32_e32 v2, s5
	global_store_dword v1, v2, s[0:1]
	global_store_dword v1, v2, s[0:1] offset:1024
	global_store_dword v1, v2, s[0:1] offset:2048
	;; [unrolled: 1-line block ×3, first 2 shown]
	s_mov_b64 s[0:1], 0
.LBB155_2:
	s_andn2_b64 vcc, exec, s[0:1]
	s_cbranch_vccnz .LBB155_12
; %bb.3:
	s_and_b32 s0, 0xffff, s9
	v_mov_b32_e32 v1, s0
	v_cmp_gt_i32_e32 vcc, s4, v0
	v_cndmask_b32_e32 v2, 0, v1, vcc
	v_or_b32_e32 v5, 0x100, v0
	v_mov_b32_e32 v6, 0x5040100
	v_perm_b32 v3, s9, v2, v6
	v_cmp_gt_i32_e64 s[0:1], s4, v5
	v_cndmask_b32_e64 v4, v2, v3, s[0:1]
	v_or_b32_e32 v2, 0x200, v0
	v_cmp_gt_i32_e64 s[0:1], s4, v2
	v_cndmask_b32_e64 v2, 0, v1, s[0:1]
	v_or_b32_e32 v3, 0x300, v0
	v_perm_b32 v7, s9, v2, v6
	v_cmp_gt_i32_e64 s[0:1], s4, v3
	v_cndmask_b32_e64 v3, v2, v7, s[0:1]
	v_or_b32_e32 v2, 0x400, v0
	v_cmp_gt_i32_e64 s[0:1], s4, v2
	v_cndmask_b32_e64 v2, 0, v1, s[0:1]
	v_or_b32_e32 v7, 0x500, v0
	v_perm_b32 v8, s9, v2, v6
	v_cmp_gt_i32_e64 s[0:1], s4, v7
	v_or_b32_e32 v7, 0x600, v0
	v_cndmask_b32_e64 v2, v2, v8, s[0:1]
	v_cmp_gt_i32_e64 s[0:1], s4, v7
	v_cndmask_b32_e64 v1, 0, v1, s[0:1]
	v_or_b32_e32 v7, 0x700, v0
	v_perm_b32 v6, s9, v1, v6
	v_cmp_gt_i32_e64 s[0:1], s4, v7
	v_cndmask_b32_e64 v1, v1, v6, s[0:1]
	s_and_saveexec_b64 s[0:1], vcc
	s_cbranch_execnz .LBB155_13
; %bb.4:
	s_or_b64 exec, exec, s[0:1]
	v_cmp_gt_i32_e32 vcc, s4, v0
	s_and_saveexec_b64 s[0:1], vcc
	s_cbranch_execnz .LBB155_14
.LBB155_5:
	s_or_b64 exec, exec, s[0:1]
	v_cmp_gt_i32_e32 vcc, s4, v0
	s_and_saveexec_b64 s[0:1], vcc
	s_cbranch_execnz .LBB155_15
.LBB155_6:
	s_or_b64 exec, exec, s[0:1]
	v_cmp_gt_i32_e32 vcc, s4, v0
	s_and_saveexec_b64 s[0:1], vcc
	s_cbranch_execnz .LBB155_16
.LBB155_7:
	s_or_b64 exec, exec, s[0:1]
	v_cmp_gt_i32_e32 vcc, s4, v0
	s_and_saveexec_b64 s[0:1], vcc
	s_cbranch_execnz .LBB155_17
.LBB155_8:
	s_or_b64 exec, exec, s[0:1]
	v_cmp_gt_i32_e32 vcc, s4, v0
	s_and_saveexec_b64 s[0:1], vcc
	s_cbranch_execnz .LBB155_18
.LBB155_9:
	s_or_b64 exec, exec, s[0:1]
	v_cmp_gt_i32_e32 vcc, s4, v0
	s_and_saveexec_b64 s[0:1], vcc
	s_cbranch_execnz .LBB155_19
.LBB155_10:
	s_or_b64 exec, exec, s[0:1]
	v_cmp_gt_i32_e32 vcc, s4, v0
	s_and_saveexec_b64 s[0:1], vcc
	s_cbranch_execz .LBB155_12
.LBB155_11:
	v_add_u32_e32 v2, s2, v0
	v_mov_b32_e32 v3, 0
	v_lshlrev_b64 v[2:3], 1, v[2:3]
	v_mov_b32_e32 v0, s11
	v_add_co_u32_e32 v2, vcc, s10, v2
	v_addc_co_u32_e32 v3, vcc, v0, v3, vcc
	global_store_short_d16_hi v[2:3], v1, off
.LBB155_12:
	s_endpgm
.LBB155_13:
	v_or_b32_e32 v6, s2, v0
	v_mov_b32_e32 v7, 0
	v_lshlrev_b64 v[6:7], 1, v[6:7]
	v_mov_b32_e32 v0, s11
	v_add_co_u32_e32 v6, vcc, s10, v6
	v_addc_co_u32_e32 v7, vcc, v0, v7, vcc
	v_mov_b32_e32 v0, v5
	global_store_short v[6:7], v4, off
	s_or_b64 exec, exec, s[0:1]
	v_cmp_gt_i32_e32 vcc, s4, v0
	s_and_saveexec_b64 s[0:1], vcc
	s_cbranch_execz .LBB155_5
.LBB155_14:
	v_add_u32_e32 v5, s2, v0
	v_mov_b32_e32 v6, 0
	v_lshlrev_b64 v[5:6], 1, v[5:6]
	v_mov_b32_e32 v7, s11
	v_add_co_u32_e32 v5, vcc, s10, v5
	v_addc_co_u32_e32 v6, vcc, v7, v6, vcc
	v_add_u32_e32 v0, 0x100, v0
	global_store_short_d16_hi v[5:6], v4, off
	s_or_b64 exec, exec, s[0:1]
	v_cmp_gt_i32_e32 vcc, s4, v0
	s_and_saveexec_b64 s[0:1], vcc
	s_cbranch_execz .LBB155_6
.LBB155_15:
	v_add_u32_e32 v4, s2, v0
	v_mov_b32_e32 v5, 0
	v_lshlrev_b64 v[4:5], 1, v[4:5]
	v_mov_b32_e32 v6, s11
	v_add_co_u32_e32 v4, vcc, s10, v4
	v_addc_co_u32_e32 v5, vcc, v6, v5, vcc
	v_add_u32_e32 v0, 0x100, v0
	global_store_short v[4:5], v3, off
	s_or_b64 exec, exec, s[0:1]
	v_cmp_gt_i32_e32 vcc, s4, v0
	s_and_saveexec_b64 s[0:1], vcc
	s_cbranch_execz .LBB155_7
.LBB155_16:
	v_add_u32_e32 v4, s2, v0
	v_mov_b32_e32 v5, 0
	v_lshlrev_b64 v[4:5], 1, v[4:5]
	v_mov_b32_e32 v6, s11
	v_add_co_u32_e32 v4, vcc, s10, v4
	v_addc_co_u32_e32 v5, vcc, v6, v5, vcc
	v_add_u32_e32 v0, 0x100, v0
	global_store_short_d16_hi v[4:5], v3, off
	s_or_b64 exec, exec, s[0:1]
	v_cmp_gt_i32_e32 vcc, s4, v0
	s_and_saveexec_b64 s[0:1], vcc
	s_cbranch_execz .LBB155_8
.LBB155_17:
	v_add_u32_e32 v3, s2, v0
	v_mov_b32_e32 v4, 0
	v_lshlrev_b64 v[3:4], 1, v[3:4]
	v_mov_b32_e32 v5, s11
	v_add_co_u32_e32 v3, vcc, s10, v3
	v_addc_co_u32_e32 v4, vcc, v5, v4, vcc
	v_add_u32_e32 v0, 0x100, v0
	global_store_short v[3:4], v2, off
	s_or_b64 exec, exec, s[0:1]
	v_cmp_gt_i32_e32 vcc, s4, v0
	s_and_saveexec_b64 s[0:1], vcc
	s_cbranch_execz .LBB155_9
.LBB155_18:
	v_add_u32_e32 v3, s2, v0
	v_mov_b32_e32 v4, 0
	v_lshlrev_b64 v[3:4], 1, v[3:4]
	v_mov_b32_e32 v5, s11
	v_add_co_u32_e32 v3, vcc, s10, v3
	v_addc_co_u32_e32 v4, vcc, v5, v4, vcc
	v_add_u32_e32 v0, 0x100, v0
	global_store_short_d16_hi v[3:4], v2, off
	s_or_b64 exec, exec, s[0:1]
	v_cmp_gt_i32_e32 vcc, s4, v0
	s_and_saveexec_b64 s[0:1], vcc
	s_cbranch_execz .LBB155_10
.LBB155_19:
	v_add_u32_e32 v2, s2, v0
	v_mov_b32_e32 v3, 0
	v_lshlrev_b64 v[2:3], 1, v[2:3]
	v_mov_b32_e32 v4, s11
	v_add_co_u32_e32 v2, vcc, s10, v2
	v_addc_co_u32_e32 v3, vcc, v4, v3, vcc
	v_add_u32_e32 v0, 0x100, v0
	global_store_short v[2:3], v1, off
	s_or_b64 exec, exec, s[0:1]
	v_cmp_gt_i32_e32 vcc, s4, v0
	s_and_saveexec_b64 s[0:1], vcc
	s_cbranch_execnz .LBB155_11
	s_branch .LBB155_12
	.section	.rodata,"a",@progbits
	.p2align	6, 0x0
	.amdhsa_kernel _ZN2at6native29vectorized_elementwise_kernelILi2ENS0_11FillFunctorItEESt5arrayIPcLm1EEEEviT0_T1_
		.amdhsa_group_segment_fixed_size 0
		.amdhsa_private_segment_fixed_size 0
		.amdhsa_kernarg_size 16
		.amdhsa_user_sgpr_count 6
		.amdhsa_user_sgpr_private_segment_buffer 1
		.amdhsa_user_sgpr_dispatch_ptr 0
		.amdhsa_user_sgpr_queue_ptr 0
		.amdhsa_user_sgpr_kernarg_segment_ptr 1
		.amdhsa_user_sgpr_dispatch_id 0
		.amdhsa_user_sgpr_flat_scratch_init 0
		.amdhsa_user_sgpr_private_segment_size 0
		.amdhsa_uses_dynamic_stack 0
		.amdhsa_system_sgpr_private_segment_wavefront_offset 0
		.amdhsa_system_sgpr_workgroup_id_x 1
		.amdhsa_system_sgpr_workgroup_id_y 0
		.amdhsa_system_sgpr_workgroup_id_z 0
		.amdhsa_system_sgpr_workgroup_info 0
		.amdhsa_system_vgpr_workitem_id 0
		.amdhsa_next_free_vgpr 9
		.amdhsa_next_free_sgpr 12
		.amdhsa_reserve_vcc 1
		.amdhsa_reserve_flat_scratch 0
		.amdhsa_float_round_mode_32 0
		.amdhsa_float_round_mode_16_64 0
		.amdhsa_float_denorm_mode_32 3
		.amdhsa_float_denorm_mode_16_64 3
		.amdhsa_dx10_clamp 1
		.amdhsa_ieee_mode 1
		.amdhsa_fp16_overflow 0
		.amdhsa_exception_fp_ieee_invalid_op 0
		.amdhsa_exception_fp_denorm_src 0
		.amdhsa_exception_fp_ieee_div_zero 0
		.amdhsa_exception_fp_ieee_overflow 0
		.amdhsa_exception_fp_ieee_underflow 0
		.amdhsa_exception_fp_ieee_inexact 0
		.amdhsa_exception_int_div_zero 0
	.end_amdhsa_kernel
	.section	.text._ZN2at6native29vectorized_elementwise_kernelILi2ENS0_11FillFunctorItEESt5arrayIPcLm1EEEEviT0_T1_,"axG",@progbits,_ZN2at6native29vectorized_elementwise_kernelILi2ENS0_11FillFunctorItEESt5arrayIPcLm1EEEEviT0_T1_,comdat
.Lfunc_end155:
	.size	_ZN2at6native29vectorized_elementwise_kernelILi2ENS0_11FillFunctorItEESt5arrayIPcLm1EEEEviT0_T1_, .Lfunc_end155-_ZN2at6native29vectorized_elementwise_kernelILi2ENS0_11FillFunctorItEESt5arrayIPcLm1EEEEviT0_T1_
                                        ; -- End function
	.set _ZN2at6native29vectorized_elementwise_kernelILi2ENS0_11FillFunctorItEESt5arrayIPcLm1EEEEviT0_T1_.num_vgpr, 9
	.set _ZN2at6native29vectorized_elementwise_kernelILi2ENS0_11FillFunctorItEESt5arrayIPcLm1EEEEviT0_T1_.num_agpr, 0
	.set _ZN2at6native29vectorized_elementwise_kernelILi2ENS0_11FillFunctorItEESt5arrayIPcLm1EEEEviT0_T1_.numbered_sgpr, 12
	.set _ZN2at6native29vectorized_elementwise_kernelILi2ENS0_11FillFunctorItEESt5arrayIPcLm1EEEEviT0_T1_.num_named_barrier, 0
	.set _ZN2at6native29vectorized_elementwise_kernelILi2ENS0_11FillFunctorItEESt5arrayIPcLm1EEEEviT0_T1_.private_seg_size, 0
	.set _ZN2at6native29vectorized_elementwise_kernelILi2ENS0_11FillFunctorItEESt5arrayIPcLm1EEEEviT0_T1_.uses_vcc, 1
	.set _ZN2at6native29vectorized_elementwise_kernelILi2ENS0_11FillFunctorItEESt5arrayIPcLm1EEEEviT0_T1_.uses_flat_scratch, 0
	.set _ZN2at6native29vectorized_elementwise_kernelILi2ENS0_11FillFunctorItEESt5arrayIPcLm1EEEEviT0_T1_.has_dyn_sized_stack, 0
	.set _ZN2at6native29vectorized_elementwise_kernelILi2ENS0_11FillFunctorItEESt5arrayIPcLm1EEEEviT0_T1_.has_recursion, 0
	.set _ZN2at6native29vectorized_elementwise_kernelILi2ENS0_11FillFunctorItEESt5arrayIPcLm1EEEEviT0_T1_.has_indirect_call, 0
	.section	.AMDGPU.csdata,"",@progbits
; Kernel info:
; codeLenInByte = 912
; TotalNumSgprs: 16
; NumVgprs: 9
; ScratchSize: 0
; MemoryBound: 0
; FloatMode: 240
; IeeeMode: 1
; LDSByteSize: 0 bytes/workgroup (compile time only)
; SGPRBlocks: 1
; VGPRBlocks: 2
; NumSGPRsForWavesPerEU: 16
; NumVGPRsForWavesPerEU: 9
; Occupancy: 10
; WaveLimiterHint : 1
; COMPUTE_PGM_RSRC2:SCRATCH_EN: 0
; COMPUTE_PGM_RSRC2:USER_SGPR: 6
; COMPUTE_PGM_RSRC2:TRAP_HANDLER: 0
; COMPUTE_PGM_RSRC2:TGID_X_EN: 1
; COMPUTE_PGM_RSRC2:TGID_Y_EN: 0
; COMPUTE_PGM_RSRC2:TGID_Z_EN: 0
; COMPUTE_PGM_RSRC2:TIDIG_COMP_CNT: 0
	.section	.text._ZN2at6native27unrolled_elementwise_kernelINS0_11FillFunctorItEESt5arrayIPcLm1EELi4E23TrivialOffsetCalculatorILi0EjES7_ILi1EjENS0_6memory15LoadWithoutCastENSA_16StoreWithoutCastEEEviT_T0_T2_T3_T4_T5_,"axG",@progbits,_ZN2at6native27unrolled_elementwise_kernelINS0_11FillFunctorItEESt5arrayIPcLm1EELi4E23TrivialOffsetCalculatorILi0EjES7_ILi1EjENS0_6memory15LoadWithoutCastENSA_16StoreWithoutCastEEEviT_T0_T2_T3_T4_T5_,comdat
	.protected	_ZN2at6native27unrolled_elementwise_kernelINS0_11FillFunctorItEESt5arrayIPcLm1EELi4E23TrivialOffsetCalculatorILi0EjES7_ILi1EjENS0_6memory15LoadWithoutCastENSA_16StoreWithoutCastEEEviT_T0_T2_T3_T4_T5_ ; -- Begin function _ZN2at6native27unrolled_elementwise_kernelINS0_11FillFunctorItEESt5arrayIPcLm1EELi4E23TrivialOffsetCalculatorILi0EjES7_ILi1EjENS0_6memory15LoadWithoutCastENSA_16StoreWithoutCastEEEviT_T0_T2_T3_T4_T5_
	.globl	_ZN2at6native27unrolled_elementwise_kernelINS0_11FillFunctorItEESt5arrayIPcLm1EELi4E23TrivialOffsetCalculatorILi0EjES7_ILi1EjENS0_6memory15LoadWithoutCastENSA_16StoreWithoutCastEEEviT_T0_T2_T3_T4_T5_
	.p2align	8
	.type	_ZN2at6native27unrolled_elementwise_kernelINS0_11FillFunctorItEESt5arrayIPcLm1EELi4E23TrivialOffsetCalculatorILi0EjES7_ILi1EjENS0_6memory15LoadWithoutCastENSA_16StoreWithoutCastEEEviT_T0_T2_T3_T4_T5_,@function
_ZN2at6native27unrolled_elementwise_kernelINS0_11FillFunctorItEESt5arrayIPcLm1EELi4E23TrivialOffsetCalculatorILi0EjES7_ILi1EjENS0_6memory15LoadWithoutCastENSA_16StoreWithoutCastEEEviT_T0_T2_T3_T4_T5_: ; @_ZN2at6native27unrolled_elementwise_kernelINS0_11FillFunctorItEESt5arrayIPcLm1EELi4E23TrivialOffsetCalculatorILi0EjES7_ILi1EjENS0_6memory15LoadWithoutCastENSA_16StoreWithoutCastEEEviT_T0_T2_T3_T4_T5_
; %bb.0:
	s_load_dwordx4 s[8:11], s[4:5], 0x0
	s_lshl_b32 s2, s6, 10
	v_or_b32_e32 v3, 0x100, v0
	v_mov_b32_e32 v4, 0x5040100
	s_waitcnt lgkmcnt(0)
	s_sub_i32 s3, s8, s2
	s_and_b32 s0, 0xffff, s9
	v_mov_b32_e32 v1, s0
	v_cmp_gt_i32_e32 vcc, s3, v0
	v_cndmask_b32_e32 v2, 0, v1, vcc
	v_perm_b32 v5, s9, v2, v4
	v_cmp_gt_i32_e64 s[0:1], s3, v3
	v_cndmask_b32_e64 v2, v2, v5, s[0:1]
	v_or_b32_e32 v5, 0x200, v0
	v_cmp_gt_i32_e64 s[0:1], s3, v5
	v_cndmask_b32_e64 v1, 0, v1, s[0:1]
	v_or_b32_e32 v5, 0x300, v0
	v_perm_b32 v4, s9, v1, v4
	v_cmp_gt_i32_e64 s[0:1], s3, v5
	v_cndmask_b32_e64 v1, v1, v4, s[0:1]
	s_and_saveexec_b64 s[0:1], vcc
	s_cbranch_execnz .LBB156_5
; %bb.1:
	s_or_b64 exec, exec, s[0:1]
	v_cmp_gt_i32_e32 vcc, s3, v0
	s_and_saveexec_b64 s[0:1], vcc
	s_cbranch_execnz .LBB156_6
.LBB156_2:
	s_or_b64 exec, exec, s[0:1]
	v_cmp_gt_i32_e32 vcc, s3, v0
	s_and_saveexec_b64 s[0:1], vcc
	s_cbranch_execnz .LBB156_7
.LBB156_3:
	s_or_b64 exec, exec, s[0:1]
	v_cmp_gt_i32_e32 vcc, s3, v0
	s_and_saveexec_b64 s[0:1], vcc
	s_cbranch_execnz .LBB156_8
.LBB156_4:
	s_endpgm
.LBB156_5:
	v_or_b32_e32 v4, s2, v0
	v_mov_b32_e32 v5, 0
	v_lshlrev_b64 v[4:5], 1, v[4:5]
	v_mov_b32_e32 v0, s11
	v_add_co_u32_e32 v4, vcc, s10, v4
	v_addc_co_u32_e32 v5, vcc, v0, v5, vcc
	v_mov_b32_e32 v0, v3
	global_store_short v[4:5], v2, off
	s_or_b64 exec, exec, s[0:1]
	v_cmp_gt_i32_e32 vcc, s3, v0
	s_and_saveexec_b64 s[0:1], vcc
	s_cbranch_execz .LBB156_2
.LBB156_6:
	v_add_u32_e32 v3, s2, v0
	v_mov_b32_e32 v4, 0
	v_lshlrev_b64 v[3:4], 1, v[3:4]
	v_add_u32_e32 v5, 0x100, v0
	v_mov_b32_e32 v0, s11
	v_add_co_u32_e32 v3, vcc, s10, v3
	v_addc_co_u32_e32 v4, vcc, v0, v4, vcc
	v_mov_b32_e32 v0, v5
	global_store_short_d16_hi v[3:4], v2, off
	s_or_b64 exec, exec, s[0:1]
	v_cmp_gt_i32_e32 vcc, s3, v0
	s_and_saveexec_b64 s[0:1], vcc
	s_cbranch_execz .LBB156_3
.LBB156_7:
	v_add_u32_e32 v2, s2, v0
	v_mov_b32_e32 v3, 0
	v_lshlrev_b64 v[2:3], 1, v[2:3]
	v_add_u32_e32 v4, 0x100, v0
	v_mov_b32_e32 v0, s11
	v_add_co_u32_e32 v2, vcc, s10, v2
	v_addc_co_u32_e32 v3, vcc, v0, v3, vcc
	v_mov_b32_e32 v0, v4
	global_store_short v[2:3], v1, off
	s_or_b64 exec, exec, s[0:1]
	v_cmp_gt_i32_e32 vcc, s3, v0
	s_and_saveexec_b64 s[0:1], vcc
	s_cbranch_execz .LBB156_4
.LBB156_8:
	v_add_u32_e32 v2, s2, v0
	v_mov_b32_e32 v3, 0
	v_lshlrev_b64 v[2:3], 1, v[2:3]
	v_mov_b32_e32 v0, s11
	v_add_co_u32_e32 v2, vcc, s10, v2
	v_addc_co_u32_e32 v3, vcc, v0, v3, vcc
	global_store_short_d16_hi v[2:3], v1, off
	s_endpgm
	.section	.rodata,"a",@progbits
	.p2align	6, 0x0
	.amdhsa_kernel _ZN2at6native27unrolled_elementwise_kernelINS0_11FillFunctorItEESt5arrayIPcLm1EELi4E23TrivialOffsetCalculatorILi0EjES7_ILi1EjENS0_6memory15LoadWithoutCastENSA_16StoreWithoutCastEEEviT_T0_T2_T3_T4_T5_
		.amdhsa_group_segment_fixed_size 0
		.amdhsa_private_segment_fixed_size 0
		.amdhsa_kernarg_size 20
		.amdhsa_user_sgpr_count 6
		.amdhsa_user_sgpr_private_segment_buffer 1
		.amdhsa_user_sgpr_dispatch_ptr 0
		.amdhsa_user_sgpr_queue_ptr 0
		.amdhsa_user_sgpr_kernarg_segment_ptr 1
		.amdhsa_user_sgpr_dispatch_id 0
		.amdhsa_user_sgpr_flat_scratch_init 0
		.amdhsa_user_sgpr_private_segment_size 0
		.amdhsa_uses_dynamic_stack 0
		.amdhsa_system_sgpr_private_segment_wavefront_offset 0
		.amdhsa_system_sgpr_workgroup_id_x 1
		.amdhsa_system_sgpr_workgroup_id_y 0
		.amdhsa_system_sgpr_workgroup_id_z 0
		.amdhsa_system_sgpr_workgroup_info 0
		.amdhsa_system_vgpr_workitem_id 0
		.amdhsa_next_free_vgpr 6
		.amdhsa_next_free_sgpr 12
		.amdhsa_reserve_vcc 1
		.amdhsa_reserve_flat_scratch 0
		.amdhsa_float_round_mode_32 0
		.amdhsa_float_round_mode_16_64 0
		.amdhsa_float_denorm_mode_32 3
		.amdhsa_float_denorm_mode_16_64 3
		.amdhsa_dx10_clamp 1
		.amdhsa_ieee_mode 1
		.amdhsa_fp16_overflow 0
		.amdhsa_exception_fp_ieee_invalid_op 0
		.amdhsa_exception_fp_denorm_src 0
		.amdhsa_exception_fp_ieee_div_zero 0
		.amdhsa_exception_fp_ieee_overflow 0
		.amdhsa_exception_fp_ieee_underflow 0
		.amdhsa_exception_fp_ieee_inexact 0
		.amdhsa_exception_int_div_zero 0
	.end_amdhsa_kernel
	.section	.text._ZN2at6native27unrolled_elementwise_kernelINS0_11FillFunctorItEESt5arrayIPcLm1EELi4E23TrivialOffsetCalculatorILi0EjES7_ILi1EjENS0_6memory15LoadWithoutCastENSA_16StoreWithoutCastEEEviT_T0_T2_T3_T4_T5_,"axG",@progbits,_ZN2at6native27unrolled_elementwise_kernelINS0_11FillFunctorItEESt5arrayIPcLm1EELi4E23TrivialOffsetCalculatorILi0EjES7_ILi1EjENS0_6memory15LoadWithoutCastENSA_16StoreWithoutCastEEEviT_T0_T2_T3_T4_T5_,comdat
.Lfunc_end156:
	.size	_ZN2at6native27unrolled_elementwise_kernelINS0_11FillFunctorItEESt5arrayIPcLm1EELi4E23TrivialOffsetCalculatorILi0EjES7_ILi1EjENS0_6memory15LoadWithoutCastENSA_16StoreWithoutCastEEEviT_T0_T2_T3_T4_T5_, .Lfunc_end156-_ZN2at6native27unrolled_elementwise_kernelINS0_11FillFunctorItEESt5arrayIPcLm1EELi4E23TrivialOffsetCalculatorILi0EjES7_ILi1EjENS0_6memory15LoadWithoutCastENSA_16StoreWithoutCastEEEviT_T0_T2_T3_T4_T5_
                                        ; -- End function
	.set _ZN2at6native27unrolled_elementwise_kernelINS0_11FillFunctorItEESt5arrayIPcLm1EELi4E23TrivialOffsetCalculatorILi0EjES7_ILi1EjENS0_6memory15LoadWithoutCastENSA_16StoreWithoutCastEEEviT_T0_T2_T3_T4_T5_.num_vgpr, 6
	.set _ZN2at6native27unrolled_elementwise_kernelINS0_11FillFunctorItEESt5arrayIPcLm1EELi4E23TrivialOffsetCalculatorILi0EjES7_ILi1EjENS0_6memory15LoadWithoutCastENSA_16StoreWithoutCastEEEviT_T0_T2_T3_T4_T5_.num_agpr, 0
	.set _ZN2at6native27unrolled_elementwise_kernelINS0_11FillFunctorItEESt5arrayIPcLm1EELi4E23TrivialOffsetCalculatorILi0EjES7_ILi1EjENS0_6memory15LoadWithoutCastENSA_16StoreWithoutCastEEEviT_T0_T2_T3_T4_T5_.numbered_sgpr, 12
	.set _ZN2at6native27unrolled_elementwise_kernelINS0_11FillFunctorItEESt5arrayIPcLm1EELi4E23TrivialOffsetCalculatorILi0EjES7_ILi1EjENS0_6memory15LoadWithoutCastENSA_16StoreWithoutCastEEEviT_T0_T2_T3_T4_T5_.num_named_barrier, 0
	.set _ZN2at6native27unrolled_elementwise_kernelINS0_11FillFunctorItEESt5arrayIPcLm1EELi4E23TrivialOffsetCalculatorILi0EjES7_ILi1EjENS0_6memory15LoadWithoutCastENSA_16StoreWithoutCastEEEviT_T0_T2_T3_T4_T5_.private_seg_size, 0
	.set _ZN2at6native27unrolled_elementwise_kernelINS0_11FillFunctorItEESt5arrayIPcLm1EELi4E23TrivialOffsetCalculatorILi0EjES7_ILi1EjENS0_6memory15LoadWithoutCastENSA_16StoreWithoutCastEEEviT_T0_T2_T3_T4_T5_.uses_vcc, 1
	.set _ZN2at6native27unrolled_elementwise_kernelINS0_11FillFunctorItEESt5arrayIPcLm1EELi4E23TrivialOffsetCalculatorILi0EjES7_ILi1EjENS0_6memory15LoadWithoutCastENSA_16StoreWithoutCastEEEviT_T0_T2_T3_T4_T5_.uses_flat_scratch, 0
	.set _ZN2at6native27unrolled_elementwise_kernelINS0_11FillFunctorItEESt5arrayIPcLm1EELi4E23TrivialOffsetCalculatorILi0EjES7_ILi1EjENS0_6memory15LoadWithoutCastENSA_16StoreWithoutCastEEEviT_T0_T2_T3_T4_T5_.has_dyn_sized_stack, 0
	.set _ZN2at6native27unrolled_elementwise_kernelINS0_11FillFunctorItEESt5arrayIPcLm1EELi4E23TrivialOffsetCalculatorILi0EjES7_ILi1EjENS0_6memory15LoadWithoutCastENSA_16StoreWithoutCastEEEviT_T0_T2_T3_T4_T5_.has_recursion, 0
	.set _ZN2at6native27unrolled_elementwise_kernelINS0_11FillFunctorItEESt5arrayIPcLm1EELi4E23TrivialOffsetCalculatorILi0EjES7_ILi1EjENS0_6memory15LoadWithoutCastENSA_16StoreWithoutCastEEEviT_T0_T2_T3_T4_T5_.has_indirect_call, 0
	.section	.AMDGPU.csdata,"",@progbits
; Kernel info:
; codeLenInByte = 420
; TotalNumSgprs: 16
; NumVgprs: 6
; ScratchSize: 0
; MemoryBound: 0
; FloatMode: 240
; IeeeMode: 1
; LDSByteSize: 0 bytes/workgroup (compile time only)
; SGPRBlocks: 1
; VGPRBlocks: 1
; NumSGPRsForWavesPerEU: 16
; NumVGPRsForWavesPerEU: 6
; Occupancy: 10
; WaveLimiterHint : 0
; COMPUTE_PGM_RSRC2:SCRATCH_EN: 0
; COMPUTE_PGM_RSRC2:USER_SGPR: 6
; COMPUTE_PGM_RSRC2:TRAP_HANDLER: 0
; COMPUTE_PGM_RSRC2:TGID_X_EN: 1
; COMPUTE_PGM_RSRC2:TGID_Y_EN: 0
; COMPUTE_PGM_RSRC2:TGID_Z_EN: 0
; COMPUTE_PGM_RSRC2:TIDIG_COMP_CNT: 0
	.section	.text._ZN2at6native32elementwise_kernel_manual_unrollILi128ELi8EZNS0_22gpu_kernel_impl_nocastINS0_11FillFunctorItEEEEvRNS_18TensorIteratorBaseERKT_EUlibE_EEviT1_,"axG",@progbits,_ZN2at6native32elementwise_kernel_manual_unrollILi128ELi8EZNS0_22gpu_kernel_impl_nocastINS0_11FillFunctorItEEEEvRNS_18TensorIteratorBaseERKT_EUlibE_EEviT1_,comdat
	.protected	_ZN2at6native32elementwise_kernel_manual_unrollILi128ELi8EZNS0_22gpu_kernel_impl_nocastINS0_11FillFunctorItEEEEvRNS_18TensorIteratorBaseERKT_EUlibE_EEviT1_ ; -- Begin function _ZN2at6native32elementwise_kernel_manual_unrollILi128ELi8EZNS0_22gpu_kernel_impl_nocastINS0_11FillFunctorItEEEEvRNS_18TensorIteratorBaseERKT_EUlibE_EEviT1_
	.globl	_ZN2at6native32elementwise_kernel_manual_unrollILi128ELi8EZNS0_22gpu_kernel_impl_nocastINS0_11FillFunctorItEEEEvRNS_18TensorIteratorBaseERKT_EUlibE_EEviT1_
	.p2align	8
	.type	_ZN2at6native32elementwise_kernel_manual_unrollILi128ELi8EZNS0_22gpu_kernel_impl_nocastINS0_11FillFunctorItEEEEvRNS_18TensorIteratorBaseERKT_EUlibE_EEviT1_,@function
_ZN2at6native32elementwise_kernel_manual_unrollILi128ELi8EZNS0_22gpu_kernel_impl_nocastINS0_11FillFunctorItEEEEvRNS_18TensorIteratorBaseERKT_EUlibE_EEviT1_: ; @_ZN2at6native32elementwise_kernel_manual_unrollILi128ELi8EZNS0_22gpu_kernel_impl_nocastINS0_11FillFunctorItEEEEvRNS_18TensorIteratorBaseERKT_EUlibE_EEviT1_
; %bb.0:
	s_load_dword s48, s[4:5], 0x0
	s_load_dword s33, s[4:5], 0x8
	s_add_u32 s20, s4, 8
	s_addc_u32 s21, s5, 0
	v_lshl_or_b32 v7, s6, 10, v0
	v_or_b32_e32 v9, 0x380, v7
	s_waitcnt lgkmcnt(0)
	s_add_i32 s46, s33, -1
	s_cmp_gt_u32 s46, 1
	v_cmp_le_i32_e32 vcc, s48, v9
	s_cselect_b64 s[22:23], -1, 0
	s_and_saveexec_b64 s[0:1], vcc
	s_xor_b64 s[24:25], exec, s[0:1]
	s_cbranch_execz .LBB157_7
; %bb.1:
	s_load_dwordx4 s[8:11], s[20:21], 0x4
	s_load_dwordx2 s[30:31], s[20:21], 0x14
	s_load_dwordx2 s[28:29], s[20:21], 0xc4
	;; [unrolled: 1-line block ×3, first 2 shown]
	s_load_dword s47, s[20:21], 0x110
	s_cmp_lg_u32 s33, 0
	s_cselect_b64 s[38:39], -1, 0
	s_add_u32 s36, s20, 0xc4
	s_addc_u32 s37, s21, 0
	s_min_u32 s49, s46, 15
	s_cmp_gt_u32 s33, 1
	s_cselect_b64 s[34:35], -1, 0
	v_cmp_gt_i32_e32 vcc, s48, v7
	s_and_saveexec_b64 s[40:41], vcc
	s_cbranch_execz .LBB157_14
; %bb.2:
	s_andn2_b64 vcc, exec, s[22:23]
	s_cbranch_vccnz .LBB157_21
; %bb.3:
	s_andn2_b64 vcc, exec, s[38:39]
	s_cbranch_vccnz .LBB157_129
; %bb.4:
	s_add_i32 s51, s49, 1
	s_cmp_eq_u32 s46, 2
	s_cbranch_scc1 .LBB157_131
; %bb.5:
	s_and_b32 s50, s51, 28
	s_mov_b32 s52, 0
	v_mov_b32_e32 v0, 0
	s_mov_b64 s[42:43], s[20:21]
	s_mov_b64 s[44:45], s[36:37]
	v_mov_b32_e32 v1, v7
.LBB157_6:                              ; =>This Inner Loop Header: Depth=1
	s_load_dwordx8 s[0:7], s[42:43], 0x4
	s_load_dwordx4 s[12:15], s[42:43], 0x24
	s_load_dwordx4 s[16:19], s[44:45], 0x0
	s_add_u32 s42, s42, 48
	s_addc_u32 s43, s43, 0
	s_waitcnt lgkmcnt(0)
	v_mul_hi_u32 v2, s1, v1
	s_add_i32 s52, s52, 4
	s_add_u32 s44, s44, 16
	s_addc_u32 s45, s45, 0
	v_add_u32_e32 v2, v1, v2
	v_lshrrev_b32_e32 v2, s2, v2
	v_mul_lo_u32 v3, v2, s0
	v_mul_hi_u32 v4, s4, v2
	s_cmp_lg_u32 s50, s52
	v_sub_u32_e32 v1, v1, v3
	v_add_u32_e32 v3, v2, v4
	v_lshrrev_b32_e32 v3, s5, v3
	v_mul_lo_u32 v4, v1, s16
	v_mul_hi_u32 v1, s7, v3
	v_mul_lo_u32 v6, v3, s3
	v_add_u32_e32 v1, v3, v1
	v_lshrrev_b32_e32 v5, s12, v1
	v_mul_hi_u32 v1, s14, v5
	v_sub_u32_e32 v2, v2, v6
	v_mul_lo_u32 v6, v5, s6
	v_mul_lo_u32 v2, v2, s17
	v_add_u32_e32 v1, v5, v1
	v_lshrrev_b32_e32 v1, s15, v1
	v_mul_lo_u32 v8, v1, s13
	v_sub_u32_e32 v3, v3, v6
	v_mul_lo_u32 v3, v3, s18
	v_add3_u32 v0, v4, v0, v2
	v_sub_u32_e32 v5, v5, v8
	v_mul_lo_u32 v5, v5, s19
	v_add3_u32 v0, v3, v0, v5
	s_cbranch_scc1 .LBB157_6
	s_branch .LBB157_132
.LBB157_7:
	s_andn2_saveexec_b64 s[0:1], s[24:25]
	s_cbranch_execz .LBB157_221
.LBB157_8:
	v_cndmask_b32_e64 v0, 0, 1, s[22:23]
	v_cmp_ne_u32_e64 s[0:1], 1, v0
	s_andn2_b64 vcc, exec, s[22:23]
	s_cbranch_vccnz .LBB157_20
; %bb.9:
	s_cmp_lg_u32 s33, 0
	s_mov_b32 s24, 0
	s_cbranch_scc0 .LBB157_23
; %bb.10:
	s_min_u32 s25, s46, 15
	s_add_i32 s25, s25, 1
	s_cmp_eq_u32 s46, 2
	s_cbranch_scc1 .LBB157_24
; %bb.11:
	s_and_b32 s24, s25, 28
	s_add_u32 s2, s20, 0xc4
	s_addc_u32 s3, s21, 0
	s_waitcnt lgkmcnt(0)
	s_mov_b32 s26, 0
	v_mov_b32_e32 v0, 0
	s_mov_b64 s[22:23], s[20:21]
	v_mov_b32_e32 v1, v7
.LBB157_12:                             ; =>This Inner Loop Header: Depth=1
	s_load_dwordx8 s[4:11], s[22:23], 0x4
	s_load_dwordx4 s[12:15], s[22:23], 0x24
	s_load_dwordx4 s[16:19], s[2:3], 0x0
	s_add_u32 s22, s22, 48
	s_addc_u32 s23, s23, 0
	s_waitcnt lgkmcnt(0)
	v_mul_hi_u32 v2, s5, v1
	s_add_i32 s26, s26, 4
	s_add_u32 s2, s2, 16
	s_addc_u32 s3, s3, 0
	v_add_u32_e32 v2, v1, v2
	v_lshrrev_b32_e32 v2, s6, v2
	v_mul_lo_u32 v3, v2, s4
	v_mul_hi_u32 v4, s8, v2
	s_cmp_lg_u32 s24, s26
	v_sub_u32_e32 v1, v1, v3
	v_add_u32_e32 v3, v2, v4
	v_lshrrev_b32_e32 v3, s9, v3
	v_mul_lo_u32 v4, v1, s16
	v_mul_hi_u32 v1, s11, v3
	v_mul_lo_u32 v6, v3, s7
	v_add_u32_e32 v1, v3, v1
	v_lshrrev_b32_e32 v5, s12, v1
	v_mul_hi_u32 v1, s14, v5
	v_sub_u32_e32 v2, v2, v6
	v_mul_lo_u32 v6, v5, s10
	v_mul_lo_u32 v2, v2, s17
	v_add_u32_e32 v1, v5, v1
	v_lshrrev_b32_e32 v1, s15, v1
	v_mul_lo_u32 v8, v1, s13
	v_sub_u32_e32 v3, v3, v6
	v_mul_lo_u32 v3, v3, s18
	v_add3_u32 v0, v4, v0, v2
	v_sub_u32_e32 v5, v5, v8
	v_mul_lo_u32 v5, v5, s19
	v_add3_u32 v0, v3, v0, v5
	s_cbranch_scc1 .LBB157_12
; %bb.13:
	s_and_b32 s6, s25, 3
	s_cmp_eq_u32 s6, 0
	s_cbranch_scc0 .LBB157_25
	s_branch .LBB157_27
.LBB157_14:
	s_or_b64 exec, exec, s[40:41]
	v_cmp_gt_i32_e32 vcc, s48, v7
	s_and_saveexec_b64 s[40:41], vcc
	s_cbranch_execz .LBB157_139
.LBB157_15:
	s_andn2_b64 vcc, exec, s[22:23]
	s_cbranch_vccnz .LBB157_22
; %bb.16:
	s_andn2_b64 vcc, exec, s[38:39]
	s_cbranch_vccnz .LBB157_130
; %bb.17:
	s_add_i32 s51, s49, 1
	s_cmp_eq_u32 s46, 2
	s_cbranch_scc1 .LBB157_147
; %bb.18:
	s_and_b32 s50, s51, 28
	s_mov_b32 s52, 0
	v_mov_b32_e32 v0, 0
	s_mov_b64 s[42:43], s[20:21]
	s_mov_b64 s[44:45], s[36:37]
	v_mov_b32_e32 v1, v7
.LBB157_19:                             ; =>This Inner Loop Header: Depth=1
	s_load_dwordx8 s[0:7], s[42:43], 0x4
	s_load_dwordx4 s[12:15], s[42:43], 0x24
	s_load_dwordx4 s[16:19], s[44:45], 0x0
	s_add_u32 s42, s42, 48
	s_addc_u32 s43, s43, 0
	s_waitcnt lgkmcnt(0)
	v_mul_hi_u32 v2, s1, v1
	s_add_i32 s52, s52, 4
	s_add_u32 s44, s44, 16
	s_addc_u32 s45, s45, 0
	v_add_u32_e32 v2, v1, v2
	v_lshrrev_b32_e32 v2, s2, v2
	v_mul_lo_u32 v3, v2, s0
	v_mul_hi_u32 v4, s4, v2
	s_cmp_eq_u32 s50, s52
	v_sub_u32_e32 v1, v1, v3
	v_add_u32_e32 v3, v2, v4
	v_lshrrev_b32_e32 v3, s5, v3
	v_mul_lo_u32 v4, v1, s16
	v_mul_hi_u32 v1, s7, v3
	v_mul_lo_u32 v6, v3, s3
	v_add_u32_e32 v1, v3, v1
	v_lshrrev_b32_e32 v5, s12, v1
	v_mul_hi_u32 v1, s14, v5
	v_sub_u32_e32 v2, v2, v6
	v_mul_lo_u32 v6, v5, s6
	v_mul_lo_u32 v2, v2, s17
	v_add_u32_e32 v1, v5, v1
	v_lshrrev_b32_e32 v1, s15, v1
	v_mul_lo_u32 v8, v1, s13
	v_sub_u32_e32 v3, v3, v6
	v_mul_lo_u32 v3, v3, s18
	v_add3_u32 v0, v4, v0, v2
	v_sub_u32_e32 v5, v5, v8
	v_mul_lo_u32 v5, v5, s19
	v_add3_u32 v0, v3, v0, v5
	s_cbranch_scc0 .LBB157_19
	s_branch .LBB157_148
.LBB157_20:
                                        ; implicit-def: $vgpr0
	s_branch .LBB157_28
.LBB157_21:
                                        ; implicit-def: $vgpr0
	s_branch .LBB157_136
.LBB157_22:
                                        ; implicit-def: $vgpr0
	s_branch .LBB157_152
.LBB157_23:
	v_mov_b32_e32 v0, 0
	s_branch .LBB157_27
.LBB157_24:
	v_mov_b32_e32 v0, 0
	v_mov_b32_e32 v1, v7
	s_and_b32 s6, s25, 3
	s_cmp_eq_u32 s6, 0
	s_cbranch_scc1 .LBB157_27
.LBB157_25:
	s_lshl_b32 s2, s24, 2
	s_add_u32 s2, s20, s2
	s_addc_u32 s3, s21, 0
	s_add_u32 s2, s2, 0xc4
	s_addc_u32 s3, s3, 0
	s_mul_i32 s4, s24, 12
	s_add_u32 s4, s20, s4
	s_addc_u32 s5, s21, 0
.LBB157_26:                             ; =>This Inner Loop Header: Depth=1
	s_waitcnt lgkmcnt(0)
	s_load_dwordx2 s[8:9], s[4:5], 0x4
	s_load_dword s7, s[4:5], 0xc
	s_add_u32 s4, s4, 12
	s_addc_u32 s5, s5, 0
	s_waitcnt lgkmcnt(0)
	v_mul_hi_u32 v2, s9, v1
	s_load_dword s9, s[2:3], 0x0
	s_add_u32 s2, s2, 4
	s_addc_u32 s3, s3, 0
	v_add_u32_e32 v2, v1, v2
	v_lshrrev_b32_e32 v2, s7, v2
	v_mul_lo_u32 v3, v2, s8
	s_add_i32 s6, s6, -1
	s_cmp_lg_u32 s6, 0
	v_sub_u32_e32 v1, v1, v3
	s_waitcnt lgkmcnt(0)
	v_mad_u64_u32 v[0:1], s[8:9], v1, s9, v[0:1]
	v_mov_b32_e32 v1, v2
	s_cbranch_scc1 .LBB157_26
.LBB157_27:
	s_cbranch_execnz .LBB157_30
.LBB157_28:
	s_load_dwordx4 s[4:7], s[20:21], 0x4
	s_load_dword s2, s[20:21], 0xc4
	s_cmp_lt_u32 s33, 2
	s_waitcnt lgkmcnt(0)
	v_mul_hi_u32 v0, s5, v7
	v_add_u32_e32 v0, v7, v0
	v_lshrrev_b32_e32 v1, s6, v0
	v_mul_lo_u32 v0, v1, s4
	v_sub_u32_e32 v0, v7, v0
	v_mul_lo_u32 v0, v0, s2
	s_cbranch_scc1 .LBB157_30
; %bb.29:
	s_load_dwordx4 s[4:7], s[20:21], 0x10
	s_load_dword s2, s[20:21], 0xc8
	s_waitcnt lgkmcnt(0)
	v_mul_hi_u32 v2, s5, v1
	v_add_u32_e32 v2, v1, v2
	v_lshrrev_b32_e32 v2, s6, v2
	v_mul_lo_u32 v2, v2, s4
	v_sub_u32_e32 v1, v1, v2
	v_mad_u64_u32 v[0:1], s[2:3], v1, s2, v[0:1]
.LBB157_30:
	s_and_b64 vcc, exec, s[0:1]
	v_add_u32_e32 v3, 0x80, v7
	s_cbranch_vccnz .LBB157_36
; %bb.31:
	s_cmp_lg_u32 s33, 0
	s_mov_b32 s24, 0
	s_cbranch_scc0 .LBB157_37
; %bb.32:
	s_min_u32 s25, s46, 15
	s_add_i32 s25, s25, 1
	s_cmp_eq_u32 s46, 2
	s_cbranch_scc1 .LBB157_38
; %bb.33:
	s_and_b32 s24, s25, 28
	s_add_u32 s2, s20, 0xc4
	s_addc_u32 s3, s21, 0
	s_waitcnt lgkmcnt(0)
	s_mov_b32 s26, 0
	v_mov_b32_e32 v1, 0
	s_mov_b64 s[22:23], s[20:21]
	v_mov_b32_e32 v2, v3
.LBB157_34:                             ; =>This Inner Loop Header: Depth=1
	s_load_dwordx8 s[4:11], s[22:23], 0x4
	s_load_dwordx4 s[12:15], s[22:23], 0x24
	s_load_dwordx4 s[16:19], s[2:3], 0x0
	s_add_u32 s22, s22, 48
	s_addc_u32 s23, s23, 0
	s_waitcnt lgkmcnt(0)
	v_mul_hi_u32 v4, s5, v2
	s_add_i32 s26, s26, 4
	s_add_u32 s2, s2, 16
	s_addc_u32 s3, s3, 0
	v_add_u32_e32 v4, v2, v4
	v_lshrrev_b32_e32 v4, s6, v4
	v_mul_lo_u32 v5, v4, s4
	v_mul_hi_u32 v6, s8, v4
	s_cmp_lg_u32 s24, s26
	v_sub_u32_e32 v2, v2, v5
	v_add_u32_e32 v5, v4, v6
	v_lshrrev_b32_e32 v5, s9, v5
	v_mul_lo_u32 v6, v2, s16
	v_mul_hi_u32 v2, s11, v5
	v_mul_lo_u32 v10, v5, s7
	v_add_u32_e32 v2, v5, v2
	v_lshrrev_b32_e32 v8, s12, v2
	v_mul_hi_u32 v2, s14, v8
	v_sub_u32_e32 v4, v4, v10
	v_mul_lo_u32 v10, v8, s10
	v_mul_lo_u32 v4, v4, s17
	v_add_u32_e32 v2, v8, v2
	v_lshrrev_b32_e32 v2, s15, v2
	v_mul_lo_u32 v11, v2, s13
	v_sub_u32_e32 v5, v5, v10
	v_mul_lo_u32 v5, v5, s18
	v_add3_u32 v1, v6, v1, v4
	v_sub_u32_e32 v8, v8, v11
	v_mul_lo_u32 v8, v8, s19
	v_add3_u32 v1, v5, v1, v8
	s_cbranch_scc1 .LBB157_34
; %bb.35:
	s_and_b32 s6, s25, 3
	s_cmp_eq_u32 s6, 0
	s_cbranch_scc0 .LBB157_39
	s_branch .LBB157_41
.LBB157_36:
                                        ; implicit-def: $vgpr1
	s_branch .LBB157_42
.LBB157_37:
	v_mov_b32_e32 v1, 0
	s_branch .LBB157_41
.LBB157_38:
	v_mov_b32_e32 v1, 0
	v_mov_b32_e32 v2, v3
	s_and_b32 s6, s25, 3
	s_cmp_eq_u32 s6, 0
	s_cbranch_scc1 .LBB157_41
.LBB157_39:
	s_lshl_b32 s2, s24, 2
	s_add_u32 s2, s20, s2
	s_addc_u32 s3, s21, 0
	s_add_u32 s2, s2, 0xc4
	s_addc_u32 s3, s3, 0
	s_mul_i32 s4, s24, 12
	s_add_u32 s4, s20, s4
	s_addc_u32 s5, s21, 0
.LBB157_40:                             ; =>This Inner Loop Header: Depth=1
	s_waitcnt lgkmcnt(0)
	s_load_dwordx2 s[8:9], s[4:5], 0x4
	s_load_dword s7, s[4:5], 0xc
	s_add_u32 s4, s4, 12
	s_addc_u32 s5, s5, 0
	s_waitcnt lgkmcnt(0)
	v_mul_hi_u32 v4, s9, v2
	s_load_dword s9, s[2:3], 0x0
	s_add_u32 s2, s2, 4
	s_addc_u32 s3, s3, 0
	v_add_u32_e32 v4, v2, v4
	v_lshrrev_b32_e32 v4, s7, v4
	v_mul_lo_u32 v5, v4, s8
	s_add_i32 s6, s6, -1
	s_cmp_lg_u32 s6, 0
	v_sub_u32_e32 v2, v2, v5
	s_waitcnt lgkmcnt(0)
	v_mad_u64_u32 v[1:2], s[8:9], v2, s9, v[1:2]
	v_mov_b32_e32 v2, v4
	s_cbranch_scc1 .LBB157_40
.LBB157_41:
	s_cbranch_execnz .LBB157_44
.LBB157_42:
	s_load_dwordx4 s[4:7], s[20:21], 0x4
	s_load_dword s2, s[20:21], 0xc4
	s_cmp_lt_u32 s33, 2
	s_waitcnt lgkmcnt(0)
	v_mul_hi_u32 v1, s5, v3
	v_add_u32_e32 v1, v3, v1
	v_lshrrev_b32_e32 v2, s6, v1
	v_mul_lo_u32 v1, v2, s4
	v_sub_u32_e32 v1, v3, v1
	v_mul_lo_u32 v1, v1, s2
	s_cbranch_scc1 .LBB157_44
; %bb.43:
	s_load_dwordx4 s[4:7], s[20:21], 0x10
	s_load_dword s2, s[20:21], 0xc8
	s_waitcnt lgkmcnt(0)
	v_mul_hi_u32 v3, s5, v2
	v_add_u32_e32 v3, v2, v3
	v_lshrrev_b32_e32 v3, s6, v3
	v_mul_lo_u32 v3, v3, s4
	v_sub_u32_e32 v2, v2, v3
	v_mad_u64_u32 v[1:2], s[2:3], v2, s2, v[1:2]
.LBB157_44:
	s_and_b64 vcc, exec, s[0:1]
	v_add_u32_e32 v4, 0x100, v7
	s_cbranch_vccnz .LBB157_50
; %bb.45:
	s_cmp_lg_u32 s33, 0
	s_mov_b32 s24, 0
	s_cbranch_scc0 .LBB157_51
; %bb.46:
	s_min_u32 s25, s46, 15
	s_add_i32 s25, s25, 1
	s_cmp_eq_u32 s46, 2
	s_cbranch_scc1 .LBB157_52
; %bb.47:
	s_and_b32 s24, s25, 28
	s_add_u32 s2, s20, 0xc4
	s_addc_u32 s3, s21, 0
	s_waitcnt lgkmcnt(0)
	s_mov_b32 s26, 0
	v_mov_b32_e32 v2, 0
	s_mov_b64 s[22:23], s[20:21]
	v_mov_b32_e32 v3, v4
.LBB157_48:                             ; =>This Inner Loop Header: Depth=1
	s_load_dwordx8 s[4:11], s[22:23], 0x4
	s_load_dwordx4 s[12:15], s[22:23], 0x24
	s_load_dwordx4 s[16:19], s[2:3], 0x0
	s_add_u32 s22, s22, 48
	s_addc_u32 s23, s23, 0
	s_waitcnt lgkmcnt(0)
	v_mul_hi_u32 v5, s5, v3
	s_add_i32 s26, s26, 4
	s_add_u32 s2, s2, 16
	s_addc_u32 s3, s3, 0
	v_add_u32_e32 v5, v3, v5
	v_lshrrev_b32_e32 v5, s6, v5
	v_mul_lo_u32 v6, v5, s4
	v_mul_hi_u32 v8, s8, v5
	s_cmp_lg_u32 s24, s26
	v_sub_u32_e32 v3, v3, v6
	v_add_u32_e32 v6, v5, v8
	v_lshrrev_b32_e32 v6, s9, v6
	v_mul_lo_u32 v8, v3, s16
	v_mul_hi_u32 v3, s11, v6
	v_mul_lo_u32 v11, v6, s7
	v_add_u32_e32 v3, v6, v3
	v_lshrrev_b32_e32 v10, s12, v3
	v_mul_hi_u32 v3, s14, v10
	v_sub_u32_e32 v5, v5, v11
	v_mul_lo_u32 v11, v10, s10
	v_mul_lo_u32 v5, v5, s17
	v_add_u32_e32 v3, v10, v3
	v_lshrrev_b32_e32 v3, s15, v3
	v_mul_lo_u32 v12, v3, s13
	v_sub_u32_e32 v6, v6, v11
	v_mul_lo_u32 v6, v6, s18
	v_add3_u32 v2, v8, v2, v5
	v_sub_u32_e32 v10, v10, v12
	v_mul_lo_u32 v10, v10, s19
	v_add3_u32 v2, v6, v2, v10
	s_cbranch_scc1 .LBB157_48
; %bb.49:
	s_and_b32 s6, s25, 3
	s_cmp_eq_u32 s6, 0
	s_cbranch_scc0 .LBB157_53
	s_branch .LBB157_55
.LBB157_50:
                                        ; implicit-def: $vgpr2
	s_branch .LBB157_56
.LBB157_51:
	v_mov_b32_e32 v2, 0
	s_branch .LBB157_55
.LBB157_52:
	v_mov_b32_e32 v2, 0
	v_mov_b32_e32 v3, v4
	s_and_b32 s6, s25, 3
	s_cmp_eq_u32 s6, 0
	s_cbranch_scc1 .LBB157_55
.LBB157_53:
	s_lshl_b32 s2, s24, 2
	s_add_u32 s2, s20, s2
	s_addc_u32 s3, s21, 0
	s_add_u32 s2, s2, 0xc4
	s_addc_u32 s3, s3, 0
	s_mul_i32 s4, s24, 12
	s_add_u32 s4, s20, s4
	s_addc_u32 s5, s21, 0
.LBB157_54:                             ; =>This Inner Loop Header: Depth=1
	s_waitcnt lgkmcnt(0)
	s_load_dwordx2 s[8:9], s[4:5], 0x4
	s_load_dword s7, s[4:5], 0xc
	s_add_u32 s4, s4, 12
	s_addc_u32 s5, s5, 0
	s_waitcnt lgkmcnt(0)
	v_mul_hi_u32 v5, s9, v3
	s_load_dword s9, s[2:3], 0x0
	s_add_u32 s2, s2, 4
	s_addc_u32 s3, s3, 0
	v_add_u32_e32 v5, v3, v5
	v_lshrrev_b32_e32 v5, s7, v5
	v_mul_lo_u32 v6, v5, s8
	s_add_i32 s6, s6, -1
	s_cmp_lg_u32 s6, 0
	v_sub_u32_e32 v3, v3, v6
	s_waitcnt lgkmcnt(0)
	v_mad_u64_u32 v[2:3], s[8:9], v3, s9, v[2:3]
	v_mov_b32_e32 v3, v5
	s_cbranch_scc1 .LBB157_54
.LBB157_55:
	s_cbranch_execnz .LBB157_58
.LBB157_56:
	s_load_dwordx4 s[4:7], s[20:21], 0x4
	s_load_dword s2, s[20:21], 0xc4
	s_cmp_lt_u32 s33, 2
	s_waitcnt lgkmcnt(0)
	v_mul_hi_u32 v2, s5, v4
	v_add_u32_e32 v2, v4, v2
	v_lshrrev_b32_e32 v3, s6, v2
	v_mul_lo_u32 v2, v3, s4
	v_sub_u32_e32 v2, v4, v2
	v_mul_lo_u32 v2, v2, s2
	s_cbranch_scc1 .LBB157_58
; %bb.57:
	s_load_dwordx4 s[4:7], s[20:21], 0x10
	s_load_dword s2, s[20:21], 0xc8
	s_waitcnt lgkmcnt(0)
	v_mul_hi_u32 v4, s5, v3
	v_add_u32_e32 v4, v3, v4
	v_lshrrev_b32_e32 v4, s6, v4
	v_mul_lo_u32 v4, v4, s4
	v_sub_u32_e32 v3, v3, v4
	v_mad_u64_u32 v[2:3], s[2:3], v3, s2, v[2:3]
.LBB157_58:
	s_and_b64 vcc, exec, s[0:1]
	v_add_u32_e32 v5, 0x180, v7
	s_cbranch_vccnz .LBB157_64
; %bb.59:
	s_cmp_lg_u32 s33, 0
	s_mov_b32 s24, 0
	s_cbranch_scc0 .LBB157_65
; %bb.60:
	s_min_u32 s25, s46, 15
	s_add_i32 s25, s25, 1
	s_cmp_eq_u32 s46, 2
	s_cbranch_scc1 .LBB157_66
; %bb.61:
	s_and_b32 s24, s25, 28
	s_add_u32 s2, s20, 0xc4
	s_addc_u32 s3, s21, 0
	s_waitcnt lgkmcnt(0)
	s_mov_b32 s26, 0
	v_mov_b32_e32 v3, 0
	s_mov_b64 s[22:23], s[20:21]
	v_mov_b32_e32 v4, v5
.LBB157_62:                             ; =>This Inner Loop Header: Depth=1
	s_load_dwordx8 s[4:11], s[22:23], 0x4
	s_load_dwordx4 s[12:15], s[22:23], 0x24
	s_load_dwordx4 s[16:19], s[2:3], 0x0
	s_add_u32 s22, s22, 48
	s_addc_u32 s23, s23, 0
	s_waitcnt lgkmcnt(0)
	v_mul_hi_u32 v6, s5, v4
	s_add_i32 s26, s26, 4
	s_add_u32 s2, s2, 16
	s_addc_u32 s3, s3, 0
	v_add_u32_e32 v6, v4, v6
	v_lshrrev_b32_e32 v6, s6, v6
	v_mul_lo_u32 v8, v6, s4
	v_mul_hi_u32 v10, s8, v6
	s_cmp_lg_u32 s24, s26
	v_sub_u32_e32 v4, v4, v8
	v_add_u32_e32 v8, v6, v10
	v_lshrrev_b32_e32 v8, s9, v8
	v_mul_lo_u32 v10, v4, s16
	v_mul_hi_u32 v4, s11, v8
	v_mul_lo_u32 v12, v8, s7
	v_add_u32_e32 v4, v8, v4
	v_lshrrev_b32_e32 v11, s12, v4
	v_mul_hi_u32 v4, s14, v11
	v_sub_u32_e32 v6, v6, v12
	v_mul_lo_u32 v12, v11, s10
	v_mul_lo_u32 v6, v6, s17
	v_add_u32_e32 v4, v11, v4
	v_lshrrev_b32_e32 v4, s15, v4
	v_mul_lo_u32 v13, v4, s13
	v_sub_u32_e32 v8, v8, v12
	v_mul_lo_u32 v8, v8, s18
	v_add3_u32 v3, v10, v3, v6
	v_sub_u32_e32 v11, v11, v13
	v_mul_lo_u32 v11, v11, s19
	v_add3_u32 v3, v8, v3, v11
	s_cbranch_scc1 .LBB157_62
; %bb.63:
	s_and_b32 s6, s25, 3
	s_cmp_eq_u32 s6, 0
	s_cbranch_scc0 .LBB157_67
	s_branch .LBB157_69
.LBB157_64:
                                        ; implicit-def: $vgpr3
	s_branch .LBB157_70
.LBB157_65:
	v_mov_b32_e32 v3, 0
	s_branch .LBB157_69
.LBB157_66:
	v_mov_b32_e32 v3, 0
	v_mov_b32_e32 v4, v5
	s_and_b32 s6, s25, 3
	s_cmp_eq_u32 s6, 0
	s_cbranch_scc1 .LBB157_69
.LBB157_67:
	s_lshl_b32 s2, s24, 2
	s_add_u32 s2, s20, s2
	s_addc_u32 s3, s21, 0
	s_add_u32 s2, s2, 0xc4
	s_addc_u32 s3, s3, 0
	s_mul_i32 s4, s24, 12
	s_add_u32 s4, s20, s4
	s_addc_u32 s5, s21, 0
.LBB157_68:                             ; =>This Inner Loop Header: Depth=1
	s_waitcnt lgkmcnt(0)
	s_load_dwordx2 s[8:9], s[4:5], 0x4
	s_load_dword s7, s[4:5], 0xc
	s_add_u32 s4, s4, 12
	s_addc_u32 s5, s5, 0
	s_waitcnt lgkmcnt(0)
	v_mul_hi_u32 v6, s9, v4
	s_load_dword s9, s[2:3], 0x0
	s_add_u32 s2, s2, 4
	s_addc_u32 s3, s3, 0
	v_add_u32_e32 v6, v4, v6
	v_lshrrev_b32_e32 v6, s7, v6
	v_mul_lo_u32 v8, v6, s8
	s_add_i32 s6, s6, -1
	s_cmp_lg_u32 s6, 0
	v_sub_u32_e32 v4, v4, v8
	s_waitcnt lgkmcnt(0)
	v_mad_u64_u32 v[3:4], s[8:9], v4, s9, v[3:4]
	v_mov_b32_e32 v4, v6
	s_cbranch_scc1 .LBB157_68
.LBB157_69:
	s_cbranch_execnz .LBB157_72
.LBB157_70:
	s_load_dwordx4 s[4:7], s[20:21], 0x4
	s_load_dword s2, s[20:21], 0xc4
	s_cmp_lt_u32 s33, 2
	s_waitcnt lgkmcnt(0)
	v_mul_hi_u32 v3, s5, v5
	v_add_u32_e32 v3, v5, v3
	v_lshrrev_b32_e32 v4, s6, v3
	v_mul_lo_u32 v3, v4, s4
	v_sub_u32_e32 v3, v5, v3
	v_mul_lo_u32 v3, v3, s2
	s_cbranch_scc1 .LBB157_72
; %bb.71:
	s_load_dwordx4 s[4:7], s[20:21], 0x10
	s_load_dword s2, s[20:21], 0xc8
	s_waitcnt lgkmcnt(0)
	v_mul_hi_u32 v5, s5, v4
	v_add_u32_e32 v5, v4, v5
	v_lshrrev_b32_e32 v5, s6, v5
	v_mul_lo_u32 v5, v5, s4
	v_sub_u32_e32 v4, v4, v5
	v_mad_u64_u32 v[3:4], s[2:3], v4, s2, v[3:4]
.LBB157_72:
	s_and_b64 vcc, exec, s[0:1]
	v_add_u32_e32 v6, 0x200, v7
	s_cbranch_vccnz .LBB157_78
; %bb.73:
	s_cmp_lg_u32 s33, 0
	s_mov_b32 s24, 0
	s_cbranch_scc0 .LBB157_79
; %bb.74:
	s_min_u32 s25, s46, 15
	s_add_i32 s25, s25, 1
	s_cmp_eq_u32 s46, 2
	s_cbranch_scc1 .LBB157_80
; %bb.75:
	s_and_b32 s24, s25, 28
	s_add_u32 s2, s20, 0xc4
	s_addc_u32 s3, s21, 0
	s_waitcnt lgkmcnt(0)
	s_mov_b32 s26, 0
	v_mov_b32_e32 v4, 0
	s_mov_b64 s[22:23], s[20:21]
	v_mov_b32_e32 v5, v6
.LBB157_76:                             ; =>This Inner Loop Header: Depth=1
	s_load_dwordx8 s[4:11], s[22:23], 0x4
	s_load_dwordx4 s[12:15], s[22:23], 0x24
	s_load_dwordx4 s[16:19], s[2:3], 0x0
	s_add_u32 s22, s22, 48
	s_addc_u32 s23, s23, 0
	s_waitcnt lgkmcnt(0)
	v_mul_hi_u32 v8, s5, v5
	s_add_i32 s26, s26, 4
	s_add_u32 s2, s2, 16
	s_addc_u32 s3, s3, 0
	v_add_u32_e32 v8, v5, v8
	v_lshrrev_b32_e32 v8, s6, v8
	v_mul_lo_u32 v10, v8, s4
	v_mul_hi_u32 v11, s8, v8
	s_cmp_lg_u32 s24, s26
	v_sub_u32_e32 v5, v5, v10
	v_add_u32_e32 v10, v8, v11
	v_lshrrev_b32_e32 v10, s9, v10
	v_mul_lo_u32 v11, v5, s16
	v_mul_hi_u32 v5, s11, v10
	v_mul_lo_u32 v13, v10, s7
	v_add_u32_e32 v5, v10, v5
	v_lshrrev_b32_e32 v12, s12, v5
	v_mul_hi_u32 v5, s14, v12
	v_sub_u32_e32 v8, v8, v13
	v_mul_lo_u32 v13, v12, s10
	v_mul_lo_u32 v8, v8, s17
	v_add_u32_e32 v5, v12, v5
	v_lshrrev_b32_e32 v5, s15, v5
	v_mul_lo_u32 v14, v5, s13
	v_sub_u32_e32 v10, v10, v13
	v_mul_lo_u32 v10, v10, s18
	v_add3_u32 v4, v11, v4, v8
	v_sub_u32_e32 v12, v12, v14
	v_mul_lo_u32 v12, v12, s19
	v_add3_u32 v4, v10, v4, v12
	s_cbranch_scc1 .LBB157_76
; %bb.77:
	s_and_b32 s6, s25, 3
	s_cmp_eq_u32 s6, 0
	s_cbranch_scc0 .LBB157_81
	s_branch .LBB157_83
.LBB157_78:
                                        ; implicit-def: $vgpr4
	s_branch .LBB157_84
.LBB157_79:
	v_mov_b32_e32 v4, 0
	s_branch .LBB157_83
.LBB157_80:
	v_mov_b32_e32 v4, 0
	v_mov_b32_e32 v5, v6
	s_and_b32 s6, s25, 3
	s_cmp_eq_u32 s6, 0
	s_cbranch_scc1 .LBB157_83
.LBB157_81:
	s_lshl_b32 s2, s24, 2
	s_add_u32 s2, s20, s2
	s_addc_u32 s3, s21, 0
	s_add_u32 s2, s2, 0xc4
	s_addc_u32 s3, s3, 0
	s_mul_i32 s4, s24, 12
	s_add_u32 s4, s20, s4
	s_addc_u32 s5, s21, 0
.LBB157_82:                             ; =>This Inner Loop Header: Depth=1
	s_waitcnt lgkmcnt(0)
	s_load_dwordx2 s[8:9], s[4:5], 0x4
	s_load_dword s7, s[4:5], 0xc
	s_add_u32 s4, s4, 12
	s_addc_u32 s5, s5, 0
	s_waitcnt lgkmcnt(0)
	v_mul_hi_u32 v8, s9, v5
	s_load_dword s9, s[2:3], 0x0
	s_add_u32 s2, s2, 4
	s_addc_u32 s3, s3, 0
	v_add_u32_e32 v8, v5, v8
	v_lshrrev_b32_e32 v8, s7, v8
	v_mul_lo_u32 v10, v8, s8
	s_add_i32 s6, s6, -1
	s_cmp_lg_u32 s6, 0
	v_sub_u32_e32 v5, v5, v10
	s_waitcnt lgkmcnt(0)
	v_mad_u64_u32 v[4:5], s[8:9], v5, s9, v[4:5]
	v_mov_b32_e32 v5, v8
	s_cbranch_scc1 .LBB157_82
.LBB157_83:
	s_cbranch_execnz .LBB157_86
.LBB157_84:
	s_load_dwordx4 s[4:7], s[20:21], 0x4
	s_load_dword s2, s[20:21], 0xc4
	s_cmp_lt_u32 s33, 2
	s_waitcnt lgkmcnt(0)
	v_mul_hi_u32 v4, s5, v6
	v_add_u32_e32 v4, v6, v4
	v_lshrrev_b32_e32 v5, s6, v4
	v_mul_lo_u32 v4, v5, s4
	v_sub_u32_e32 v4, v6, v4
	v_mul_lo_u32 v4, v4, s2
	s_cbranch_scc1 .LBB157_86
; %bb.85:
	s_load_dwordx4 s[4:7], s[20:21], 0x10
	s_load_dword s2, s[20:21], 0xc8
	s_waitcnt lgkmcnt(0)
	v_mul_hi_u32 v6, s5, v5
	v_add_u32_e32 v6, v5, v6
	v_lshrrev_b32_e32 v6, s6, v6
	v_mul_lo_u32 v6, v6, s4
	v_sub_u32_e32 v5, v5, v6
	v_mad_u64_u32 v[4:5], s[2:3], v5, s2, v[4:5]
.LBB157_86:
	s_and_b64 vcc, exec, s[0:1]
	v_add_u32_e32 v8, 0x280, v7
	s_cbranch_vccnz .LBB157_92
; %bb.87:
	s_cmp_lg_u32 s33, 0
	s_mov_b32 s24, 0
	s_cbranch_scc0 .LBB157_93
; %bb.88:
	s_min_u32 s25, s46, 15
	s_add_i32 s25, s25, 1
	s_cmp_eq_u32 s46, 2
	s_cbranch_scc1 .LBB157_94
; %bb.89:
	s_and_b32 s24, s25, 28
	s_add_u32 s2, s20, 0xc4
	s_addc_u32 s3, s21, 0
	s_waitcnt lgkmcnt(0)
	s_mov_b32 s26, 0
	v_mov_b32_e32 v5, 0
	s_mov_b64 s[22:23], s[20:21]
	v_mov_b32_e32 v6, v8
.LBB157_90:                             ; =>This Inner Loop Header: Depth=1
	s_load_dwordx8 s[4:11], s[22:23], 0x4
	s_load_dwordx4 s[12:15], s[22:23], 0x24
	s_load_dwordx4 s[16:19], s[2:3], 0x0
	s_add_u32 s22, s22, 48
	s_addc_u32 s23, s23, 0
	s_waitcnt lgkmcnt(0)
	v_mul_hi_u32 v10, s5, v6
	s_add_i32 s26, s26, 4
	s_add_u32 s2, s2, 16
	s_addc_u32 s3, s3, 0
	v_add_u32_e32 v10, v6, v10
	v_lshrrev_b32_e32 v10, s6, v10
	v_mul_lo_u32 v11, v10, s4
	v_mul_hi_u32 v12, s8, v10
	s_cmp_lg_u32 s24, s26
	v_sub_u32_e32 v6, v6, v11
	v_add_u32_e32 v11, v10, v12
	v_lshrrev_b32_e32 v11, s9, v11
	v_mul_lo_u32 v12, v6, s16
	v_mul_hi_u32 v6, s11, v11
	v_mul_lo_u32 v14, v11, s7
	v_add_u32_e32 v6, v11, v6
	v_lshrrev_b32_e32 v13, s12, v6
	v_mul_hi_u32 v6, s14, v13
	v_sub_u32_e32 v10, v10, v14
	v_mul_lo_u32 v14, v13, s10
	v_mul_lo_u32 v10, v10, s17
	v_add_u32_e32 v6, v13, v6
	v_lshrrev_b32_e32 v6, s15, v6
	v_mul_lo_u32 v15, v6, s13
	v_sub_u32_e32 v11, v11, v14
	v_mul_lo_u32 v11, v11, s18
	v_add3_u32 v5, v12, v5, v10
	v_sub_u32_e32 v13, v13, v15
	v_mul_lo_u32 v13, v13, s19
	v_add3_u32 v5, v11, v5, v13
	s_cbranch_scc1 .LBB157_90
; %bb.91:
	s_and_b32 s6, s25, 3
	s_cmp_eq_u32 s6, 0
	s_cbranch_scc0 .LBB157_95
	s_branch .LBB157_97
.LBB157_92:
                                        ; implicit-def: $vgpr5
	s_branch .LBB157_98
.LBB157_93:
	v_mov_b32_e32 v5, 0
	s_branch .LBB157_97
.LBB157_94:
	v_mov_b32_e32 v5, 0
	v_mov_b32_e32 v6, v8
	s_and_b32 s6, s25, 3
	s_cmp_eq_u32 s6, 0
	s_cbranch_scc1 .LBB157_97
.LBB157_95:
	s_lshl_b32 s2, s24, 2
	s_add_u32 s2, s20, s2
	s_addc_u32 s3, s21, 0
	s_add_u32 s2, s2, 0xc4
	s_addc_u32 s3, s3, 0
	s_mul_i32 s4, s24, 12
	s_add_u32 s4, s20, s4
	s_addc_u32 s5, s21, 0
.LBB157_96:                             ; =>This Inner Loop Header: Depth=1
	s_waitcnt lgkmcnt(0)
	s_load_dwordx2 s[8:9], s[4:5], 0x4
	s_load_dword s7, s[4:5], 0xc
	s_add_u32 s4, s4, 12
	s_addc_u32 s5, s5, 0
	s_waitcnt lgkmcnt(0)
	v_mul_hi_u32 v10, s9, v6
	s_load_dword s9, s[2:3], 0x0
	s_add_u32 s2, s2, 4
	s_addc_u32 s3, s3, 0
	v_add_u32_e32 v10, v6, v10
	v_lshrrev_b32_e32 v10, s7, v10
	v_mul_lo_u32 v11, v10, s8
	s_add_i32 s6, s6, -1
	s_cmp_lg_u32 s6, 0
	v_sub_u32_e32 v6, v6, v11
	s_waitcnt lgkmcnt(0)
	v_mad_u64_u32 v[5:6], s[8:9], v6, s9, v[5:6]
	v_mov_b32_e32 v6, v10
	s_cbranch_scc1 .LBB157_96
.LBB157_97:
	s_cbranch_execnz .LBB157_100
.LBB157_98:
	s_load_dwordx4 s[4:7], s[20:21], 0x4
	s_load_dword s2, s[20:21], 0xc4
	s_cmp_lt_u32 s33, 2
	s_waitcnt lgkmcnt(0)
	v_mul_hi_u32 v5, s5, v8
	v_add_u32_e32 v5, v8, v5
	v_lshrrev_b32_e32 v6, s6, v5
	v_mul_lo_u32 v5, v6, s4
	v_sub_u32_e32 v5, v8, v5
	v_mul_lo_u32 v5, v5, s2
	s_cbranch_scc1 .LBB157_100
; %bb.99:
	s_load_dwordx4 s[4:7], s[20:21], 0x10
	s_load_dword s2, s[20:21], 0xc8
	s_waitcnt lgkmcnt(0)
	v_mul_hi_u32 v8, s5, v6
	v_add_u32_e32 v8, v6, v8
	v_lshrrev_b32_e32 v8, s6, v8
	v_mul_lo_u32 v8, v8, s4
	v_sub_u32_e32 v6, v6, v8
	v_mad_u64_u32 v[5:6], s[2:3], v6, s2, v[5:6]
.LBB157_100:
	s_and_b64 vcc, exec, s[0:1]
	v_add_u32_e32 v8, 0x300, v7
	s_cbranch_vccnz .LBB157_106
; %bb.101:
	s_cmp_lg_u32 s33, 0
	s_mov_b32 s24, 0
	s_cbranch_scc0 .LBB157_107
; %bb.102:
	s_min_u32 s25, s46, 15
	s_add_i32 s25, s25, 1
	s_cmp_eq_u32 s46, 2
	s_cbranch_scc1 .LBB157_108
; %bb.103:
	s_and_b32 s24, s25, 28
	s_add_u32 s2, s20, 0xc4
	s_addc_u32 s3, s21, 0
	s_waitcnt lgkmcnt(0)
	s_mov_b32 s26, 0
	v_mov_b32_e32 v6, 0
	s_mov_b64 s[22:23], s[20:21]
	v_mov_b32_e32 v7, v8
.LBB157_104:                            ; =>This Inner Loop Header: Depth=1
	s_load_dwordx8 s[4:11], s[22:23], 0x4
	s_load_dwordx4 s[12:15], s[22:23], 0x24
	s_load_dwordx4 s[16:19], s[2:3], 0x0
	s_add_u32 s22, s22, 48
	s_addc_u32 s23, s23, 0
	s_waitcnt lgkmcnt(0)
	v_mul_hi_u32 v10, s5, v7
	s_add_i32 s26, s26, 4
	s_add_u32 s2, s2, 16
	s_addc_u32 s3, s3, 0
	v_add_u32_e32 v10, v7, v10
	v_lshrrev_b32_e32 v10, s6, v10
	v_mul_lo_u32 v11, v10, s4
	v_mul_hi_u32 v12, s8, v10
	s_cmp_lg_u32 s24, s26
	v_sub_u32_e32 v7, v7, v11
	v_add_u32_e32 v11, v10, v12
	v_lshrrev_b32_e32 v11, s9, v11
	v_mul_lo_u32 v12, v7, s16
	v_mul_hi_u32 v7, s11, v11
	v_mul_lo_u32 v14, v11, s7
	v_add_u32_e32 v7, v11, v7
	v_lshrrev_b32_e32 v13, s12, v7
	v_mul_hi_u32 v7, s14, v13
	v_sub_u32_e32 v10, v10, v14
	v_mul_lo_u32 v14, v13, s10
	v_mul_lo_u32 v10, v10, s17
	v_add_u32_e32 v7, v13, v7
	v_lshrrev_b32_e32 v7, s15, v7
	v_mul_lo_u32 v15, v7, s13
	v_sub_u32_e32 v11, v11, v14
	v_mul_lo_u32 v11, v11, s18
	v_add3_u32 v6, v12, v6, v10
	v_sub_u32_e32 v13, v13, v15
	v_mul_lo_u32 v13, v13, s19
	v_add3_u32 v6, v11, v6, v13
	s_cbranch_scc1 .LBB157_104
; %bb.105:
	s_and_b32 s6, s25, 3
	s_cmp_eq_u32 s6, 0
	s_cbranch_scc0 .LBB157_109
	s_branch .LBB157_111
.LBB157_106:
                                        ; implicit-def: $vgpr6
	s_branch .LBB157_112
.LBB157_107:
	v_mov_b32_e32 v6, 0
	s_branch .LBB157_111
.LBB157_108:
	v_mov_b32_e32 v6, 0
	v_mov_b32_e32 v7, v8
	s_and_b32 s6, s25, 3
	s_cmp_eq_u32 s6, 0
	s_cbranch_scc1 .LBB157_111
.LBB157_109:
	s_lshl_b32 s2, s24, 2
	s_add_u32 s2, s20, s2
	s_addc_u32 s3, s21, 0
	s_add_u32 s2, s2, 0xc4
	s_addc_u32 s3, s3, 0
	s_mul_i32 s4, s24, 12
	s_add_u32 s4, s20, s4
	s_addc_u32 s5, s21, 0
.LBB157_110:                            ; =>This Inner Loop Header: Depth=1
	s_waitcnt lgkmcnt(0)
	s_load_dwordx2 s[8:9], s[4:5], 0x4
	s_load_dword s7, s[4:5], 0xc
	s_add_u32 s4, s4, 12
	s_addc_u32 s5, s5, 0
	s_waitcnt lgkmcnt(0)
	v_mul_hi_u32 v10, s9, v7
	s_load_dword s9, s[2:3], 0x0
	s_add_u32 s2, s2, 4
	s_addc_u32 s3, s3, 0
	v_add_u32_e32 v10, v7, v10
	v_lshrrev_b32_e32 v10, s7, v10
	v_mul_lo_u32 v11, v10, s8
	s_add_i32 s6, s6, -1
	s_cmp_lg_u32 s6, 0
	v_sub_u32_e32 v7, v7, v11
	s_waitcnt lgkmcnt(0)
	v_mad_u64_u32 v[6:7], s[8:9], v7, s9, v[6:7]
	v_mov_b32_e32 v7, v10
	s_cbranch_scc1 .LBB157_110
.LBB157_111:
	s_cbranch_execnz .LBB157_114
.LBB157_112:
	s_load_dwordx4 s[4:7], s[20:21], 0x4
	s_load_dword s2, s[20:21], 0xc4
	s_cmp_lt_u32 s33, 2
	s_waitcnt lgkmcnt(0)
	v_mul_hi_u32 v6, s5, v8
	v_add_u32_e32 v6, v8, v6
	v_lshrrev_b32_e32 v7, s6, v6
	v_mul_lo_u32 v6, v7, s4
	v_sub_u32_e32 v6, v8, v6
	v_mul_lo_u32 v6, v6, s2
	s_cbranch_scc1 .LBB157_114
; %bb.113:
	s_load_dwordx4 s[4:7], s[20:21], 0x10
	s_load_dword s2, s[20:21], 0xc8
	s_waitcnt lgkmcnt(0)
	v_mul_hi_u32 v8, s5, v7
	v_add_u32_e32 v8, v7, v8
	v_lshrrev_b32_e32 v8, s6, v8
	v_mul_lo_u32 v8, v8, s4
	v_sub_u32_e32 v7, v7, v8
	v_mad_u64_u32 v[6:7], s[2:3], v7, s2, v[6:7]
.LBB157_114:
	s_and_b64 vcc, exec, s[0:1]
	s_cbranch_vccnz .LBB157_120
; %bb.115:
	s_cmp_lg_u32 s33, 0
	s_mov_b32 s22, 0
	s_cbranch_scc0 .LBB157_121
; %bb.116:
	s_min_u32 s23, s46, 15
	s_add_i32 s23, s23, 1
	s_cmp_eq_u32 s46, 2
	s_cbranch_scc1 .LBB157_122
; %bb.117:
	s_and_b32 s22, s23, 28
	s_add_u32 s16, s20, 0xc4
	s_addc_u32 s17, s21, 0
	s_mov_b32 s24, 0
	v_mov_b32_e32 v7, 0
	s_mov_b64 s[18:19], s[20:21]
	v_mov_b32_e32 v8, v9
.LBB157_118:                            ; =>This Inner Loop Header: Depth=1
	s_load_dwordx8 s[0:7], s[18:19], 0x4
	s_waitcnt lgkmcnt(0)
	s_load_dwordx4 s[8:11], s[18:19], 0x24
	s_load_dwordx4 s[12:15], s[16:17], 0x0
	s_add_u32 s18, s18, 48
	s_addc_u32 s19, s19, 0
	v_mul_hi_u32 v10, s1, v8
	s_add_i32 s24, s24, 4
	s_add_u32 s16, s16, 16
	s_addc_u32 s17, s17, 0
	v_add_u32_e32 v10, v8, v10
	v_lshrrev_b32_e32 v10, s2, v10
	v_mul_lo_u32 v11, v10, s0
	v_mul_hi_u32 v12, s4, v10
	s_cmp_lg_u32 s22, s24
	v_sub_u32_e32 v8, v8, v11
	v_add_u32_e32 v11, v10, v12
	v_lshrrev_b32_e32 v11, s5, v11
	s_waitcnt lgkmcnt(0)
	v_mul_lo_u32 v12, v8, s12
	v_mul_hi_u32 v8, s7, v11
	v_mul_lo_u32 v14, v11, s3
	v_add_u32_e32 v8, v11, v8
	v_lshrrev_b32_e32 v13, s8, v8
	v_mul_hi_u32 v8, s10, v13
	v_sub_u32_e32 v10, v10, v14
	v_mul_lo_u32 v14, v13, s6
	v_mul_lo_u32 v10, v10, s13
	v_add_u32_e32 v8, v13, v8
	v_lshrrev_b32_e32 v8, s11, v8
	v_mul_lo_u32 v15, v8, s9
	v_sub_u32_e32 v11, v11, v14
	v_mul_lo_u32 v11, v11, s14
	v_add3_u32 v7, v12, v7, v10
	v_sub_u32_e32 v13, v13, v15
	v_mul_lo_u32 v13, v13, s15
	v_add3_u32 v7, v11, v7, v13
	s_cbranch_scc1 .LBB157_118
; %bb.119:
	s_and_b32 s4, s23, 3
	s_cmp_eq_u32 s4, 0
	s_cbranch_scc0 .LBB157_123
	s_branch .LBB157_125
.LBB157_120:
                                        ; implicit-def: $vgpr7
	s_branch .LBB157_126
.LBB157_121:
	v_mov_b32_e32 v7, 0
	s_branch .LBB157_125
.LBB157_122:
	v_mov_b32_e32 v7, 0
	v_mov_b32_e32 v8, v9
	s_and_b32 s4, s23, 3
	s_cmp_eq_u32 s4, 0
	s_cbranch_scc1 .LBB157_125
.LBB157_123:
	s_lshl_b32 s0, s22, 2
	s_add_u32 s0, s20, s0
	s_addc_u32 s1, s21, 0
	s_add_u32 s0, s0, 0xc4
	s_addc_u32 s1, s1, 0
	s_mul_i32 s2, s22, 12
	s_add_u32 s2, s20, s2
	s_addc_u32 s3, s21, 0
.LBB157_124:                            ; =>This Inner Loop Header: Depth=1
	s_load_dwordx2 s[6:7], s[2:3], 0x4
	s_load_dword s5, s[2:3], 0xc
	s_add_u32 s2, s2, 12
	s_addc_u32 s3, s3, 0
	s_waitcnt lgkmcnt(0)
	v_mul_hi_u32 v10, s7, v8
	s_load_dword s7, s[0:1], 0x0
	s_add_u32 s0, s0, 4
	s_addc_u32 s1, s1, 0
	v_add_u32_e32 v10, v8, v10
	v_lshrrev_b32_e32 v10, s5, v10
	v_mul_lo_u32 v11, v10, s6
	s_add_i32 s4, s4, -1
	s_cmp_lg_u32 s4, 0
	v_sub_u32_e32 v8, v8, v11
	s_waitcnt lgkmcnt(0)
	v_mad_u64_u32 v[7:8], s[6:7], v8, s7, v[7:8]
	v_mov_b32_e32 v8, v10
	s_cbranch_scc1 .LBB157_124
.LBB157_125:
	s_cbranch_execnz .LBB157_128
.LBB157_126:
	s_load_dwordx4 s[0:3], s[20:21], 0x4
	s_waitcnt lgkmcnt(0)
	s_load_dword s3, s[20:21], 0xc4
	s_cmp_lt_u32 s33, 2
	v_mul_hi_u32 v7, s1, v9
	v_add_u32_e32 v7, v9, v7
	v_lshrrev_b32_e32 v8, s2, v7
	v_mul_lo_u32 v7, v8, s0
	v_sub_u32_e32 v7, v9, v7
	s_waitcnt lgkmcnt(0)
	v_mul_lo_u32 v7, v7, s3
	s_cbranch_scc1 .LBB157_128
; %bb.127:
	s_load_dwordx4 s[0:3], s[20:21], 0x10
	s_waitcnt lgkmcnt(0)
	s_load_dword s3, s[20:21], 0xc8
	v_mul_hi_u32 v9, s1, v8
	v_add_u32_e32 v9, v8, v9
	v_lshrrev_b32_e32 v9, s2, v9
	v_mul_lo_u32 v9, v9, s0
	v_sub_u32_e32 v8, v8, v9
	s_waitcnt lgkmcnt(0)
	v_mad_u64_u32 v[7:8], s[0:1], v8, s3, v[7:8]
.LBB157_128:
	s_load_dword s2, s[20:21], 0x110
	s_load_dwordx2 s[0:1], s[20:21], 0x108
	s_waitcnt lgkmcnt(0)
	v_mov_b32_e32 v8, s2
	s_nop 0
	global_store_short v0, v8, s[0:1]
	global_store_short v1, v8, s[0:1]
	global_store_short v2, v8, s[0:1]
	global_store_short v3, v8, s[0:1]
	global_store_short v4, v8, s[0:1]
	global_store_short v5, v8, s[0:1]
	global_store_short v6, v8, s[0:1]
	global_store_short v7, v8, s[0:1]
	s_endpgm
.LBB157_129:
	v_mov_b32_e32 v0, 0
	s_branch .LBB157_135
.LBB157_130:
	v_mov_b32_e32 v0, 0
	s_branch .LBB157_151
.LBB157_131:
	v_mov_b32_e32 v0, 0
	s_mov_b32 s50, 0
	v_mov_b32_e32 v1, v7
.LBB157_132:
	s_and_b32 s4, s51, 3
	s_cmp_eq_u32 s4, 0
	s_cbranch_scc1 .LBB157_135
; %bb.133:
	s_lshl_b32 s0, s50, 2
	s_add_u32 s0, s20, s0
	s_addc_u32 s1, s21, 0
	s_add_u32 s0, s0, 0xc4
	s_addc_u32 s1, s1, 0
	s_mul_i32 s2, s50, 12
	s_add_u32 s2, s20, s2
	s_addc_u32 s3, s21, 0
.LBB157_134:                            ; =>This Inner Loop Header: Depth=1
	s_load_dwordx2 s[6:7], s[2:3], 0x4
	s_load_dword s5, s[2:3], 0xc
	s_add_u32 s2, s2, 12
	s_addc_u32 s3, s3, 0
	s_waitcnt lgkmcnt(0)
	v_mul_hi_u32 v2, s7, v1
	s_load_dword s7, s[0:1], 0x0
	s_add_u32 s0, s0, 4
	s_addc_u32 s1, s1, 0
	v_add_u32_e32 v2, v1, v2
	v_lshrrev_b32_e32 v2, s5, v2
	v_mul_lo_u32 v3, v2, s6
	s_add_i32 s4, s4, -1
	s_cmp_lg_u32 s4, 0
	v_sub_u32_e32 v1, v1, v3
	s_waitcnt lgkmcnt(0)
	v_mad_u64_u32 v[0:1], s[6:7], v1, s7, v[0:1]
	v_mov_b32_e32 v1, v2
	s_cbranch_scc1 .LBB157_134
.LBB157_135:
	s_cbranch_execnz .LBB157_138
.LBB157_136:
	s_waitcnt lgkmcnt(0)
	v_mul_hi_u32 v0, s9, v7
	s_andn2_b64 vcc, exec, s[34:35]
	v_add_u32_e32 v0, v7, v0
	v_lshrrev_b32_e32 v1, s10, v0
	v_mul_lo_u32 v0, v1, s8
	v_sub_u32_e32 v0, v7, v0
	v_mul_lo_u32 v0, v0, s28
	s_cbranch_vccnz .LBB157_138
; %bb.137:
	v_mul_hi_u32 v2, s30, v1
	v_add_u32_e32 v2, v1, v2
	v_lshrrev_b32_e32 v2, s31, v2
	v_mul_lo_u32 v2, v2, s11
	v_sub_u32_e32 v1, v1, v2
	v_mad_u64_u32 v[0:1], s[0:1], v1, s29, v[0:1]
.LBB157_138:
	s_waitcnt lgkmcnt(0)
	v_mov_b32_e32 v1, s47
	v_add_u32_e32 v7, 0x80, v7
	global_store_short v0, v1, s[26:27]
	s_or_b64 exec, exec, s[40:41]
	v_cmp_gt_i32_e32 vcc, s48, v7
	s_and_saveexec_b64 s[40:41], vcc
	s_cbranch_execnz .LBB157_15
.LBB157_139:
	s_or_b64 exec, exec, s[40:41]
	v_cmp_gt_i32_e32 vcc, s48, v7
	s_and_saveexec_b64 s[40:41], vcc
	s_cbranch_execz .LBB157_155
.LBB157_140:
	s_andn2_b64 vcc, exec, s[22:23]
	s_cbranch_vccnz .LBB157_145
; %bb.141:
	s_andn2_b64 vcc, exec, s[38:39]
	s_cbranch_vccnz .LBB157_146
; %bb.142:
	s_add_i32 s51, s49, 1
	s_cmp_eq_u32 s46, 2
	s_cbranch_scc1 .LBB157_163
; %bb.143:
	s_and_b32 s50, s51, 28
	s_mov_b32 s52, 0
	v_mov_b32_e32 v0, 0
	s_mov_b64 s[42:43], s[20:21]
	s_mov_b64 s[44:45], s[36:37]
	v_mov_b32_e32 v1, v7
.LBB157_144:                            ; =>This Inner Loop Header: Depth=1
	s_load_dwordx8 s[0:7], s[42:43], 0x4
	s_load_dwordx4 s[12:15], s[42:43], 0x24
	s_load_dwordx4 s[16:19], s[44:45], 0x0
	s_add_u32 s42, s42, 48
	s_addc_u32 s43, s43, 0
	s_waitcnt lgkmcnt(0)
	v_mul_hi_u32 v2, s1, v1
	s_add_i32 s52, s52, 4
	s_add_u32 s44, s44, 16
	s_addc_u32 s45, s45, 0
	v_add_u32_e32 v2, v1, v2
	v_lshrrev_b32_e32 v2, s2, v2
	v_mul_lo_u32 v3, v2, s0
	v_mul_hi_u32 v4, s4, v2
	s_cmp_eq_u32 s50, s52
	v_sub_u32_e32 v1, v1, v3
	v_add_u32_e32 v3, v2, v4
	v_lshrrev_b32_e32 v3, s5, v3
	v_mul_lo_u32 v4, v1, s16
	v_mul_hi_u32 v1, s7, v3
	v_mul_lo_u32 v6, v3, s3
	v_add_u32_e32 v1, v3, v1
	v_lshrrev_b32_e32 v5, s12, v1
	v_mul_hi_u32 v1, s14, v5
	v_sub_u32_e32 v2, v2, v6
	v_mul_lo_u32 v6, v5, s6
	v_mul_lo_u32 v2, v2, s17
	v_add_u32_e32 v1, v5, v1
	v_lshrrev_b32_e32 v1, s15, v1
	v_mul_lo_u32 v8, v1, s13
	v_sub_u32_e32 v3, v3, v6
	v_mul_lo_u32 v3, v3, s18
	v_add3_u32 v0, v4, v0, v2
	v_sub_u32_e32 v5, v5, v8
	v_mul_lo_u32 v5, v5, s19
	v_add3_u32 v0, v3, v0, v5
	s_cbranch_scc0 .LBB157_144
	s_branch .LBB157_164
.LBB157_145:
                                        ; implicit-def: $vgpr0
	s_branch .LBB157_168
.LBB157_146:
	v_mov_b32_e32 v0, 0
	s_branch .LBB157_167
.LBB157_147:
	v_mov_b32_e32 v0, 0
	s_mov_b32 s50, 0
	v_mov_b32_e32 v1, v7
.LBB157_148:
	s_and_b32 s4, s51, 3
	s_cmp_eq_u32 s4, 0
	s_cbranch_scc1 .LBB157_151
; %bb.149:
	s_lshl_b32 s0, s50, 2
	s_add_u32 s0, s20, s0
	s_addc_u32 s1, s21, 0
	s_add_u32 s0, s0, 0xc4
	s_addc_u32 s1, s1, 0
	s_mul_i32 s2, s50, 12
	s_add_u32 s2, s20, s2
	s_addc_u32 s3, s21, 0
.LBB157_150:                            ; =>This Inner Loop Header: Depth=1
	s_load_dwordx2 s[6:7], s[2:3], 0x4
	s_load_dword s5, s[2:3], 0xc
	s_add_u32 s2, s2, 12
	s_addc_u32 s3, s3, 0
	s_waitcnt lgkmcnt(0)
	v_mul_hi_u32 v2, s7, v1
	s_load_dword s7, s[0:1], 0x0
	s_add_u32 s0, s0, 4
	s_addc_u32 s1, s1, 0
	v_add_u32_e32 v2, v1, v2
	v_lshrrev_b32_e32 v2, s5, v2
	v_mul_lo_u32 v3, v2, s6
	s_add_i32 s4, s4, -1
	s_cmp_lg_u32 s4, 0
	v_sub_u32_e32 v1, v1, v3
	s_waitcnt lgkmcnt(0)
	v_mad_u64_u32 v[0:1], s[6:7], v1, s7, v[0:1]
	v_mov_b32_e32 v1, v2
	s_cbranch_scc1 .LBB157_150
.LBB157_151:
	s_cbranch_execnz .LBB157_154
.LBB157_152:
	s_waitcnt lgkmcnt(0)
	v_mul_hi_u32 v0, s9, v7
	s_andn2_b64 vcc, exec, s[34:35]
	v_add_u32_e32 v0, v7, v0
	v_lshrrev_b32_e32 v1, s10, v0
	v_mul_lo_u32 v0, v1, s8
	v_sub_u32_e32 v0, v7, v0
	v_mul_lo_u32 v0, v0, s28
	s_cbranch_vccnz .LBB157_154
; %bb.153:
	v_mul_hi_u32 v2, s30, v1
	v_add_u32_e32 v2, v1, v2
	v_lshrrev_b32_e32 v2, s31, v2
	v_mul_lo_u32 v2, v2, s11
	v_sub_u32_e32 v1, v1, v2
	v_mad_u64_u32 v[0:1], s[0:1], v1, s29, v[0:1]
.LBB157_154:
	s_waitcnt lgkmcnt(0)
	v_mov_b32_e32 v1, s47
	v_add_u32_e32 v7, 0x80, v7
	global_store_short v0, v1, s[26:27]
	s_or_b64 exec, exec, s[40:41]
	v_cmp_gt_i32_e32 vcc, s48, v7
	s_and_saveexec_b64 s[40:41], vcc
	s_cbranch_execnz .LBB157_140
.LBB157_155:
	s_or_b64 exec, exec, s[40:41]
	v_cmp_gt_i32_e32 vcc, s48, v7
	s_and_saveexec_b64 s[40:41], vcc
	s_cbranch_execz .LBB157_171
.LBB157_156:
	s_andn2_b64 vcc, exec, s[22:23]
	s_cbranch_vccnz .LBB157_161
; %bb.157:
	s_andn2_b64 vcc, exec, s[38:39]
	s_cbranch_vccnz .LBB157_162
; %bb.158:
	s_add_i32 s51, s49, 1
	s_cmp_eq_u32 s46, 2
	s_cbranch_scc1 .LBB157_179
; %bb.159:
	s_and_b32 s50, s51, 28
	s_mov_b32 s52, 0
	v_mov_b32_e32 v0, 0
	s_mov_b64 s[42:43], s[20:21]
	s_mov_b64 s[44:45], s[36:37]
	v_mov_b32_e32 v1, v7
.LBB157_160:                            ; =>This Inner Loop Header: Depth=1
	s_load_dwordx8 s[0:7], s[42:43], 0x4
	s_load_dwordx4 s[12:15], s[42:43], 0x24
	s_load_dwordx4 s[16:19], s[44:45], 0x0
	s_add_u32 s42, s42, 48
	s_addc_u32 s43, s43, 0
	s_waitcnt lgkmcnt(0)
	v_mul_hi_u32 v2, s1, v1
	s_add_i32 s52, s52, 4
	s_add_u32 s44, s44, 16
	s_addc_u32 s45, s45, 0
	v_add_u32_e32 v2, v1, v2
	v_lshrrev_b32_e32 v2, s2, v2
	v_mul_lo_u32 v3, v2, s0
	v_mul_hi_u32 v4, s4, v2
	s_cmp_eq_u32 s50, s52
	v_sub_u32_e32 v1, v1, v3
	v_add_u32_e32 v3, v2, v4
	v_lshrrev_b32_e32 v3, s5, v3
	v_mul_lo_u32 v4, v1, s16
	v_mul_hi_u32 v1, s7, v3
	v_mul_lo_u32 v6, v3, s3
	v_add_u32_e32 v1, v3, v1
	v_lshrrev_b32_e32 v5, s12, v1
	v_mul_hi_u32 v1, s14, v5
	v_sub_u32_e32 v2, v2, v6
	v_mul_lo_u32 v6, v5, s6
	v_mul_lo_u32 v2, v2, s17
	v_add_u32_e32 v1, v5, v1
	v_lshrrev_b32_e32 v1, s15, v1
	v_mul_lo_u32 v8, v1, s13
	v_sub_u32_e32 v3, v3, v6
	v_mul_lo_u32 v3, v3, s18
	v_add3_u32 v0, v4, v0, v2
	v_sub_u32_e32 v5, v5, v8
	v_mul_lo_u32 v5, v5, s19
	v_add3_u32 v0, v3, v0, v5
	s_cbranch_scc0 .LBB157_160
	s_branch .LBB157_180
.LBB157_161:
                                        ; implicit-def: $vgpr0
	s_branch .LBB157_184
.LBB157_162:
	v_mov_b32_e32 v0, 0
	s_branch .LBB157_183
.LBB157_163:
	v_mov_b32_e32 v0, 0
	s_mov_b32 s50, 0
	v_mov_b32_e32 v1, v7
.LBB157_164:
	s_and_b32 s4, s51, 3
	s_cmp_eq_u32 s4, 0
	s_cbranch_scc1 .LBB157_167
; %bb.165:
	s_lshl_b32 s0, s50, 2
	s_add_u32 s0, s20, s0
	s_addc_u32 s1, s21, 0
	s_add_u32 s0, s0, 0xc4
	s_addc_u32 s1, s1, 0
	s_mul_i32 s2, s50, 12
	s_add_u32 s2, s20, s2
	s_addc_u32 s3, s21, 0
.LBB157_166:                            ; =>This Inner Loop Header: Depth=1
	s_load_dwordx2 s[6:7], s[2:3], 0x4
	s_load_dword s5, s[2:3], 0xc
	s_add_u32 s2, s2, 12
	s_addc_u32 s3, s3, 0
	s_waitcnt lgkmcnt(0)
	v_mul_hi_u32 v2, s7, v1
	s_load_dword s7, s[0:1], 0x0
	s_add_u32 s0, s0, 4
	s_addc_u32 s1, s1, 0
	v_add_u32_e32 v2, v1, v2
	v_lshrrev_b32_e32 v2, s5, v2
	v_mul_lo_u32 v3, v2, s6
	s_add_i32 s4, s4, -1
	s_cmp_lg_u32 s4, 0
	v_sub_u32_e32 v1, v1, v3
	s_waitcnt lgkmcnt(0)
	v_mad_u64_u32 v[0:1], s[6:7], v1, s7, v[0:1]
	v_mov_b32_e32 v1, v2
	s_cbranch_scc1 .LBB157_166
.LBB157_167:
	s_cbranch_execnz .LBB157_170
.LBB157_168:
	s_waitcnt lgkmcnt(0)
	v_mul_hi_u32 v0, s9, v7
	s_andn2_b64 vcc, exec, s[34:35]
	v_add_u32_e32 v0, v7, v0
	v_lshrrev_b32_e32 v1, s10, v0
	v_mul_lo_u32 v0, v1, s8
	v_sub_u32_e32 v0, v7, v0
	v_mul_lo_u32 v0, v0, s28
	s_cbranch_vccnz .LBB157_170
; %bb.169:
	v_mul_hi_u32 v2, s30, v1
	v_add_u32_e32 v2, v1, v2
	v_lshrrev_b32_e32 v2, s31, v2
	v_mul_lo_u32 v2, v2, s11
	v_sub_u32_e32 v1, v1, v2
	v_mad_u64_u32 v[0:1], s[0:1], v1, s29, v[0:1]
.LBB157_170:
	s_waitcnt lgkmcnt(0)
	v_mov_b32_e32 v1, s47
	v_add_u32_e32 v7, 0x80, v7
	global_store_short v0, v1, s[26:27]
	s_or_b64 exec, exec, s[40:41]
	v_cmp_gt_i32_e32 vcc, s48, v7
	s_and_saveexec_b64 s[40:41], vcc
	s_cbranch_execnz .LBB157_156
.LBB157_171:
	s_or_b64 exec, exec, s[40:41]
	v_cmp_gt_i32_e32 vcc, s48, v7
	s_and_saveexec_b64 s[40:41], vcc
	s_cbranch_execz .LBB157_187
.LBB157_172:
	s_andn2_b64 vcc, exec, s[22:23]
	s_cbranch_vccnz .LBB157_177
; %bb.173:
	s_andn2_b64 vcc, exec, s[38:39]
	s_cbranch_vccnz .LBB157_178
; %bb.174:
	s_add_i32 s51, s49, 1
	s_cmp_eq_u32 s46, 2
	s_cbranch_scc1 .LBB157_195
; %bb.175:
	s_and_b32 s50, s51, 28
	s_mov_b32 s52, 0
	v_mov_b32_e32 v0, 0
	s_mov_b64 s[42:43], s[20:21]
	s_mov_b64 s[44:45], s[36:37]
	v_mov_b32_e32 v1, v7
.LBB157_176:                            ; =>This Inner Loop Header: Depth=1
	s_load_dwordx8 s[0:7], s[42:43], 0x4
	s_load_dwordx4 s[12:15], s[42:43], 0x24
	s_load_dwordx4 s[16:19], s[44:45], 0x0
	s_add_u32 s42, s42, 48
	s_addc_u32 s43, s43, 0
	s_waitcnt lgkmcnt(0)
	v_mul_hi_u32 v2, s1, v1
	s_add_i32 s52, s52, 4
	s_add_u32 s44, s44, 16
	s_addc_u32 s45, s45, 0
	v_add_u32_e32 v2, v1, v2
	v_lshrrev_b32_e32 v2, s2, v2
	v_mul_lo_u32 v3, v2, s0
	v_mul_hi_u32 v4, s4, v2
	s_cmp_eq_u32 s50, s52
	v_sub_u32_e32 v1, v1, v3
	v_add_u32_e32 v3, v2, v4
	v_lshrrev_b32_e32 v3, s5, v3
	v_mul_lo_u32 v4, v1, s16
	v_mul_hi_u32 v1, s7, v3
	v_mul_lo_u32 v6, v3, s3
	v_add_u32_e32 v1, v3, v1
	v_lshrrev_b32_e32 v5, s12, v1
	v_mul_hi_u32 v1, s14, v5
	v_sub_u32_e32 v2, v2, v6
	v_mul_lo_u32 v6, v5, s6
	v_mul_lo_u32 v2, v2, s17
	v_add_u32_e32 v1, v5, v1
	v_lshrrev_b32_e32 v1, s15, v1
	v_mul_lo_u32 v8, v1, s13
	v_sub_u32_e32 v3, v3, v6
	v_mul_lo_u32 v3, v3, s18
	v_add3_u32 v0, v4, v0, v2
	v_sub_u32_e32 v5, v5, v8
	v_mul_lo_u32 v5, v5, s19
	v_add3_u32 v0, v3, v0, v5
	s_cbranch_scc0 .LBB157_176
	s_branch .LBB157_196
.LBB157_177:
                                        ; implicit-def: $vgpr0
	s_branch .LBB157_200
.LBB157_178:
	v_mov_b32_e32 v0, 0
	s_branch .LBB157_199
.LBB157_179:
	v_mov_b32_e32 v0, 0
	s_mov_b32 s50, 0
	v_mov_b32_e32 v1, v7
.LBB157_180:
	s_and_b32 s4, s51, 3
	s_cmp_eq_u32 s4, 0
	s_cbranch_scc1 .LBB157_183
; %bb.181:
	s_lshl_b32 s0, s50, 2
	s_add_u32 s0, s20, s0
	s_addc_u32 s1, s21, 0
	s_add_u32 s0, s0, 0xc4
	s_addc_u32 s1, s1, 0
	s_mul_i32 s2, s50, 12
	s_add_u32 s2, s20, s2
	s_addc_u32 s3, s21, 0
.LBB157_182:                            ; =>This Inner Loop Header: Depth=1
	s_load_dwordx2 s[6:7], s[2:3], 0x4
	s_load_dword s5, s[2:3], 0xc
	s_add_u32 s2, s2, 12
	s_addc_u32 s3, s3, 0
	s_waitcnt lgkmcnt(0)
	v_mul_hi_u32 v2, s7, v1
	s_load_dword s7, s[0:1], 0x0
	s_add_u32 s0, s0, 4
	s_addc_u32 s1, s1, 0
	v_add_u32_e32 v2, v1, v2
	v_lshrrev_b32_e32 v2, s5, v2
	v_mul_lo_u32 v3, v2, s6
	s_add_i32 s4, s4, -1
	s_cmp_lg_u32 s4, 0
	v_sub_u32_e32 v1, v1, v3
	s_waitcnt lgkmcnt(0)
	v_mad_u64_u32 v[0:1], s[6:7], v1, s7, v[0:1]
	v_mov_b32_e32 v1, v2
	s_cbranch_scc1 .LBB157_182
.LBB157_183:
	s_cbranch_execnz .LBB157_186
.LBB157_184:
	s_waitcnt lgkmcnt(0)
	v_mul_hi_u32 v0, s9, v7
	s_andn2_b64 vcc, exec, s[34:35]
	v_add_u32_e32 v0, v7, v0
	v_lshrrev_b32_e32 v1, s10, v0
	v_mul_lo_u32 v0, v1, s8
	v_sub_u32_e32 v0, v7, v0
	v_mul_lo_u32 v0, v0, s28
	s_cbranch_vccnz .LBB157_186
; %bb.185:
	v_mul_hi_u32 v2, s30, v1
	v_add_u32_e32 v2, v1, v2
	v_lshrrev_b32_e32 v2, s31, v2
	v_mul_lo_u32 v2, v2, s11
	v_sub_u32_e32 v1, v1, v2
	v_mad_u64_u32 v[0:1], s[0:1], v1, s29, v[0:1]
.LBB157_186:
	s_waitcnt lgkmcnt(0)
	v_mov_b32_e32 v1, s47
	v_add_u32_e32 v7, 0x80, v7
	global_store_short v0, v1, s[26:27]
	s_or_b64 exec, exec, s[40:41]
	v_cmp_gt_i32_e32 vcc, s48, v7
	s_and_saveexec_b64 s[40:41], vcc
	s_cbranch_execnz .LBB157_172
.LBB157_187:
	s_or_b64 exec, exec, s[40:41]
	v_cmp_gt_i32_e32 vcc, s48, v7
	s_and_saveexec_b64 s[40:41], vcc
	s_cbranch_execz .LBB157_203
.LBB157_188:
	s_andn2_b64 vcc, exec, s[22:23]
	s_cbranch_vccnz .LBB157_193
; %bb.189:
	s_andn2_b64 vcc, exec, s[38:39]
	s_cbranch_vccnz .LBB157_194
; %bb.190:
	s_add_i32 s51, s49, 1
	s_cmp_eq_u32 s46, 2
	s_cbranch_scc1 .LBB157_211
; %bb.191:
	s_and_b32 s50, s51, 28
	s_mov_b32 s52, 0
	v_mov_b32_e32 v0, 0
	s_mov_b64 s[42:43], s[20:21]
	s_mov_b64 s[44:45], s[36:37]
	v_mov_b32_e32 v1, v7
.LBB157_192:                            ; =>This Inner Loop Header: Depth=1
	s_load_dwordx8 s[0:7], s[42:43], 0x4
	s_load_dwordx4 s[12:15], s[42:43], 0x24
	s_load_dwordx4 s[16:19], s[44:45], 0x0
	s_add_u32 s42, s42, 48
	s_addc_u32 s43, s43, 0
	s_waitcnt lgkmcnt(0)
	v_mul_hi_u32 v2, s1, v1
	s_add_i32 s52, s52, 4
	s_add_u32 s44, s44, 16
	s_addc_u32 s45, s45, 0
	v_add_u32_e32 v2, v1, v2
	v_lshrrev_b32_e32 v2, s2, v2
	v_mul_lo_u32 v3, v2, s0
	v_mul_hi_u32 v4, s4, v2
	s_cmp_eq_u32 s50, s52
	v_sub_u32_e32 v1, v1, v3
	v_add_u32_e32 v3, v2, v4
	v_lshrrev_b32_e32 v3, s5, v3
	v_mul_lo_u32 v4, v1, s16
	v_mul_hi_u32 v1, s7, v3
	v_mul_lo_u32 v6, v3, s3
	v_add_u32_e32 v1, v3, v1
	v_lshrrev_b32_e32 v5, s12, v1
	v_mul_hi_u32 v1, s14, v5
	v_sub_u32_e32 v2, v2, v6
	v_mul_lo_u32 v6, v5, s6
	v_mul_lo_u32 v2, v2, s17
	v_add_u32_e32 v1, v5, v1
	v_lshrrev_b32_e32 v1, s15, v1
	v_mul_lo_u32 v8, v1, s13
	v_sub_u32_e32 v3, v3, v6
	v_mul_lo_u32 v3, v3, s18
	v_add3_u32 v0, v4, v0, v2
	v_sub_u32_e32 v5, v5, v8
	v_mul_lo_u32 v5, v5, s19
	v_add3_u32 v0, v3, v0, v5
	s_cbranch_scc0 .LBB157_192
	s_branch .LBB157_212
.LBB157_193:
                                        ; implicit-def: $vgpr0
	s_branch .LBB157_216
.LBB157_194:
	v_mov_b32_e32 v0, 0
	s_branch .LBB157_215
.LBB157_195:
	v_mov_b32_e32 v0, 0
	s_mov_b32 s50, 0
	v_mov_b32_e32 v1, v7
.LBB157_196:
	s_and_b32 s4, s51, 3
	s_cmp_eq_u32 s4, 0
	s_cbranch_scc1 .LBB157_199
; %bb.197:
	s_lshl_b32 s0, s50, 2
	s_add_u32 s0, s20, s0
	s_addc_u32 s1, s21, 0
	s_add_u32 s0, s0, 0xc4
	s_addc_u32 s1, s1, 0
	s_mul_i32 s2, s50, 12
	s_add_u32 s2, s20, s2
	s_addc_u32 s3, s21, 0
.LBB157_198:                            ; =>This Inner Loop Header: Depth=1
	s_load_dwordx2 s[6:7], s[2:3], 0x4
	s_load_dword s5, s[2:3], 0xc
	s_add_u32 s2, s2, 12
	s_addc_u32 s3, s3, 0
	s_waitcnt lgkmcnt(0)
	v_mul_hi_u32 v2, s7, v1
	s_load_dword s7, s[0:1], 0x0
	s_add_u32 s0, s0, 4
	s_addc_u32 s1, s1, 0
	v_add_u32_e32 v2, v1, v2
	v_lshrrev_b32_e32 v2, s5, v2
	v_mul_lo_u32 v3, v2, s6
	s_add_i32 s4, s4, -1
	s_cmp_lg_u32 s4, 0
	v_sub_u32_e32 v1, v1, v3
	s_waitcnt lgkmcnt(0)
	v_mad_u64_u32 v[0:1], s[6:7], v1, s7, v[0:1]
	v_mov_b32_e32 v1, v2
	s_cbranch_scc1 .LBB157_198
.LBB157_199:
	s_cbranch_execnz .LBB157_202
.LBB157_200:
	s_waitcnt lgkmcnt(0)
	v_mul_hi_u32 v0, s9, v7
	s_andn2_b64 vcc, exec, s[34:35]
	v_add_u32_e32 v0, v7, v0
	v_lshrrev_b32_e32 v1, s10, v0
	v_mul_lo_u32 v0, v1, s8
	v_sub_u32_e32 v0, v7, v0
	v_mul_lo_u32 v0, v0, s28
	s_cbranch_vccnz .LBB157_202
; %bb.201:
	v_mul_hi_u32 v2, s30, v1
	v_add_u32_e32 v2, v1, v2
	v_lshrrev_b32_e32 v2, s31, v2
	v_mul_lo_u32 v2, v2, s11
	v_sub_u32_e32 v1, v1, v2
	v_mad_u64_u32 v[0:1], s[0:1], v1, s29, v[0:1]
.LBB157_202:
	s_waitcnt lgkmcnt(0)
	v_mov_b32_e32 v1, s47
	v_add_u32_e32 v7, 0x80, v7
	global_store_short v0, v1, s[26:27]
	s_or_b64 exec, exec, s[40:41]
	v_cmp_gt_i32_e32 vcc, s48, v7
	s_and_saveexec_b64 s[40:41], vcc
	s_cbranch_execnz .LBB157_188
.LBB157_203:
	s_or_b64 exec, exec, s[40:41]
	v_cmp_gt_i32_e32 vcc, s48, v7
	s_and_saveexec_b64 s[40:41], vcc
	s_cbranch_execz .LBB157_219
.LBB157_204:
	s_andn2_b64 vcc, exec, s[22:23]
	s_cbranch_vccnz .LBB157_209
; %bb.205:
	s_andn2_b64 vcc, exec, s[38:39]
	s_cbranch_vccnz .LBB157_210
; %bb.206:
	s_add_i32 s51, s49, 1
	s_cmp_eq_u32 s46, 2
	s_cbranch_scc1 .LBB157_222
; %bb.207:
	s_and_b32 s50, s51, 28
	s_mov_b32 s52, 0
	v_mov_b32_e32 v0, 0
	s_mov_b64 s[42:43], s[20:21]
	s_mov_b64 s[44:45], s[36:37]
	v_mov_b32_e32 v1, v7
.LBB157_208:                            ; =>This Inner Loop Header: Depth=1
	s_load_dwordx8 s[0:7], s[42:43], 0x4
	s_load_dwordx4 s[12:15], s[42:43], 0x24
	s_load_dwordx4 s[16:19], s[44:45], 0x0
	s_add_u32 s42, s42, 48
	s_addc_u32 s43, s43, 0
	s_waitcnt lgkmcnt(0)
	v_mul_hi_u32 v2, s1, v1
	s_add_i32 s52, s52, 4
	s_add_u32 s44, s44, 16
	s_addc_u32 s45, s45, 0
	v_add_u32_e32 v2, v1, v2
	v_lshrrev_b32_e32 v2, s2, v2
	v_mul_lo_u32 v3, v2, s0
	v_mul_hi_u32 v4, s4, v2
	s_cmp_eq_u32 s50, s52
	v_sub_u32_e32 v1, v1, v3
	v_add_u32_e32 v3, v2, v4
	v_lshrrev_b32_e32 v3, s5, v3
	v_mul_lo_u32 v4, v1, s16
	v_mul_hi_u32 v1, s7, v3
	v_mul_lo_u32 v6, v3, s3
	v_add_u32_e32 v1, v3, v1
	v_lshrrev_b32_e32 v5, s12, v1
	v_mul_hi_u32 v1, s14, v5
	v_sub_u32_e32 v2, v2, v6
	v_mul_lo_u32 v6, v5, s6
	v_mul_lo_u32 v2, v2, s17
	v_add_u32_e32 v1, v5, v1
	v_lshrrev_b32_e32 v1, s15, v1
	v_mul_lo_u32 v8, v1, s13
	v_sub_u32_e32 v3, v3, v6
	v_mul_lo_u32 v3, v3, s18
	v_add3_u32 v0, v4, v0, v2
	v_sub_u32_e32 v5, v5, v8
	v_mul_lo_u32 v5, v5, s19
	v_add3_u32 v0, v3, v0, v5
	s_cbranch_scc0 .LBB157_208
	s_branch .LBB157_223
.LBB157_209:
                                        ; implicit-def: $vgpr0
	s_branch .LBB157_227
.LBB157_210:
	v_mov_b32_e32 v0, 0
	s_branch .LBB157_226
.LBB157_211:
	v_mov_b32_e32 v0, 0
	s_mov_b32 s50, 0
	v_mov_b32_e32 v1, v7
.LBB157_212:
	s_and_b32 s4, s51, 3
	s_cmp_eq_u32 s4, 0
	s_cbranch_scc1 .LBB157_215
; %bb.213:
	s_lshl_b32 s0, s50, 2
	s_add_u32 s0, s20, s0
	s_addc_u32 s1, s21, 0
	s_add_u32 s0, s0, 0xc4
	s_addc_u32 s1, s1, 0
	s_mul_i32 s2, s50, 12
	s_add_u32 s2, s20, s2
	s_addc_u32 s3, s21, 0
.LBB157_214:                            ; =>This Inner Loop Header: Depth=1
	s_load_dwordx2 s[6:7], s[2:3], 0x4
	s_load_dword s5, s[2:3], 0xc
	s_add_u32 s2, s2, 12
	s_addc_u32 s3, s3, 0
	s_waitcnt lgkmcnt(0)
	v_mul_hi_u32 v2, s7, v1
	s_load_dword s7, s[0:1], 0x0
	s_add_u32 s0, s0, 4
	s_addc_u32 s1, s1, 0
	v_add_u32_e32 v2, v1, v2
	v_lshrrev_b32_e32 v2, s5, v2
	v_mul_lo_u32 v3, v2, s6
	s_add_i32 s4, s4, -1
	s_cmp_lg_u32 s4, 0
	v_sub_u32_e32 v1, v1, v3
	s_waitcnt lgkmcnt(0)
	v_mad_u64_u32 v[0:1], s[6:7], v1, s7, v[0:1]
	v_mov_b32_e32 v1, v2
	s_cbranch_scc1 .LBB157_214
.LBB157_215:
	s_cbranch_execnz .LBB157_218
.LBB157_216:
	s_waitcnt lgkmcnt(0)
	v_mul_hi_u32 v0, s9, v7
	s_andn2_b64 vcc, exec, s[34:35]
	v_add_u32_e32 v0, v7, v0
	v_lshrrev_b32_e32 v1, s10, v0
	v_mul_lo_u32 v0, v1, s8
	v_sub_u32_e32 v0, v7, v0
	v_mul_lo_u32 v0, v0, s28
	s_cbranch_vccnz .LBB157_218
; %bb.217:
	v_mul_hi_u32 v2, s30, v1
	v_add_u32_e32 v2, v1, v2
	v_lshrrev_b32_e32 v2, s31, v2
	v_mul_lo_u32 v2, v2, s11
	v_sub_u32_e32 v1, v1, v2
	v_mad_u64_u32 v[0:1], s[0:1], v1, s29, v[0:1]
.LBB157_218:
	s_waitcnt lgkmcnt(0)
	v_mov_b32_e32 v1, s47
	v_add_u32_e32 v7, 0x80, v7
	global_store_short v0, v1, s[26:27]
	s_or_b64 exec, exec, s[40:41]
	v_cmp_gt_i32_e32 vcc, s48, v7
	s_and_saveexec_b64 s[40:41], vcc
	s_cbranch_execnz .LBB157_204
.LBB157_219:
	s_or_b64 exec, exec, s[40:41]
	v_cmp_gt_i32_e32 vcc, s48, v7
	s_and_saveexec_b64 s[40:41], vcc
	s_cbranch_execnz .LBB157_230
.LBB157_220:
	s_or_b64 exec, exec, s[40:41]
                                        ; implicit-def: $vgpr9
                                        ; implicit-def: $vgpr7
	s_andn2_saveexec_b64 s[0:1], s[24:25]
	s_cbranch_execnz .LBB157_8
.LBB157_221:
	s_endpgm
.LBB157_222:
	v_mov_b32_e32 v0, 0
	s_mov_b32 s50, 0
	v_mov_b32_e32 v1, v7
.LBB157_223:
	s_and_b32 s4, s51, 3
	s_cmp_eq_u32 s4, 0
	s_cbranch_scc1 .LBB157_226
; %bb.224:
	s_lshl_b32 s0, s50, 2
	s_add_u32 s0, s20, s0
	s_addc_u32 s1, s21, 0
	s_add_u32 s0, s0, 0xc4
	s_addc_u32 s1, s1, 0
	s_mul_i32 s2, s50, 12
	s_add_u32 s2, s20, s2
	s_addc_u32 s3, s21, 0
.LBB157_225:                            ; =>This Inner Loop Header: Depth=1
	s_load_dwordx2 s[6:7], s[2:3], 0x4
	s_load_dword s5, s[2:3], 0xc
	s_add_u32 s2, s2, 12
	s_addc_u32 s3, s3, 0
	s_waitcnt lgkmcnt(0)
	v_mul_hi_u32 v2, s7, v1
	s_load_dword s7, s[0:1], 0x0
	s_add_u32 s0, s0, 4
	s_addc_u32 s1, s1, 0
	v_add_u32_e32 v2, v1, v2
	v_lshrrev_b32_e32 v2, s5, v2
	v_mul_lo_u32 v3, v2, s6
	s_add_i32 s4, s4, -1
	s_cmp_lg_u32 s4, 0
	v_sub_u32_e32 v1, v1, v3
	s_waitcnt lgkmcnt(0)
	v_mad_u64_u32 v[0:1], s[6:7], v1, s7, v[0:1]
	v_mov_b32_e32 v1, v2
	s_cbranch_scc1 .LBB157_225
.LBB157_226:
	s_cbranch_execnz .LBB157_229
.LBB157_227:
	s_waitcnt lgkmcnt(0)
	v_mul_hi_u32 v0, s9, v7
	s_andn2_b64 vcc, exec, s[34:35]
	v_add_u32_e32 v0, v7, v0
	v_lshrrev_b32_e32 v1, s10, v0
	v_mul_lo_u32 v0, v1, s8
	v_sub_u32_e32 v0, v7, v0
	v_mul_lo_u32 v0, v0, s28
	s_cbranch_vccnz .LBB157_229
; %bb.228:
	v_mul_hi_u32 v2, s30, v1
	v_add_u32_e32 v2, v1, v2
	v_lshrrev_b32_e32 v2, s31, v2
	v_mul_lo_u32 v2, v2, s11
	v_sub_u32_e32 v1, v1, v2
	v_mad_u64_u32 v[0:1], s[0:1], v1, s29, v[0:1]
.LBB157_229:
	s_waitcnt lgkmcnt(0)
	v_mov_b32_e32 v1, s47
	v_add_u32_e32 v7, 0x80, v7
	global_store_short v0, v1, s[26:27]
	s_or_b64 exec, exec, s[40:41]
	v_cmp_gt_i32_e32 vcc, s48, v7
	s_and_saveexec_b64 s[40:41], vcc
	s_cbranch_execz .LBB157_220
.LBB157_230:
	s_andn2_b64 vcc, exec, s[22:23]
	s_cbranch_vccnz .LBB157_235
; %bb.231:
	s_andn2_b64 vcc, exec, s[38:39]
	s_cbranch_vccnz .LBB157_236
; %bb.232:
	s_add_i32 s49, s49, 1
	s_cmp_eq_u32 s46, 2
	s_cbranch_scc1 .LBB157_237
; %bb.233:
	s_and_b32 s42, s49, 28
	s_mov_b32 s43, 0
	v_mov_b32_e32 v0, 0
	s_mov_b64 s[38:39], s[20:21]
	v_mov_b32_e32 v1, v7
.LBB157_234:                            ; =>This Inner Loop Header: Depth=1
	s_load_dwordx8 s[0:7], s[38:39], 0x4
	s_load_dwordx4 s[12:15], s[38:39], 0x24
	s_load_dwordx4 s[16:19], s[36:37], 0x0
	s_add_u32 s38, s38, 48
	s_addc_u32 s39, s39, 0
	s_waitcnt lgkmcnt(0)
	v_mul_hi_u32 v2, s1, v1
	s_add_i32 s43, s43, 4
	s_add_u32 s36, s36, 16
	s_addc_u32 s37, s37, 0
	v_add_u32_e32 v2, v1, v2
	v_lshrrev_b32_e32 v2, s2, v2
	v_mul_lo_u32 v3, v2, s0
	v_mul_hi_u32 v4, s4, v2
	s_cmp_eq_u32 s42, s43
	v_sub_u32_e32 v1, v1, v3
	v_add_u32_e32 v3, v2, v4
	v_lshrrev_b32_e32 v3, s5, v3
	v_mul_lo_u32 v4, v1, s16
	v_mul_hi_u32 v1, s7, v3
	v_mul_lo_u32 v6, v3, s3
	v_add_u32_e32 v1, v3, v1
	v_lshrrev_b32_e32 v5, s12, v1
	v_mul_hi_u32 v1, s14, v5
	v_sub_u32_e32 v2, v2, v6
	v_mul_lo_u32 v6, v5, s6
	v_mul_lo_u32 v2, v2, s17
	v_add_u32_e32 v1, v5, v1
	v_lshrrev_b32_e32 v1, s15, v1
	v_mul_lo_u32 v8, v1, s13
	v_sub_u32_e32 v3, v3, v6
	v_mul_lo_u32 v3, v3, s18
	v_add3_u32 v0, v4, v0, v2
	v_sub_u32_e32 v5, v5, v8
	v_mul_lo_u32 v5, v5, s19
	v_add3_u32 v0, v3, v0, v5
	s_cbranch_scc0 .LBB157_234
	s_branch .LBB157_238
.LBB157_235:
                                        ; implicit-def: $vgpr0
	s_branch .LBB157_242
.LBB157_236:
	v_mov_b32_e32 v0, 0
	s_branch .LBB157_241
.LBB157_237:
	v_mov_b32_e32 v0, 0
	s_mov_b32 s42, 0
	v_mov_b32_e32 v1, v7
.LBB157_238:
	s_and_b32 s4, s49, 3
	s_cmp_eq_u32 s4, 0
	s_cbranch_scc1 .LBB157_241
; %bb.239:
	s_lshl_b32 s0, s42, 2
	s_add_u32 s0, s20, s0
	s_addc_u32 s1, s21, 0
	s_add_u32 s0, s0, 0xc4
	s_addc_u32 s1, s1, 0
	s_mul_i32 s2, s42, 12
	s_add_u32 s2, s20, s2
	s_addc_u32 s3, s21, 0
.LBB157_240:                            ; =>This Inner Loop Header: Depth=1
	s_load_dwordx2 s[6:7], s[2:3], 0x4
	s_load_dword s5, s[2:3], 0xc
	s_add_u32 s2, s2, 12
	s_addc_u32 s3, s3, 0
	s_waitcnt lgkmcnt(0)
	v_mul_hi_u32 v2, s7, v1
	s_load_dword s7, s[0:1], 0x0
	s_add_u32 s0, s0, 4
	s_addc_u32 s1, s1, 0
	v_add_u32_e32 v2, v1, v2
	v_lshrrev_b32_e32 v2, s5, v2
	v_mul_lo_u32 v3, v2, s6
	s_add_i32 s4, s4, -1
	s_cmp_lg_u32 s4, 0
	v_sub_u32_e32 v1, v1, v3
	s_waitcnt lgkmcnt(0)
	v_mad_u64_u32 v[0:1], s[6:7], v1, s7, v[0:1]
	v_mov_b32_e32 v1, v2
	s_cbranch_scc1 .LBB157_240
.LBB157_241:
	s_cbranch_execnz .LBB157_244
.LBB157_242:
	s_waitcnt lgkmcnt(0)
	v_mul_hi_u32 v0, s9, v7
	s_andn2_b64 vcc, exec, s[34:35]
	v_add_u32_e32 v0, v7, v0
	v_lshrrev_b32_e32 v1, s10, v0
	v_mul_lo_u32 v0, v1, s8
	v_sub_u32_e32 v0, v7, v0
	v_mul_lo_u32 v0, v0, s28
	s_cbranch_vccnz .LBB157_244
; %bb.243:
	v_mul_hi_u32 v2, s30, v1
	v_add_u32_e32 v2, v1, v2
	v_lshrrev_b32_e32 v2, s31, v2
	v_mul_lo_u32 v2, v2, s11
	v_sub_u32_e32 v1, v1, v2
	v_mad_u64_u32 v[0:1], s[0:1], v1, s29, v[0:1]
.LBB157_244:
	s_waitcnt lgkmcnt(0)
	v_mov_b32_e32 v1, s47
	global_store_short v0, v1, s[26:27]
	s_or_b64 exec, exec, s[40:41]
                                        ; implicit-def: $vgpr9
                                        ; implicit-def: $vgpr7
	s_andn2_saveexec_b64 s[0:1], s[24:25]
	s_cbranch_execz .LBB157_221
	s_branch .LBB157_8
	.section	.rodata,"a",@progbits
	.p2align	6, 0x0
	.amdhsa_kernel _ZN2at6native32elementwise_kernel_manual_unrollILi128ELi8EZNS0_22gpu_kernel_impl_nocastINS0_11FillFunctorItEEEEvRNS_18TensorIteratorBaseERKT_EUlibE_EEviT1_
		.amdhsa_group_segment_fixed_size 0
		.amdhsa_private_segment_fixed_size 0
		.amdhsa_kernarg_size 288
		.amdhsa_user_sgpr_count 6
		.amdhsa_user_sgpr_private_segment_buffer 1
		.amdhsa_user_sgpr_dispatch_ptr 0
		.amdhsa_user_sgpr_queue_ptr 0
		.amdhsa_user_sgpr_kernarg_segment_ptr 1
		.amdhsa_user_sgpr_dispatch_id 0
		.amdhsa_user_sgpr_flat_scratch_init 0
		.amdhsa_user_sgpr_private_segment_size 0
		.amdhsa_uses_dynamic_stack 0
		.amdhsa_system_sgpr_private_segment_wavefront_offset 0
		.amdhsa_system_sgpr_workgroup_id_x 1
		.amdhsa_system_sgpr_workgroup_id_y 0
		.amdhsa_system_sgpr_workgroup_id_z 0
		.amdhsa_system_sgpr_workgroup_info 0
		.amdhsa_system_vgpr_workitem_id 0
		.amdhsa_next_free_vgpr 16
		.amdhsa_next_free_sgpr 53
		.amdhsa_reserve_vcc 1
		.amdhsa_reserve_flat_scratch 0
		.amdhsa_float_round_mode_32 0
		.amdhsa_float_round_mode_16_64 0
		.amdhsa_float_denorm_mode_32 3
		.amdhsa_float_denorm_mode_16_64 3
		.amdhsa_dx10_clamp 1
		.amdhsa_ieee_mode 1
		.amdhsa_fp16_overflow 0
		.amdhsa_exception_fp_ieee_invalid_op 0
		.amdhsa_exception_fp_denorm_src 0
		.amdhsa_exception_fp_ieee_div_zero 0
		.amdhsa_exception_fp_ieee_overflow 0
		.amdhsa_exception_fp_ieee_underflow 0
		.amdhsa_exception_fp_ieee_inexact 0
		.amdhsa_exception_int_div_zero 0
	.end_amdhsa_kernel
	.section	.text._ZN2at6native32elementwise_kernel_manual_unrollILi128ELi8EZNS0_22gpu_kernel_impl_nocastINS0_11FillFunctorItEEEEvRNS_18TensorIteratorBaseERKT_EUlibE_EEviT1_,"axG",@progbits,_ZN2at6native32elementwise_kernel_manual_unrollILi128ELi8EZNS0_22gpu_kernel_impl_nocastINS0_11FillFunctorItEEEEvRNS_18TensorIteratorBaseERKT_EUlibE_EEviT1_,comdat
.Lfunc_end157:
	.size	_ZN2at6native32elementwise_kernel_manual_unrollILi128ELi8EZNS0_22gpu_kernel_impl_nocastINS0_11FillFunctorItEEEEvRNS_18TensorIteratorBaseERKT_EUlibE_EEviT1_, .Lfunc_end157-_ZN2at6native32elementwise_kernel_manual_unrollILi128ELi8EZNS0_22gpu_kernel_impl_nocastINS0_11FillFunctorItEEEEvRNS_18TensorIteratorBaseERKT_EUlibE_EEviT1_
                                        ; -- End function
	.set _ZN2at6native32elementwise_kernel_manual_unrollILi128ELi8EZNS0_22gpu_kernel_impl_nocastINS0_11FillFunctorItEEEEvRNS_18TensorIteratorBaseERKT_EUlibE_EEviT1_.num_vgpr, 16
	.set _ZN2at6native32elementwise_kernel_manual_unrollILi128ELi8EZNS0_22gpu_kernel_impl_nocastINS0_11FillFunctorItEEEEvRNS_18TensorIteratorBaseERKT_EUlibE_EEviT1_.num_agpr, 0
	.set _ZN2at6native32elementwise_kernel_manual_unrollILi128ELi8EZNS0_22gpu_kernel_impl_nocastINS0_11FillFunctorItEEEEvRNS_18TensorIteratorBaseERKT_EUlibE_EEviT1_.numbered_sgpr, 53
	.set _ZN2at6native32elementwise_kernel_manual_unrollILi128ELi8EZNS0_22gpu_kernel_impl_nocastINS0_11FillFunctorItEEEEvRNS_18TensorIteratorBaseERKT_EUlibE_EEviT1_.num_named_barrier, 0
	.set _ZN2at6native32elementwise_kernel_manual_unrollILi128ELi8EZNS0_22gpu_kernel_impl_nocastINS0_11FillFunctorItEEEEvRNS_18TensorIteratorBaseERKT_EUlibE_EEviT1_.private_seg_size, 0
	.set _ZN2at6native32elementwise_kernel_manual_unrollILi128ELi8EZNS0_22gpu_kernel_impl_nocastINS0_11FillFunctorItEEEEvRNS_18TensorIteratorBaseERKT_EUlibE_EEviT1_.uses_vcc, 1
	.set _ZN2at6native32elementwise_kernel_manual_unrollILi128ELi8EZNS0_22gpu_kernel_impl_nocastINS0_11FillFunctorItEEEEvRNS_18TensorIteratorBaseERKT_EUlibE_EEviT1_.uses_flat_scratch, 0
	.set _ZN2at6native32elementwise_kernel_manual_unrollILi128ELi8EZNS0_22gpu_kernel_impl_nocastINS0_11FillFunctorItEEEEvRNS_18TensorIteratorBaseERKT_EUlibE_EEviT1_.has_dyn_sized_stack, 0
	.set _ZN2at6native32elementwise_kernel_manual_unrollILi128ELi8EZNS0_22gpu_kernel_impl_nocastINS0_11FillFunctorItEEEEvRNS_18TensorIteratorBaseERKT_EUlibE_EEviT1_.has_recursion, 0
	.set _ZN2at6native32elementwise_kernel_manual_unrollILi128ELi8EZNS0_22gpu_kernel_impl_nocastINS0_11FillFunctorItEEEEvRNS_18TensorIteratorBaseERKT_EUlibE_EEviT1_.has_indirect_call, 0
	.section	.AMDGPU.csdata,"",@progbits
; Kernel info:
; codeLenInByte = 9820
; TotalNumSgprs: 57
; NumVgprs: 16
; ScratchSize: 0
; MemoryBound: 0
; FloatMode: 240
; IeeeMode: 1
; LDSByteSize: 0 bytes/workgroup (compile time only)
; SGPRBlocks: 7
; VGPRBlocks: 3
; NumSGPRsForWavesPerEU: 57
; NumVGPRsForWavesPerEU: 16
; Occupancy: 10
; WaveLimiterHint : 1
; COMPUTE_PGM_RSRC2:SCRATCH_EN: 0
; COMPUTE_PGM_RSRC2:USER_SGPR: 6
; COMPUTE_PGM_RSRC2:TRAP_HANDLER: 0
; COMPUTE_PGM_RSRC2:TGID_X_EN: 1
; COMPUTE_PGM_RSRC2:TGID_Y_EN: 0
; COMPUTE_PGM_RSRC2:TGID_Z_EN: 0
; COMPUTE_PGM_RSRC2:TIDIG_COMP_CNT: 0
	.section	.text._ZN2at6native32elementwise_kernel_manual_unrollILi128ELi4EZNS0_15gpu_kernel_implINS0_11FillFunctorItEEEEvRNS_18TensorIteratorBaseERKT_EUlibE_EEviT1_,"axG",@progbits,_ZN2at6native32elementwise_kernel_manual_unrollILi128ELi4EZNS0_15gpu_kernel_implINS0_11FillFunctorItEEEEvRNS_18TensorIteratorBaseERKT_EUlibE_EEviT1_,comdat
	.protected	_ZN2at6native32elementwise_kernel_manual_unrollILi128ELi4EZNS0_15gpu_kernel_implINS0_11FillFunctorItEEEEvRNS_18TensorIteratorBaseERKT_EUlibE_EEviT1_ ; -- Begin function _ZN2at6native32elementwise_kernel_manual_unrollILi128ELi4EZNS0_15gpu_kernel_implINS0_11FillFunctorItEEEEvRNS_18TensorIteratorBaseERKT_EUlibE_EEviT1_
	.globl	_ZN2at6native32elementwise_kernel_manual_unrollILi128ELi4EZNS0_15gpu_kernel_implINS0_11FillFunctorItEEEEvRNS_18TensorIteratorBaseERKT_EUlibE_EEviT1_
	.p2align	8
	.type	_ZN2at6native32elementwise_kernel_manual_unrollILi128ELi4EZNS0_15gpu_kernel_implINS0_11FillFunctorItEEEEvRNS_18TensorIteratorBaseERKT_EUlibE_EEviT1_,@function
_ZN2at6native32elementwise_kernel_manual_unrollILi128ELi4EZNS0_15gpu_kernel_implINS0_11FillFunctorItEEEEvRNS_18TensorIteratorBaseERKT_EUlibE_EEviT1_: ; @_ZN2at6native32elementwise_kernel_manual_unrollILi128ELi4EZNS0_15gpu_kernel_implINS0_11FillFunctorItEEEEvRNS_18TensorIteratorBaseERKT_EUlibE_EEviT1_
; %bb.0:
	s_load_dwordx4 s[20:23], s[4:5], 0x8
	s_load_dword s50, s[4:5], 0x0
	v_lshl_or_b32 v22, s6, 9, v0
	v_or_b32_e32 v0, 0x180, v22
	s_mov_b64 s[18:19], 0
	s_waitcnt lgkmcnt(0)
	s_lshr_b32 s33, s23, 16
	v_cmp_le_i32_e32 vcc, s50, v0
	s_mov_b64 s[0:1], 0
	s_and_saveexec_b64 s[2:3], vcc
	s_xor_b64 s[24:25], exec, s[2:3]
	s_cbranch_execz .LBB158_404
; %bb.1:
	s_and_b32 s26, 0xffff, s23
	v_cvt_f32_u32_e32 v4, s26
	s_movk_i32 s0, 0xff
	s_mov_b32 s2, 0x47800000
	v_mov_b32_e32 v3, 0x7e
	v_and_b32_e32 v1, 0x400000, v4
	v_lshrrev_b32_e32 v0, 23, v4
	v_cmp_ne_u32_e32 vcc, 0, v1
	v_and_b32_e32 v1, 0x3fffff, v4
	v_or_b32_e32 v1, v0, v1
	v_cmp_eq_u32_e64 s[16:17], s0, v0
	v_cmp_ne_u32_e64 s[0:1], 0, v1
	s_and_b64 s[0:1], vcc, s[0:1]
	v_cndmask_b32_e64 v1, 0, 1, s[0:1]
	s_mov_b32 s0, 0x43800000
	v_cmp_gt_u32_e64 s[14:15], s0, v4
	s_mov_b32 s0, 0x3bffffff
	v_add_f32_e32 v20, 0x46000000, v4
	v_add_u32_e32 v21, v0, v1
	v_cmp_lt_u32_e64 s[12:13], s0, v4
	v_bfe_u32 v0, v4, 20, 1
	v_readfirstlane_b32 s0, v20
	v_add_u32_e32 v0, v4, v0
	s_and_b32 s0, s0, 0xff
	v_cmp_gt_u32_e64 s[10:11], s2, v4
	s_mov_b32 s2, 0x37ffffff
	v_add_f32_e32 v17, 0x42800000, v4
	v_add_u32_e32 v1, 0x487ffff, v0
	s_cmp_lg_u32 s0, 0
	v_cmp_lt_u32_e64 s[8:9], s2, v4
	v_readfirstlane_b32 s2, v17
	v_lshrrev_b32_e32 v19, 20, v1
	s_cselect_b64 s[30:31], -1, 0
	v_bfe_u32 v1, v4, 21, 1
	s_and_b32 s2, s2, 0xff
	v_add_u32_e32 v1, v4, v1
	s_cmp_lg_u32 s2, 0
	s_mov_b32 s2, 0x43efffff
	v_add_u32_e32 v2, 0x88fffff, v1
	v_cmp_lt_u32_e64 s[4:5], s2, v4
	s_mov_b32 s2, 0x3c800000
	v_add_u32_e32 v0, 0x407ffff, v0
	v_lshrrev_b32_e32 v16, 21, v2
	v_cmp_gt_u32_e64 s[6:7], s2, v4
	v_lshrrev_b32_e32 v2, 20, v0
	v_and_b32_e32 v0, 0xff00000, v0
	s_mov_b32 s2, 0x7f00000
	v_cmp_ne_u32_e32 vcc, s2, v0
	v_add_u32_e32 v0, 0x80fffff, v1
	s_mov_b32 s34, 0x7f800000
	v_cndmask_b32_e32 v14, v3, v2, vcc
	v_lshrrev_b32_e32 v11, 21, v0
	v_mov_b32_e32 v0, 0x7f
	v_cmp_lt_u32_e32 vcc, s34, v4
	v_mov_b32_e32 v1, 0x7c
	v_cndmask_b32_e32 v18, v3, v0, vcc
	v_cndmask_b32_e32 v13, v1, v0, vcc
	v_bfe_u32 v0, v4, 16, 1
	v_add_u32_e32 v0, v4, v0
	v_add_u32_e32 v0, 0x7fff, v0
	v_lshrrev_b32_e32 v10, 16, v0
	v_cvt_f64_u32_e32 v[0:1], s26
	s_cselect_b64 s[28:29], -1, 0
	s_cmp_lg_u32 s26, 0
	s_mov_b32 s0, 0x477fffff
	s_mov_b32 s2, 0x38800000
	s_cselect_b64 s[34:35], -1, 0
	s_mov_b32 s27, 0
	v_cmp_lt_u32_e64 s[0:1], s0, v4
	v_add_f32_e32 v15, 0x46800000, v4
	v_cmp_gt_u32_e64 s[2:3], s2, v4
	v_add_f32_e32 v12, 0x43000000, v4
	v_cndmask_b32_e64 v9, 0, 1, s[34:35]
	v_cmp_gt_i32_e32 vcc, s50, v22
	s_mov_b64 s[38:39], -1
	s_mov_b64 s[40:41], 0
	s_mov_b64 s[34:35], 0
	v_cvt_f16_u16_e32 v8, s23
	s_and_saveexec_b64 s[36:37], vcc
	s_cbranch_execz .LBB158_100
; %bb.2:
	v_mul_lo_u32 v2, v22, s22
	v_mov_b32_e32 v3, s21
	s_and_b32 s44, s33, 0xff
	s_cmp_lt_i32 s44, 11
	v_ashrrev_i32_e32 v5, 31, v2
	v_add_co_u32_e32 v6, vcc, s20, v2
	v_addc_co_u32_e32 v7, vcc, v3, v5, vcc
	s_cbranch_scc1 .LBB158_9
; %bb.3:
	s_and_b32 s45, 0xffff, s44
	s_cmp_gt_i32 s45, 25
	s_cbranch_scc0 .LBB158_12
; %bb.4:
	s_cmp_gt_i32 s45, 28
	s_cbranch_scc0 .LBB158_13
; %bb.5:
	;; [unrolled: 3-line block ×4, first 2 shown]
	s_mov_b64 s[42:43], 0
	s_mov_b64 s[34:35], -1
	s_cmp_eq_u32 s45, 46
	s_mov_b64 s[38:39], 0
	s_cbranch_scc0 .LBB158_16
; %bb.8:
	global_store_dword v[6:7], v10, off
	s_mov_b64 s[38:39], -1
	s_mov_b64 s[34:35], 0
	s_branch .LBB158_16
.LBB158_9:
	s_mov_b64 s[38:39], 0
	s_cbranch_execnz .LBB158_60
.LBB158_10:
	s_andn2_b64 vcc, exec, s[38:39]
	s_cbranch_vccnz .LBB158_98
.LBB158_11:
	v_add_u32_e32 v22, 0x80, v22
	s_mov_b64 s[38:39], -1
	s_branch .LBB158_99
.LBB158_12:
	s_mov_b64 s[38:39], 0
	s_cbranch_execnz .LBB158_38
	s_branch .LBB158_59
.LBB158_13:
	s_mov_b64 s[42:43], -1
	s_mov_b64 s[38:39], 0
	s_branch .LBB158_24
.LBB158_14:
	s_mov_b64 s[42:43], -1
	s_mov_b64 s[38:39], 0
	s_branch .LBB158_20
.LBB158_15:
	s_mov_b64 s[42:43], -1
	s_mov_b64 s[38:39], 0
.LBB158_16:
	s_and_b64 vcc, exec, s[42:43]
	s_cbranch_vccz .LBB158_19
; %bb.17:
	s_cmp_eq_u32 s45, 44
	s_mov_b64 s[34:35], -1
	s_cbranch_scc0 .LBB158_19
; %bb.18:
	v_mov_b32_e32 v2, 0xffff
	v_cndmask_b32_e64 v2, v21, v2, s[16:17]
	global_store_byte v[6:7], v2, off
	s_mov_b64 s[38:39], -1
	s_mov_b64 s[34:35], 0
.LBB158_19:
	s_mov_b64 s[42:43], 0
.LBB158_20:
	s_and_b64 vcc, exec, s[42:43]
	s_cbranch_vccz .LBB158_23
; %bb.21:
	s_cmp_eq_u32 s45, 29
	s_mov_b64 s[34:35], -1
	s_cbranch_scc0 .LBB158_23
; %bb.22:
	v_mov_b32_e32 v2, s26
	v_mov_b32_e32 v3, s27
	global_store_dwordx2 v[6:7], v[2:3], off
	s_mov_b64 s[38:39], -1
	s_mov_b64 s[34:35], 0
.LBB158_23:
	s_mov_b64 s[42:43], 0
.LBB158_24:
	s_and_b64 vcc, exec, s[42:43]
	s_cbranch_vccz .LBB158_37
; %bb.25:
	s_cmp_lt_i32 s45, 27
	s_mov_b64 s[38:39], -1
	s_cbranch_scc1 .LBB158_31
; %bb.26:
	s_cmp_gt_i32 s45, 27
	s_cbranch_scc0 .LBB158_28
; %bb.27:
	v_mov_b32_e32 v2, s26
	s_mov_b64 s[38:39], 0
	global_store_dword v[6:7], v2, off
.LBB158_28:
	s_andn2_b64 vcc, exec, s[38:39]
	s_cbranch_vccnz .LBB158_30
; %bb.29:
	v_mov_b32_e32 v2, s23
	global_store_short v[6:7], v2, off
.LBB158_30:
	s_mov_b64 s[38:39], 0
.LBB158_31:
	s_andn2_b64 vcc, exec, s[38:39]
	s_cbranch_vccnz .LBB158_36
; %bb.32:
	s_andn2_b64 vcc, exec, s[14:15]
	v_mov_b32_e32 v2, 0x80
	s_cbranch_vccnz .LBB158_35
; %bb.33:
	s_or_b64 s[38:39], s[12:13], s[30:31]
	s_andn2_b64 vcc, exec, s[38:39]
	v_mov_b32_e32 v2, 0
	s_cbranch_vccnz .LBB158_35
; %bb.34:
	v_cndmask_b32_e64 v2, v20, v19, s[12:13]
.LBB158_35:
	global_store_byte v[6:7], v2, off
.LBB158_36:
	s_mov_b64 s[38:39], -1
.LBB158_37:
	s_branch .LBB158_59
.LBB158_38:
	s_cmp_gt_i32 s45, 22
	s_mov_b64 s[42:43], -1
	s_cbranch_scc0 .LBB158_51
; %bb.39:
	s_cmp_lt_i32 s45, 24
	s_mov_b64 s[38:39], -1
	s_cbranch_scc1 .LBB158_48
; %bb.40:
	s_cmp_gt_i32 s45, 24
	s_cbranch_scc0 .LBB158_45
; %bb.41:
	s_andn2_b64 vcc, exec, s[10:11]
	v_mov_b32_e32 v2, 0x80
	s_cbranch_vccnz .LBB158_44
; %bb.42:
	s_or_b64 s[38:39], s[8:9], s[28:29]
	s_andn2_b64 vcc, exec, s[38:39]
	v_mov_b32_e32 v2, 0
	s_cbranch_vccnz .LBB158_44
; %bb.43:
	v_cndmask_b32_e64 v2, v17, v16, s[8:9]
.LBB158_44:
	s_mov_b64 s[38:39], 0
	global_store_byte v[6:7], v2, off
.LBB158_45:
	s_and_b64 vcc, exec, s[38:39]
	s_cbranch_vccz .LBB158_47
; %bb.46:
	v_cndmask_b32_e64 v2, v14, v15, s[6:7]
	v_cndmask_b32_e64 v2, v2, v18, s[4:5]
	global_store_byte v[6:7], v2, off
.LBB158_47:
	s_mov_b64 s[38:39], 0
.LBB158_48:
	s_andn2_b64 vcc, exec, s[38:39]
	s_cbranch_vccnz .LBB158_50
; %bb.49:
	v_cndmask_b32_e64 v2, v11, v12, s[2:3]
	v_cndmask_b32_e64 v2, v2, v13, s[0:1]
	global_store_byte v[6:7], v2, off
.LBB158_50:
	s_mov_b64 s[42:43], 0
	s_mov_b64 s[38:39], -1
.LBB158_51:
	s_andn2_b64 vcc, exec, s[42:43]
	s_cbranch_vccnz .LBB158_59
; %bb.52:
	s_cmp_gt_i32 s45, 14
	s_mov_b64 s[42:43], -1
	s_cbranch_scc0 .LBB158_56
; %bb.53:
	s_cmp_eq_u32 s45, 15
	s_mov_b64 s[34:35], -1
	s_cbranch_scc0 .LBB158_55
; %bb.54:
	global_store_short v[6:7], v10, off
	s_mov_b64 s[38:39], -1
	s_mov_b64 s[34:35], 0
.LBB158_55:
	s_mov_b64 s[42:43], 0
.LBB158_56:
	s_and_b64 vcc, exec, s[42:43]
	s_cbranch_vccz .LBB158_59
; %bb.57:
	s_cmp_eq_u32 s45, 11
	s_mov_b64 s[34:35], -1
	s_cbranch_scc0 .LBB158_59
; %bb.58:
	s_mov_b64 s[38:39], -1
	s_mov_b64 s[34:35], 0
	global_store_byte v[6:7], v9, off
.LBB158_59:
	s_branch .LBB158_10
.LBB158_60:
	s_and_b32 s42, 0xffff, s44
	s_cmp_lt_i32 s42, 5
	s_mov_b64 s[38:39], -1
	s_cbranch_scc1 .LBB158_81
; %bb.61:
	s_cmp_lt_i32 s42, 8
	s_cbranch_scc1 .LBB158_71
; %bb.62:
	s_cmp_lt_i32 s42, 9
	s_cbranch_scc1 .LBB158_68
; %bb.63:
	s_cmp_gt_i32 s42, 9
	s_cbranch_scc0 .LBB158_65
; %bb.64:
	v_mov_b32_e32 v2, 0
	v_mov_b32_e32 v3, v2
	global_store_dwordx4 v[6:7], v[0:3], off
	s_mov_b64 s[38:39], 0
.LBB158_65:
	s_andn2_b64 vcc, exec, s[38:39]
	s_cbranch_vccnz .LBB158_67
; %bb.66:
	v_mov_b32_e32 v5, 0
	global_store_dwordx2 v[6:7], v[4:5], off
.LBB158_67:
	s_mov_b64 s[38:39], 0
.LBB158_68:
	s_andn2_b64 vcc, exec, s[38:39]
	s_cbranch_vccnz .LBB158_70
; %bb.69:
	global_store_dword v[6:7], v8, off
.LBB158_70:
	s_mov_b64 s[38:39], 0
.LBB158_71:
	s_andn2_b64 vcc, exec, s[38:39]
	s_cbranch_vccnz .LBB158_80
; %bb.72:
	s_cmp_lt_i32 s42, 6
	s_mov_b64 s[38:39], -1
	s_cbranch_scc1 .LBB158_78
; %bb.73:
	s_cmp_gt_i32 s42, 6
	s_cbranch_scc0 .LBB158_75
; %bb.74:
	global_store_dwordx2 v[6:7], v[0:1], off
	s_mov_b64 s[38:39], 0
.LBB158_75:
	s_andn2_b64 vcc, exec, s[38:39]
	s_cbranch_vccnz .LBB158_77
; %bb.76:
	global_store_dword v[6:7], v4, off
.LBB158_77:
	s_mov_b64 s[38:39], 0
.LBB158_78:
	s_andn2_b64 vcc, exec, s[38:39]
	s_cbranch_vccnz .LBB158_80
; %bb.79:
	global_store_short v[6:7], v8, off
.LBB158_80:
	s_mov_b64 s[38:39], 0
.LBB158_81:
	s_andn2_b64 vcc, exec, s[38:39]
	s_cbranch_vccnz .LBB158_97
; %bb.82:
	s_cmp_lt_i32 s42, 2
	s_mov_b64 s[38:39], -1
	s_cbranch_scc1 .LBB158_92
; %bb.83:
	s_cmp_lt_i32 s42, 3
	s_cbranch_scc1 .LBB158_89
; %bb.84:
	s_cmp_gt_i32 s42, 3
	s_cbranch_scc0 .LBB158_86
; %bb.85:
	v_mov_b32_e32 v2, s26
	v_mov_b32_e32 v3, s27
	global_store_dwordx2 v[6:7], v[2:3], off
	s_mov_b64 s[38:39], 0
.LBB158_86:
	s_andn2_b64 vcc, exec, s[38:39]
	s_cbranch_vccnz .LBB158_88
; %bb.87:
	v_mov_b32_e32 v2, s26
	global_store_dword v[6:7], v2, off
.LBB158_88:
	s_mov_b64 s[38:39], 0
.LBB158_89:
	s_andn2_b64 vcc, exec, s[38:39]
	s_cbranch_vccnz .LBB158_91
; %bb.90:
	v_mov_b32_e32 v2, s23
	global_store_short v[6:7], v2, off
.LBB158_91:
	s_mov_b64 s[38:39], 0
.LBB158_92:
	s_andn2_b64 vcc, exec, s[38:39]
	s_cbranch_vccnz .LBB158_97
; %bb.93:
	s_cmp_gt_i32 s42, 0
	s_mov_b64 s[38:39], -1
	s_cbranch_scc0 .LBB158_95
; %bb.94:
	v_mov_b32_e32 v2, s23
	global_store_byte v[6:7], v2, off
	s_mov_b64 s[38:39], 0
.LBB158_95:
	s_andn2_b64 vcc, exec, s[38:39]
	s_cbranch_vccnz .LBB158_97
; %bb.96:
	v_mov_b32_e32 v2, s23
	global_store_byte v[6:7], v2, off
.LBB158_97:
	s_branch .LBB158_11
.LBB158_98:
	s_mov_b64 s[38:39], 0
                                        ; implicit-def: $vgpr22
.LBB158_99:
	s_and_b64 s[34:35], s[34:35], exec
	s_orn2_b64 s[38:39], s[38:39], exec
.LBB158_100:
	s_or_b64 exec, exec, s[36:37]
	s_mov_b64 s[42:43], 0
                                        ; implicit-def: $sgpr54
                                        ; implicit-def: $vgpr6_vgpr7
	s_and_saveexec_b64 s[36:37], s[38:39]
	s_cbranch_execz .LBB158_109
; %bb.101:
	v_cmp_gt_i32_e32 vcc, s50, v22
	s_mov_b64 s[44:45], -1
	s_mov_b64 s[38:39], s[34:35]
	s_and_saveexec_b64 s[40:41], vcc
	s_cbranch_execz .LBB158_204
; %bb.102:
	v_mul_lo_u32 v2, v22, s22
	v_mov_b32_e32 v3, s21
	s_and_b32 s46, s33, 0xff
	s_cmp_lt_i32 s46, 11
	v_ashrrev_i32_e32 v5, 31, v2
	v_add_co_u32_e32 v6, vcc, s20, v2
	v_addc_co_u32_e32 v7, vcc, v3, v5, vcc
	s_cbranch_scc1 .LBB158_112
; %bb.103:
	s_and_b32 s47, 0xffff, s46
	s_cmp_gt_i32 s47, 25
	s_cbranch_scc0 .LBB158_115
; %bb.104:
	s_cmp_gt_i32 s47, 28
	s_cbranch_scc0 .LBB158_116
; %bb.105:
	;; [unrolled: 3-line block ×4, first 2 shown]
	s_mov_b64 s[44:45], 0
	s_mov_b64 s[38:39], -1
	s_cmp_eq_u32 s47, 46
	s_cbranch_scc0 .LBB158_119
; %bb.108:
	global_store_dword v[6:7], v10, off
	s_mov_b64 s[42:43], -1
	s_mov_b64 s[38:39], 0
	s_branch .LBB158_119
.LBB158_109:
	s_or_b64 exec, exec, s[36:37]
	s_mov_b64 s[0:1], 0
	s_and_saveexec_b64 s[2:3], s[34:35]
	s_cbranch_execnz .LBB158_364
.LBB158_110:
	s_or_b64 exec, exec, s[2:3]
	s_and_saveexec_b64 s[2:3], s[40:41]
	s_xor_b64 s[2:3], exec, s[2:3]
	s_cbranch_execz .LBB158_365
.LBB158_111:
	global_store_byte v[6:7], v9, off
	s_or_b64 exec, exec, s[2:3]
	s_and_saveexec_b64 s[2:3], s[42:43]
	s_xor_b64 s[2:3], exec, s[2:3]
	s_cbranch_execz .LBB158_403
	s_branch .LBB158_366
.LBB158_112:
	s_mov_b64 s[38:39], s[34:35]
	s_and_b64 vcc, exec, s[44:45]
	s_cbranch_vccnz .LBB158_164
.LBB158_113:
	s_andn2_b64 vcc, exec, s[42:43]
	s_cbranch_vccnz .LBB158_202
.LBB158_114:
	v_add_u32_e32 v22, 0x80, v22
	s_mov_b64 s[42:43], -1
	s_branch .LBB158_203
.LBB158_115:
	s_mov_b64 s[38:39], s[34:35]
	s_branch .LBB158_141
.LBB158_116:
	s_mov_b64 s[38:39], s[34:35]
	s_branch .LBB158_127
.LBB158_117:
	s_mov_b64 s[38:39], s[34:35]
	s_branch .LBB158_123
.LBB158_118:
	s_mov_b64 s[38:39], s[34:35]
.LBB158_119:
	s_and_b64 vcc, exec, s[44:45]
	s_cbranch_vccz .LBB158_122
; %bb.120:
	s_cmp_eq_u32 s47, 44
	s_mov_b64 s[38:39], -1
	s_cbranch_scc0 .LBB158_122
; %bb.121:
	v_mov_b32_e32 v2, 0xffff
	v_cndmask_b32_e64 v2, v21, v2, s[16:17]
	s_mov_b64 s[42:43], -1
	s_mov_b64 s[38:39], 0
	global_store_byte v[6:7], v2, off
.LBB158_122:
	s_mov_b64 s[44:45], 0
.LBB158_123:
	s_and_b64 vcc, exec, s[44:45]
	s_cbranch_vccz .LBB158_126
; %bb.124:
	s_cmp_eq_u32 s47, 29
	s_mov_b64 s[38:39], -1
	s_cbranch_scc0 .LBB158_126
; %bb.125:
	v_mov_b32_e32 v2, s26
	v_mov_b32_e32 v3, s27
	global_store_dwordx2 v[6:7], v[2:3], off
	s_mov_b64 s[42:43], -1
	s_mov_b64 s[38:39], 0
.LBB158_126:
	s_mov_b64 s[44:45], 0
.LBB158_127:
	s_and_b64 vcc, exec, s[44:45]
	s_cbranch_vccz .LBB158_140
; %bb.128:
	s_cmp_lt_i32 s47, 27
	s_mov_b64 s[42:43], -1
	s_cbranch_scc1 .LBB158_134
; %bb.129:
	s_cmp_gt_i32 s47, 27
	s_cbranch_scc0 .LBB158_131
; %bb.130:
	v_mov_b32_e32 v2, s26
	s_mov_b64 s[42:43], 0
	global_store_dword v[6:7], v2, off
.LBB158_131:
	s_andn2_b64 vcc, exec, s[42:43]
	s_cbranch_vccnz .LBB158_133
; %bb.132:
	v_mov_b32_e32 v2, s23
	global_store_short v[6:7], v2, off
.LBB158_133:
	s_mov_b64 s[42:43], 0
.LBB158_134:
	s_andn2_b64 vcc, exec, s[42:43]
	s_cbranch_vccnz .LBB158_139
; %bb.135:
	s_andn2_b64 vcc, exec, s[14:15]
	v_mov_b32_e32 v2, 0x80
	s_cbranch_vccnz .LBB158_138
; %bb.136:
	s_or_b64 s[42:43], s[12:13], s[30:31]
	s_andn2_b64 vcc, exec, s[42:43]
	v_mov_b32_e32 v2, 0
	s_cbranch_vccnz .LBB158_138
; %bb.137:
	v_cndmask_b32_e64 v2, v20, v19, s[12:13]
.LBB158_138:
	global_store_byte v[6:7], v2, off
.LBB158_139:
	s_mov_b64 s[42:43], -1
.LBB158_140:
	s_mov_b64 s[44:45], 0
.LBB158_141:
	s_and_b64 vcc, exec, s[44:45]
	s_cbranch_vccz .LBB158_163
; %bb.142:
	s_cmp_gt_i32 s47, 22
	s_mov_b64 s[44:45], -1
	s_cbranch_scc0 .LBB158_155
; %bb.143:
	s_cmp_lt_i32 s47, 24
	s_mov_b64 s[42:43], -1
	s_cbranch_scc1 .LBB158_152
; %bb.144:
	s_cmp_gt_i32 s47, 24
	s_cbranch_scc0 .LBB158_149
; %bb.145:
	s_andn2_b64 vcc, exec, s[10:11]
	v_mov_b32_e32 v2, 0x80
	s_cbranch_vccnz .LBB158_148
; %bb.146:
	s_or_b64 s[42:43], s[8:9], s[28:29]
	s_andn2_b64 vcc, exec, s[42:43]
	v_mov_b32_e32 v2, 0
	s_cbranch_vccnz .LBB158_148
; %bb.147:
	v_cndmask_b32_e64 v2, v17, v16, s[8:9]
.LBB158_148:
	s_mov_b64 s[42:43], 0
	global_store_byte v[6:7], v2, off
.LBB158_149:
	s_and_b64 vcc, exec, s[42:43]
	s_cbranch_vccz .LBB158_151
; %bb.150:
	v_cndmask_b32_e64 v2, v14, v15, s[6:7]
	v_cndmask_b32_e64 v2, v2, v18, s[4:5]
	global_store_byte v[6:7], v2, off
.LBB158_151:
	s_mov_b64 s[42:43], 0
.LBB158_152:
	s_andn2_b64 vcc, exec, s[42:43]
	s_cbranch_vccnz .LBB158_154
; %bb.153:
	v_cndmask_b32_e64 v2, v11, v12, s[2:3]
	v_cndmask_b32_e64 v2, v2, v13, s[0:1]
	global_store_byte v[6:7], v2, off
.LBB158_154:
	s_mov_b64 s[44:45], 0
	s_mov_b64 s[42:43], -1
.LBB158_155:
	s_andn2_b64 vcc, exec, s[44:45]
	s_cbranch_vccnz .LBB158_163
; %bb.156:
	s_cmp_gt_i32 s47, 14
	s_mov_b64 s[44:45], -1
	s_cbranch_scc0 .LBB158_160
; %bb.157:
	s_cmp_eq_u32 s47, 15
	s_mov_b64 s[38:39], -1
	s_cbranch_scc0 .LBB158_159
; %bb.158:
	global_store_short v[6:7], v10, off
	s_mov_b64 s[42:43], -1
	s_mov_b64 s[38:39], 0
.LBB158_159:
	s_mov_b64 s[44:45], 0
.LBB158_160:
	s_and_b64 vcc, exec, s[44:45]
	s_cbranch_vccz .LBB158_163
; %bb.161:
	s_cmp_eq_u32 s47, 11
	s_mov_b64 s[38:39], -1
	s_cbranch_scc0 .LBB158_163
; %bb.162:
	s_mov_b64 s[42:43], -1
	s_mov_b64 s[38:39], 0
	global_store_byte v[6:7], v9, off
.LBB158_163:
	s_branch .LBB158_113
.LBB158_164:
	s_and_b32 s44, 0xffff, s46
	s_cmp_lt_i32 s44, 5
	s_mov_b64 s[42:43], -1
	s_cbranch_scc1 .LBB158_185
; %bb.165:
	s_cmp_lt_i32 s44, 8
	s_cbranch_scc1 .LBB158_175
; %bb.166:
	s_cmp_lt_i32 s44, 9
	s_cbranch_scc1 .LBB158_172
; %bb.167:
	s_cmp_gt_i32 s44, 9
	s_cbranch_scc0 .LBB158_169
; %bb.168:
	v_mov_b32_e32 v2, 0
	v_mov_b32_e32 v3, v2
	s_mov_b64 s[42:43], 0
	global_store_dwordx4 v[6:7], v[0:3], off
.LBB158_169:
	s_andn2_b64 vcc, exec, s[42:43]
	s_cbranch_vccnz .LBB158_171
; %bb.170:
	v_mov_b32_e32 v5, 0
	global_store_dwordx2 v[6:7], v[4:5], off
.LBB158_171:
	s_mov_b64 s[42:43], 0
.LBB158_172:
	s_andn2_b64 vcc, exec, s[42:43]
	s_cbranch_vccnz .LBB158_174
; %bb.173:
	global_store_dword v[6:7], v8, off
.LBB158_174:
	s_mov_b64 s[42:43], 0
.LBB158_175:
	s_andn2_b64 vcc, exec, s[42:43]
	s_cbranch_vccnz .LBB158_184
; %bb.176:
	s_cmp_lt_i32 s44, 6
	s_mov_b64 s[42:43], -1
	s_cbranch_scc1 .LBB158_182
; %bb.177:
	s_cmp_gt_i32 s44, 6
	s_cbranch_scc0 .LBB158_179
; %bb.178:
	s_mov_b64 s[42:43], 0
	global_store_dwordx2 v[6:7], v[0:1], off
.LBB158_179:
	s_andn2_b64 vcc, exec, s[42:43]
	s_cbranch_vccnz .LBB158_181
; %bb.180:
	global_store_dword v[6:7], v4, off
.LBB158_181:
	s_mov_b64 s[42:43], 0
.LBB158_182:
	s_andn2_b64 vcc, exec, s[42:43]
	s_cbranch_vccnz .LBB158_184
; %bb.183:
	global_store_short v[6:7], v8, off
.LBB158_184:
	s_mov_b64 s[42:43], 0
.LBB158_185:
	s_andn2_b64 vcc, exec, s[42:43]
	s_cbranch_vccnz .LBB158_201
; %bb.186:
	s_cmp_lt_i32 s44, 2
	s_mov_b64 s[42:43], -1
	s_cbranch_scc1 .LBB158_196
; %bb.187:
	s_cmp_lt_i32 s44, 3
	s_cbranch_scc1 .LBB158_193
; %bb.188:
	s_cmp_gt_i32 s44, 3
	s_cbranch_scc0 .LBB158_190
; %bb.189:
	v_mov_b32_e32 v2, s26
	v_mov_b32_e32 v3, s27
	s_mov_b64 s[42:43], 0
	global_store_dwordx2 v[6:7], v[2:3], off
.LBB158_190:
	s_andn2_b64 vcc, exec, s[42:43]
	s_cbranch_vccnz .LBB158_192
; %bb.191:
	v_mov_b32_e32 v2, s26
	global_store_dword v[6:7], v2, off
.LBB158_192:
	s_mov_b64 s[42:43], 0
.LBB158_193:
	s_andn2_b64 vcc, exec, s[42:43]
	s_cbranch_vccnz .LBB158_195
; %bb.194:
	v_mov_b32_e32 v2, s23
	global_store_short v[6:7], v2, off
.LBB158_195:
	s_mov_b64 s[42:43], 0
.LBB158_196:
	s_andn2_b64 vcc, exec, s[42:43]
	s_cbranch_vccnz .LBB158_201
; %bb.197:
	s_cmp_gt_i32 s44, 0
	s_mov_b64 s[42:43], -1
	s_cbranch_scc0 .LBB158_199
; %bb.198:
	v_mov_b32_e32 v2, s23
	s_mov_b64 s[42:43], 0
	global_store_byte v[6:7], v2, off
.LBB158_199:
	s_andn2_b64 vcc, exec, s[42:43]
	s_cbranch_vccnz .LBB158_201
; %bb.200:
	v_mov_b32_e32 v2, s23
	global_store_byte v[6:7], v2, off
.LBB158_201:
	s_branch .LBB158_114
.LBB158_202:
	s_mov_b64 s[42:43], 0
                                        ; implicit-def: $vgpr22
.LBB158_203:
	s_andn2_b64 s[44:45], s[34:35], exec
	s_and_b64 s[38:39], s[38:39], exec
	s_or_b64 s[38:39], s[44:45], s[38:39]
	s_orn2_b64 s[44:45], s[42:43], exec
.LBB158_204:
	s_or_b64 exec, exec, s[40:41]
	s_mov_b64 s[46:47], 0
	s_mov_b64 s[42:43], 0
                                        ; implicit-def: $sgpr54
                                        ; implicit-def: $vgpr6_vgpr7
	s_and_saveexec_b64 s[40:41], s[44:45]
	s_cbranch_execz .LBB158_363
; %bb.205:
	v_cmp_gt_i32_e32 vcc, s50, v22
	s_mov_b64 s[48:49], -1
	s_mov_b64 s[44:45], s[38:39]
	s_and_saveexec_b64 s[42:43], vcc
	s_cbranch_execz .LBB158_306
; %bb.206:
	v_mul_lo_u32 v2, v22, s22
	v_mov_b32_e32 v3, s21
	s_and_b32 s51, s33, 0xff
	s_cmp_lt_i32 s51, 11
	v_ashrrev_i32_e32 v5, 31, v2
	v_add_co_u32_e32 v6, vcc, s20, v2
	v_addc_co_u32_e32 v7, vcc, v3, v5, vcc
	s_cbranch_scc1 .LBB158_213
; %bb.207:
	s_and_b32 s52, 0xffff, s51
	s_cmp_gt_i32 s52, 25
	s_cbranch_scc0 .LBB158_214
; %bb.208:
	s_cmp_gt_i32 s52, 28
	s_cbranch_scc0 .LBB158_215
; %bb.209:
	;; [unrolled: 3-line block ×4, first 2 shown]
	s_mov_b64 s[48:49], 0
	s_mov_b64 s[44:45], -1
	s_cmp_eq_u32 s52, 46
	s_cbranch_scc0 .LBB158_218
; %bb.212:
	global_store_dword v[6:7], v10, off
	s_mov_b64 s[46:47], -1
	s_mov_b64 s[44:45], 0
	s_branch .LBB158_218
.LBB158_213:
	s_mov_b64 s[44:45], s[38:39]
	s_branch .LBB158_263
.LBB158_214:
	s_mov_b64 s[44:45], s[38:39]
	s_branch .LBB158_240
.LBB158_215:
	s_mov_b64 s[44:45], s[38:39]
	s_branch .LBB158_226
.LBB158_216:
	s_mov_b64 s[44:45], s[38:39]
	s_branch .LBB158_222
.LBB158_217:
	s_mov_b64 s[44:45], s[38:39]
.LBB158_218:
	s_and_b64 vcc, exec, s[48:49]
	s_cbranch_vccz .LBB158_221
; %bb.219:
	s_cmp_eq_u32 s52, 44
	s_mov_b64 s[44:45], -1
	s_cbranch_scc0 .LBB158_221
; %bb.220:
	v_mov_b32_e32 v2, 0xffff
	v_cndmask_b32_e64 v2, v21, v2, s[16:17]
	s_mov_b64 s[46:47], -1
	s_mov_b64 s[44:45], 0
	global_store_byte v[6:7], v2, off
.LBB158_221:
	s_mov_b64 s[48:49], 0
.LBB158_222:
	s_and_b64 vcc, exec, s[48:49]
	s_cbranch_vccz .LBB158_225
; %bb.223:
	s_cmp_eq_u32 s52, 29
	s_mov_b64 s[44:45], -1
	s_cbranch_scc0 .LBB158_225
; %bb.224:
	v_mov_b32_e32 v2, s26
	v_mov_b32_e32 v3, s27
	global_store_dwordx2 v[6:7], v[2:3], off
	s_mov_b64 s[46:47], -1
	s_mov_b64 s[44:45], 0
.LBB158_225:
	s_mov_b64 s[48:49], 0
.LBB158_226:
	s_and_b64 vcc, exec, s[48:49]
	s_cbranch_vccz .LBB158_239
; %bb.227:
	s_cmp_lt_i32 s52, 27
	s_mov_b64 s[46:47], -1
	s_cbranch_scc1 .LBB158_233
; %bb.228:
	s_cmp_gt_i32 s52, 27
	s_cbranch_scc0 .LBB158_230
; %bb.229:
	v_mov_b32_e32 v2, s26
	s_mov_b64 s[46:47], 0
	global_store_dword v[6:7], v2, off
.LBB158_230:
	s_andn2_b64 vcc, exec, s[46:47]
	s_cbranch_vccnz .LBB158_232
; %bb.231:
	v_mov_b32_e32 v2, s23
	global_store_short v[6:7], v2, off
.LBB158_232:
	s_mov_b64 s[46:47], 0
.LBB158_233:
	s_andn2_b64 vcc, exec, s[46:47]
	s_cbranch_vccnz .LBB158_238
; %bb.234:
	s_andn2_b64 vcc, exec, s[14:15]
	v_mov_b32_e32 v2, 0x80
	s_cbranch_vccnz .LBB158_237
; %bb.235:
	s_or_b64 s[46:47], s[12:13], s[30:31]
	s_andn2_b64 vcc, exec, s[46:47]
	v_mov_b32_e32 v2, 0
	s_cbranch_vccnz .LBB158_237
; %bb.236:
	v_cndmask_b32_e64 v2, v20, v19, s[12:13]
.LBB158_237:
	global_store_byte v[6:7], v2, off
.LBB158_238:
	s_mov_b64 s[46:47], -1
.LBB158_239:
	s_mov_b64 s[48:49], 0
.LBB158_240:
	s_and_b64 vcc, exec, s[48:49]
	s_cbranch_vccz .LBB158_262
; %bb.241:
	s_cmp_gt_i32 s52, 22
	s_mov_b64 s[48:49], -1
	s_cbranch_scc0 .LBB158_254
; %bb.242:
	s_cmp_lt_i32 s52, 24
	s_mov_b64 s[46:47], -1
	s_cbranch_scc1 .LBB158_251
; %bb.243:
	s_cmp_gt_i32 s52, 24
	s_cbranch_scc0 .LBB158_248
; %bb.244:
	s_andn2_b64 vcc, exec, s[10:11]
	v_mov_b32_e32 v2, 0x80
	s_cbranch_vccnz .LBB158_247
; %bb.245:
	s_or_b64 s[46:47], s[8:9], s[28:29]
	s_andn2_b64 vcc, exec, s[46:47]
	v_mov_b32_e32 v2, 0
	s_cbranch_vccnz .LBB158_247
; %bb.246:
	v_cndmask_b32_e64 v2, v17, v16, s[8:9]
.LBB158_247:
	s_mov_b64 s[46:47], 0
	global_store_byte v[6:7], v2, off
.LBB158_248:
	s_and_b64 vcc, exec, s[46:47]
	s_cbranch_vccz .LBB158_250
; %bb.249:
	v_cndmask_b32_e64 v2, v14, v15, s[6:7]
	v_cndmask_b32_e64 v2, v2, v18, s[4:5]
	global_store_byte v[6:7], v2, off
.LBB158_250:
	s_mov_b64 s[46:47], 0
.LBB158_251:
	s_andn2_b64 vcc, exec, s[46:47]
	s_cbranch_vccnz .LBB158_253
; %bb.252:
	v_cndmask_b32_e64 v2, v11, v12, s[2:3]
	v_cndmask_b32_e64 v2, v2, v13, s[0:1]
	global_store_byte v[6:7], v2, off
.LBB158_253:
	s_mov_b64 s[48:49], 0
	s_mov_b64 s[46:47], -1
.LBB158_254:
	s_andn2_b64 vcc, exec, s[48:49]
	s_cbranch_vccnz .LBB158_262
; %bb.255:
	s_cmp_gt_i32 s52, 14
	s_mov_b64 s[48:49], -1
	s_cbranch_scc0 .LBB158_259
; %bb.256:
	s_cmp_eq_u32 s52, 15
	s_mov_b64 s[44:45], -1
	s_cbranch_scc0 .LBB158_258
; %bb.257:
	global_store_short v[6:7], v10, off
	s_mov_b64 s[46:47], -1
	s_mov_b64 s[44:45], 0
.LBB158_258:
	s_mov_b64 s[48:49], 0
.LBB158_259:
	s_and_b64 vcc, exec, s[48:49]
	s_cbranch_vccz .LBB158_262
; %bb.260:
	s_cmp_eq_u32 s52, 11
	s_mov_b64 s[44:45], -1
	s_cbranch_scc0 .LBB158_262
; %bb.261:
	s_mov_b64 s[46:47], -1
	s_mov_b64 s[44:45], 0
	global_store_byte v[6:7], v9, off
.LBB158_262:
	s_mov_b64 s[48:49], 0
.LBB158_263:
	s_and_b64 vcc, exec, s[48:49]
	s_cbranch_vccz .LBB158_302
; %bb.264:
	s_and_b32 s48, 0xffff, s51
	s_cmp_lt_i32 s48, 5
	s_mov_b64 s[46:47], -1
	s_cbranch_scc1 .LBB158_285
; %bb.265:
	s_cmp_lt_i32 s48, 8
	s_cbranch_scc1 .LBB158_275
; %bb.266:
	s_cmp_lt_i32 s48, 9
	s_cbranch_scc1 .LBB158_272
; %bb.267:
	s_cmp_gt_i32 s48, 9
	s_cbranch_scc0 .LBB158_269
; %bb.268:
	v_mov_b32_e32 v2, 0
	v_mov_b32_e32 v3, v2
	s_mov_b64 s[46:47], 0
	global_store_dwordx4 v[6:7], v[0:3], off
.LBB158_269:
	s_andn2_b64 vcc, exec, s[46:47]
	s_cbranch_vccnz .LBB158_271
; %bb.270:
	v_mov_b32_e32 v5, 0
	global_store_dwordx2 v[6:7], v[4:5], off
.LBB158_271:
	s_mov_b64 s[46:47], 0
.LBB158_272:
	s_andn2_b64 vcc, exec, s[46:47]
	s_cbranch_vccnz .LBB158_274
; %bb.273:
	global_store_dword v[6:7], v8, off
.LBB158_274:
	s_mov_b64 s[46:47], 0
.LBB158_275:
	s_andn2_b64 vcc, exec, s[46:47]
	s_cbranch_vccnz .LBB158_284
; %bb.276:
	s_cmp_lt_i32 s48, 6
	s_mov_b64 s[46:47], -1
	s_cbranch_scc1 .LBB158_282
; %bb.277:
	s_cmp_gt_i32 s48, 6
	s_cbranch_scc0 .LBB158_279
; %bb.278:
	s_mov_b64 s[46:47], 0
	global_store_dwordx2 v[6:7], v[0:1], off
.LBB158_279:
	s_andn2_b64 vcc, exec, s[46:47]
	s_cbranch_vccnz .LBB158_281
; %bb.280:
	global_store_dword v[6:7], v4, off
.LBB158_281:
	s_mov_b64 s[46:47], 0
.LBB158_282:
	s_andn2_b64 vcc, exec, s[46:47]
	s_cbranch_vccnz .LBB158_284
; %bb.283:
	global_store_short v[6:7], v8, off
.LBB158_284:
	s_mov_b64 s[46:47], 0
.LBB158_285:
	s_andn2_b64 vcc, exec, s[46:47]
	s_cbranch_vccnz .LBB158_301
; %bb.286:
	s_cmp_lt_i32 s48, 2
	s_mov_b64 s[46:47], -1
	s_cbranch_scc1 .LBB158_296
; %bb.287:
	s_cmp_lt_i32 s48, 3
	s_cbranch_scc1 .LBB158_293
; %bb.288:
	s_cmp_gt_i32 s48, 3
	s_cbranch_scc0 .LBB158_290
; %bb.289:
	v_mov_b32_e32 v2, s26
	v_mov_b32_e32 v3, s27
	s_mov_b64 s[46:47], 0
	global_store_dwordx2 v[6:7], v[2:3], off
.LBB158_290:
	s_andn2_b64 vcc, exec, s[46:47]
	s_cbranch_vccnz .LBB158_292
; %bb.291:
	v_mov_b32_e32 v2, s26
	global_store_dword v[6:7], v2, off
.LBB158_292:
	s_mov_b64 s[46:47], 0
.LBB158_293:
	s_andn2_b64 vcc, exec, s[46:47]
	s_cbranch_vccnz .LBB158_295
; %bb.294:
	v_mov_b32_e32 v2, s23
	global_store_short v[6:7], v2, off
.LBB158_295:
	s_mov_b64 s[46:47], 0
.LBB158_296:
	s_andn2_b64 vcc, exec, s[46:47]
	s_cbranch_vccnz .LBB158_301
; %bb.297:
	s_cmp_gt_i32 s48, 0
	s_mov_b64 s[46:47], -1
	s_cbranch_scc0 .LBB158_299
; %bb.298:
	v_mov_b32_e32 v2, s23
	s_mov_b64 s[46:47], 0
	global_store_byte v[6:7], v2, off
.LBB158_299:
	s_andn2_b64 vcc, exec, s[46:47]
	s_cbranch_vccnz .LBB158_301
; %bb.300:
	v_mov_b32_e32 v2, s23
	global_store_byte v[6:7], v2, off
.LBB158_301:
	s_mov_b64 s[46:47], -1
.LBB158_302:
	s_andn2_b64 vcc, exec, s[46:47]
	s_cbranch_vccnz .LBB158_304
; %bb.303:
	v_add_u32_e32 v22, 0x80, v22
	s_mov_b64 s[46:47], -1
	s_branch .LBB158_305
.LBB158_304:
	s_mov_b64 s[46:47], 0
                                        ; implicit-def: $vgpr22
.LBB158_305:
	s_andn2_b64 s[48:49], s[38:39], exec
	s_and_b64 s[44:45], s[44:45], exec
	s_or_b64 s[44:45], s[48:49], s[44:45]
	s_orn2_b64 s[48:49], s[46:47], exec
.LBB158_306:
	s_or_b64 exec, exec, s[42:43]
	s_mov_b64 s[46:47], 0
	s_mov_b64 s[52:53], 0
                                        ; implicit-def: $sgpr54
                                        ; implicit-def: $vgpr6_vgpr7
	s_and_saveexec_b64 s[42:43], s[48:49]
	s_cbranch_execz .LBB158_362
; %bb.307:
	v_cmp_gt_i32_e32 vcc, s50, v22
	s_mov_b64 s[50:51], 0
	s_mov_b64 s[48:49], s[44:45]
                                        ; implicit-def: $sgpr54
                                        ; implicit-def: $vgpr6_vgpr7
	s_and_saveexec_b64 s[46:47], vcc
	s_cbranch_execz .LBB158_361
; %bb.308:
	v_mul_lo_u32 v2, v22, s22
	v_mov_b32_e32 v3, s21
	s_and_b32 s54, s33, 0xff
	s_cmp_lt_i32 s54, 11
	v_ashrrev_i32_e32 v5, 31, v2
	v_add_co_u32_e32 v6, vcc, s20, v2
	v_addc_co_u32_e32 v7, vcc, v3, v5, vcc
	s_cbranch_scc1 .LBB158_358
; %bb.309:
	s_and_b32 s52, 0xffff, s54
	s_mov_b64 s[50:51], -1
	s_cmp_gt_i32 s52, 25
	s_mov_b64 s[48:49], s[44:45]
	s_cbranch_scc0 .LBB158_337
; %bb.310:
	s_cmp_gt_i32 s52, 28
	s_mov_b64 s[48:49], s[44:45]
	s_cbranch_scc0 .LBB158_324
; %bb.311:
	;; [unrolled: 4-line block ×4, first 2 shown]
	s_cmp_eq_u32 s52, 46
	s_mov_b64 s[48:49], -1
	s_cbranch_scc0 .LBB158_315
; %bb.314:
	global_store_dword v[6:7], v10, off
	s_mov_b64 s[48:49], 0
.LBB158_315:
	s_mov_b64 s[50:51], 0
.LBB158_316:
	s_and_b64 vcc, exec, s[50:51]
	s_cbranch_vccz .LBB158_319
; %bb.317:
	s_cmp_eq_u32 s52, 44
	s_mov_b64 s[48:49], -1
	s_cbranch_scc0 .LBB158_319
; %bb.318:
	v_mov_b32_e32 v2, 0xffff
	v_cndmask_b32_e64 v2, v21, v2, s[16:17]
	global_store_byte v[6:7], v2, off
	s_mov_b64 s[48:49], 0
.LBB158_319:
	s_mov_b64 s[50:51], 0
.LBB158_320:
	s_and_b64 vcc, exec, s[50:51]
	s_cbranch_vccz .LBB158_323
; %bb.321:
	s_cmp_eq_u32 s52, 29
	s_mov_b64 s[48:49], -1
	s_cbranch_scc0 .LBB158_323
; %bb.322:
	v_mov_b32_e32 v2, s26
	v_mov_b32_e32 v3, s27
	global_store_dwordx2 v[6:7], v[2:3], off
	s_mov_b64 s[48:49], 0
.LBB158_323:
	s_mov_b64 s[50:51], 0
.LBB158_324:
	s_and_b64 vcc, exec, s[50:51]
	s_cbranch_vccz .LBB158_336
; %bb.325:
	s_cmp_lt_i32 s52, 27
	s_mov_b64 s[16:17], -1
	s_cbranch_scc1 .LBB158_331
; %bb.326:
	s_cmp_gt_i32 s52, 27
	s_cbranch_scc0 .LBB158_328
; %bb.327:
	v_mov_b32_e32 v2, s26
	s_mov_b64 s[16:17], 0
	global_store_dword v[6:7], v2, off
.LBB158_328:
	s_andn2_b64 vcc, exec, s[16:17]
	s_cbranch_vccnz .LBB158_330
; %bb.329:
	v_mov_b32_e32 v2, s23
	global_store_short v[6:7], v2, off
.LBB158_330:
	s_mov_b64 s[16:17], 0
.LBB158_331:
	s_andn2_b64 vcc, exec, s[16:17]
	s_cbranch_vccnz .LBB158_336
; %bb.332:
	s_andn2_b64 vcc, exec, s[14:15]
	v_mov_b32_e32 v2, 0x80
	s_cbranch_vccnz .LBB158_335
; %bb.333:
	s_or_b64 s[14:15], s[12:13], s[30:31]
	s_andn2_b64 vcc, exec, s[14:15]
	v_mov_b32_e32 v2, 0
	s_cbranch_vccnz .LBB158_335
; %bb.334:
	v_cndmask_b32_e64 v2, v20, v19, s[12:13]
.LBB158_335:
	global_store_byte v[6:7], v2, off
.LBB158_336:
	s_mov_b64 s[50:51], 0
.LBB158_337:
	s_mov_b64 s[12:13], 0
	s_and_b64 vcc, exec, s[50:51]
	s_cbranch_vccz .LBB158_359
; %bb.338:
	s_cmp_gt_i32 s52, 22
	s_mov_b64 s[14:15], -1
	s_cbranch_scc0 .LBB158_351
; %bb.339:
	s_cmp_lt_i32 s52, 24
	s_cbranch_scc1 .LBB158_348
; %bb.340:
	s_cmp_gt_i32 s52, 24
	s_cbranch_scc0 .LBB158_345
; %bb.341:
	s_andn2_b64 vcc, exec, s[10:11]
	v_mov_b32_e32 v2, 0x80
	s_cbranch_vccnz .LBB158_344
; %bb.342:
	s_or_b64 s[10:11], s[8:9], s[28:29]
	s_andn2_b64 vcc, exec, s[10:11]
	v_mov_b32_e32 v2, 0
	s_cbranch_vccnz .LBB158_344
; %bb.343:
	v_cndmask_b32_e64 v2, v17, v16, s[8:9]
.LBB158_344:
	s_mov_b64 s[14:15], 0
	global_store_byte v[6:7], v2, off
.LBB158_345:
	s_and_b64 vcc, exec, s[14:15]
	s_cbranch_vccz .LBB158_347
; %bb.346:
	v_cndmask_b32_e64 v2, v14, v15, s[6:7]
	v_cndmask_b32_e64 v2, v2, v18, s[4:5]
	global_store_byte v[6:7], v2, off
.LBB158_347:
	s_mov_b64 s[14:15], 0
.LBB158_348:
	s_andn2_b64 vcc, exec, s[14:15]
	s_cbranch_vccnz .LBB158_350
; %bb.349:
	v_cndmask_b32_e64 v2, v11, v12, s[2:3]
	v_cndmask_b32_e64 v2, v2, v13, s[0:1]
	global_store_byte v[6:7], v2, off
.LBB158_350:
	s_mov_b64 s[14:15], 0
.LBB158_351:
	s_andn2_b64 vcc, exec, s[14:15]
	s_mov_b64 s[0:1], 0
	s_cbranch_vccnz .LBB158_360
; %bb.352:
	s_cmp_gt_i32 s52, 14
	s_mov_b64 s[2:3], -1
	s_cbranch_scc0 .LBB158_356
; %bb.353:
	s_cmp_eq_u32 s52, 15
	s_mov_b64 s[48:49], -1
	s_cbranch_scc0 .LBB158_355
; %bb.354:
	global_store_short v[6:7], v10, off
	s_mov_b64 s[48:49], 0
.LBB158_355:
	s_mov_b64 s[2:3], 0
.LBB158_356:
	s_and_b64 vcc, exec, s[2:3]
	s_cbranch_vccz .LBB158_360
; %bb.357:
	s_cmp_lg_u32 s52, 11
	s_cselect_b64 s[2:3], -1, 0
	s_andn2_b64 s[4:5], s[48:49], exec
	s_and_b64 s[2:3], s[2:3], exec
	s_mov_b64 s[0:1], -1
	s_or_b64 s[48:49], s[4:5], s[2:3]
	s_branch .LBB158_360
.LBB158_358:
	s_mov_b64 s[0:1], 0
	s_mov_b64 s[12:13], -1
	s_mov_b64 s[48:49], s[44:45]
	s_branch .LBB158_360
.LBB158_359:
	s_mov_b64 s[0:1], 0
.LBB158_360:
	s_and_b64 s[50:51], s[0:1], exec
	s_andn2_b64 s[0:1], s[44:45], exec
	s_and_b64 s[2:3], s[48:49], exec
	s_and_b64 s[52:53], s[12:13], exec
	s_or_b64 s[48:49], s[0:1], s[2:3]
.LBB158_361:
	s_or_b64 exec, exec, s[46:47]
	s_andn2_b64 s[0:1], s[44:45], exec
	s_and_b64 s[2:3], s[48:49], exec
	s_and_b64 s[52:53], s[52:53], exec
	;; [unrolled: 1-line block ×3, first 2 shown]
	s_or_b64 s[44:45], s[0:1], s[2:3]
.LBB158_362:
	s_or_b64 exec, exec, s[42:43]
	s_andn2_b64 s[0:1], s[38:39], exec
	s_and_b64 s[2:3], s[44:45], exec
	s_and_b64 s[42:43], s[52:53], exec
	;; [unrolled: 1-line block ×3, first 2 shown]
	s_or_b64 s[38:39], s[0:1], s[2:3]
.LBB158_363:
	s_or_b64 exec, exec, s[40:41]
	s_andn2_b64 s[0:1], s[34:35], exec
	s_and_b64 s[2:3], s[38:39], exec
	s_and_b64 s[42:43], s[42:43], exec
	;; [unrolled: 1-line block ×3, first 2 shown]
	s_or_b64 s[34:35], s[0:1], s[2:3]
	s_or_b64 exec, exec, s[36:37]
	s_mov_b64 s[0:1], 0
	s_and_saveexec_b64 s[2:3], s[34:35]
	s_cbranch_execz .LBB158_110
.LBB158_364:
	s_mov_b64 s[0:1], exec
	s_andn2_b64 s[40:41], s[40:41], exec
	s_trap 2
	s_or_b64 exec, exec, s[2:3]
	s_and_saveexec_b64 s[2:3], s[40:41]
	s_xor_b64 s[2:3], exec, s[2:3]
	s_cbranch_execnz .LBB158_111
.LBB158_365:
	s_or_b64 exec, exec, s[2:3]
	s_and_saveexec_b64 s[2:3], s[42:43]
	s_xor_b64 s[2:3], exec, s[2:3]
	s_cbranch_execz .LBB158_403
.LBB158_366:
	s_sext_i32_i16 s6, s54
	s_cmp_lt_i32 s6, 5
	s_mov_b64 s[4:5], -1
	s_cbranch_scc1 .LBB158_387
; %bb.367:
	s_cmp_lt_i32 s6, 8
	s_cbranch_scc1 .LBB158_377
; %bb.368:
	s_cmp_lt_i32 s6, 9
	s_cbranch_scc1 .LBB158_374
; %bb.369:
	s_cmp_gt_i32 s6, 9
	s_cbranch_scc0 .LBB158_371
; %bb.370:
	v_mov_b32_e32 v2, 0
	v_mov_b32_e32 v3, v2
	s_mov_b64 s[4:5], 0
	global_store_dwordx4 v[6:7], v[0:3], off
.LBB158_371:
	s_andn2_b64 vcc, exec, s[4:5]
	s_cbranch_vccnz .LBB158_373
; %bb.372:
	v_mov_b32_e32 v5, 0
	global_store_dwordx2 v[6:7], v[4:5], off
.LBB158_373:
	s_mov_b64 s[4:5], 0
.LBB158_374:
	s_andn2_b64 vcc, exec, s[4:5]
	s_cbranch_vccnz .LBB158_376
; %bb.375:
	global_store_dword v[6:7], v8, off
.LBB158_376:
	s_mov_b64 s[4:5], 0
.LBB158_377:
	s_andn2_b64 vcc, exec, s[4:5]
	s_cbranch_vccnz .LBB158_386
; %bb.378:
	s_sext_i32_i16 s6, s54
	s_cmp_lt_i32 s6, 6
	s_mov_b64 s[4:5], -1
	s_cbranch_scc1 .LBB158_384
; %bb.379:
	s_cmp_gt_i32 s6, 6
	s_cbranch_scc0 .LBB158_381
; %bb.380:
	s_mov_b64 s[4:5], 0
	global_store_dwordx2 v[6:7], v[0:1], off
.LBB158_381:
	s_andn2_b64 vcc, exec, s[4:5]
	s_cbranch_vccnz .LBB158_383
; %bb.382:
	global_store_dword v[6:7], v4, off
.LBB158_383:
	s_mov_b64 s[4:5], 0
.LBB158_384:
	s_andn2_b64 vcc, exec, s[4:5]
	s_cbranch_vccnz .LBB158_386
; %bb.385:
	global_store_short v[6:7], v8, off
.LBB158_386:
	s_mov_b64 s[4:5], 0
.LBB158_387:
	s_andn2_b64 vcc, exec, s[4:5]
	s_cbranch_vccnz .LBB158_403
; %bb.388:
	s_sext_i32_i16 s6, s54
	s_cmp_lt_i32 s6, 2
	s_mov_b64 s[4:5], -1
	s_cbranch_scc1 .LBB158_398
; %bb.389:
	s_cmp_lt_i32 s6, 3
	s_cbranch_scc1 .LBB158_395
; %bb.390:
	s_cmp_gt_i32 s6, 3
	s_cbranch_scc0 .LBB158_392
; %bb.391:
	v_mov_b32_e32 v0, s26
	v_mov_b32_e32 v1, s27
	s_mov_b64 s[4:5], 0
	global_store_dwordx2 v[6:7], v[0:1], off
.LBB158_392:
	s_andn2_b64 vcc, exec, s[4:5]
	s_cbranch_vccnz .LBB158_394
; %bb.393:
	v_mov_b32_e32 v0, s26
	global_store_dword v[6:7], v0, off
.LBB158_394:
	s_mov_b64 s[4:5], 0
.LBB158_395:
	s_andn2_b64 vcc, exec, s[4:5]
	s_cbranch_vccnz .LBB158_397
; %bb.396:
	v_mov_b32_e32 v0, s23
	global_store_short v[6:7], v0, off
.LBB158_397:
	s_mov_b64 s[4:5], 0
.LBB158_398:
	s_andn2_b64 vcc, exec, s[4:5]
	s_cbranch_vccnz .LBB158_403
; %bb.399:
	s_sext_i32_i16 s4, s54
	s_cmp_gt_i32 s4, 0
	s_mov_b64 s[4:5], -1
	s_cbranch_scc0 .LBB158_401
; %bb.400:
	v_mov_b32_e32 v0, s23
	s_mov_b64 s[4:5], 0
	global_store_byte v[6:7], v0, off
.LBB158_401:
	s_andn2_b64 vcc, exec, s[4:5]
	s_cbranch_vccnz .LBB158_403
; %bb.402:
	v_mov_b32_e32 v0, s23
	global_store_byte v[6:7], v0, off
.LBB158_403:
	s_or_b64 exec, exec, s[2:3]
	s_and_b64 s[0:1], s[0:1], exec
                                        ; implicit-def: $vgpr22
.LBB158_404:
	s_or_saveexec_b64 s[2:3], s[24:25]
	s_mov_b64 s[6:7], 0
                                        ; implicit-def: $sgpr14
                                        ; implicit-def: $vgpr0_vgpr1
	s_xor_b64 exec, exec, s[2:3]
	s_cbranch_execz .LBB158_433
; %bb.405:
	v_mul_lo_u32 v2, s22, v22
	v_mov_b32_e32 v1, s21
	s_and_b32 s14, s33, 0xff
	s_cmp_lt_i32 s14, 11
	v_ashrrev_i32_e32 v3, 31, v2
	v_add_co_u32_e32 v0, vcc, s20, v2
	v_addc_co_u32_e32 v1, vcc, v1, v3, vcc
	s_cbranch_scc1 .LBB158_436
; %bb.406:
	s_and_b32 s12, 0xffff, s14
	s_mov_b64 s[10:11], -1
	s_cmp_gt_i32 s12, 25
	s_mov_b64 s[8:9], 0
	s_mov_b64 s[4:5], 0
	s_cbranch_scc0 .LBB158_446
; %bb.407:
	s_cmp_gt_i32 s12, 28
	s_cbranch_scc0 .LBB158_422
; %bb.408:
	s_cmp_gt_i32 s12, 43
	;; [unrolled: 3-line block ×3, first 2 shown]
	s_cbranch_scc0 .LBB158_412
; %bb.410:
	s_mov_b64 s[4:5], -1
	s_mov_b64 s[10:11], 0
	s_cmp_eq_u32 s12, 46
	s_cbranch_scc0 .LBB158_412
; %bb.411:
	s_and_b32 s4, 0xffff, s23
	v_cvt_f32_u32_e32 v3, s4
	s_mov_b64 s[4:5], 0
	s_mov_b64 s[8:9], -1
	v_bfe_u32 v4, v3, 16, 1
	v_add_u32_e32 v3, v3, v4
	v_add_u32_e32 v3, 0x7fff, v3
	v_lshrrev_b32_e32 v3, 16, v3
	global_store_dword v[0:1], v3, off
.LBB158_412:
	s_and_b64 vcc, exec, s[10:11]
	s_cbranch_vccz .LBB158_417
; %bb.413:
	s_cmp_eq_u32 s12, 44
	s_mov_b64 s[4:5], -1
	s_cbranch_scc0 .LBB158_417
; %bb.414:
	s_and_b32 s4, 0xffff, s23
	v_cvt_f32_u32_e32 v3, s4
	v_readfirstlane_b32 s5, v3
	s_lshr_b32 s4, s5, 23
	s_cmpk_eq_i32 s4, 0xff
	v_mov_b32_e32 v3, 0xff
	s_cbranch_scc1 .LBB158_416
; %bb.415:
	s_bitcmp1_b32 s5, 22
	s_cselect_b64 s[8:9], -1, 0
	s_and_b32 s5, s5, 0x3fffff
	s_or_b32 s5, s4, s5
	s_cmp_lg_u32 s5, 0
	s_cselect_b64 s[10:11], -1, 0
	s_and_b64 s[8:9], s[8:9], s[10:11]
	v_cndmask_b32_e64 v3, 0, 1, s[8:9]
	v_add_u32_e32 v3, s4, v3
.LBB158_416:
	s_mov_b64 s[4:5], 0
	s_mov_b64 s[8:9], -1
	global_store_byte v[0:1], v3, off
.LBB158_417:
	s_mov_b64 s[10:11], 0
.LBB158_418:
	s_and_b64 vcc, exec, s[10:11]
	s_cbranch_vccz .LBB158_421
; %bb.419:
	s_cmp_eq_u32 s12, 29
	s_mov_b64 s[4:5], -1
	s_cbranch_scc0 .LBB158_421
; %bb.420:
	s_and_b32 s4, s23, 0xffff
	v_mov_b32_e32 v3, s4
	v_mov_b32_e32 v4, 0
	global_store_dwordx2 v[0:1], v[3:4], off
	s_mov_b64 s[4:5], 0
	s_mov_b64 s[8:9], -1
.LBB158_421:
	s_mov_b64 s[10:11], 0
.LBB158_422:
	s_and_b64 vcc, exec, s[10:11]
	s_cbranch_vccz .LBB158_445
; %bb.423:
	s_cmp_lt_i32 s12, 27
	s_mov_b64 s[8:9], -1
	s_cbranch_scc1 .LBB158_429
; %bb.424:
	s_cmp_gt_i32 s12, 27
	s_cbranch_scc0 .LBB158_426
; %bb.425:
	s_and_b32 s8, 0xffff, s23
	v_mov_b32_e32 v3, s8
	s_mov_b64 s[8:9], 0
	global_store_dword v[0:1], v3, off
.LBB158_426:
	s_andn2_b64 vcc, exec, s[8:9]
	s_cbranch_vccnz .LBB158_428
; %bb.427:
	v_mov_b32_e32 v3, s23
	global_store_short v[0:1], v3, off
.LBB158_428:
	s_mov_b64 s[8:9], 0
.LBB158_429:
	s_andn2_b64 vcc, exec, s[8:9]
	s_cbranch_vccnz .LBB158_444
; %bb.430:
	s_and_b32 s8, 0xffff, s23
	v_cvt_f32_u32_e32 v3, s8
	s_mov_b32 s9, 0x437fffff
	v_mov_b32_e32 v5, 0x80
	v_cmp_lt_u32_e32 vcc, s9, v3
	v_readfirstlane_b32 s8, v3
	s_cbranch_vccnz .LBB158_443
; %bb.431:
	s_cmp_gt_u32 s8, 0x3bffffff
	s_cbranch_scc0 .LBB158_438
; %bb.432:
	s_bfe_u32 s9, s8, 0x10014
	s_add_i32 s8, s8, s9
	s_add_i32 s8, s8, 0x487ffff
	s_lshr_b32 s13, s8, 20
	s_mov_b64 s[10:11], 0
	s_mov_b64 s[8:9], -1
	s_branch .LBB158_439
.LBB158_433:
	s_or_b64 exec, exec, s[2:3]
	s_and_saveexec_b64 s[2:3], s[0:1]
	s_cbranch_execz .LBB158_834
.LBB158_434:
	; divergent unreachable
	s_or_b64 exec, exec, s[2:3]
	s_and_saveexec_b64 s[0:1], s[18:19]
	s_xor_b64 s[0:1], exec, s[0:1]
	s_cbranch_execnz .LBB158_835
.LBB158_435:
	s_or_b64 exec, exec, s[0:1]
	s_and_saveexec_b64 s[0:1], s[6:7]
	s_cbranch_execnz .LBB158_836
	s_branch .LBB158_873
.LBB158_436:
	s_mov_b64 s[8:9], 0
	s_mov_b64 s[4:5], s[0:1]
	s_cbranch_execnz .LBB158_496
.LBB158_437:
	s_andn2_b64 vcc, exec, s[8:9]
	s_cbranch_vccz .LBB158_534
	s_branch .LBB158_832
.LBB158_438:
	s_mov_b64 s[10:11], -1
	s_mov_b64 s[8:9], 0
                                        ; implicit-def: $sgpr13
.LBB158_439:
	s_andn2_b64 vcc, exec, s[10:11]
	v_mov_b32_e32 v4, s13
	s_cbranch_vccnz .LBB158_441
; %bb.440:
	v_add_f32_e32 v3, 0x46000000, v3
	v_and_b32_e32 v4, 0xff, v3
	v_cmp_ne_u32_e64 s[8:9], 0, v4
.LBB158_441:
	s_andn2_b64 vcc, exec, s[8:9]
	v_mov_b32_e32 v5, 0
	s_cbranch_vccnz .LBB158_443
; %bb.442:
	v_mov_b32_e32 v5, v4
.LBB158_443:
	global_store_byte v[0:1], v5, off
.LBB158_444:
	s_mov_b64 s[8:9], -1
.LBB158_445:
	s_mov_b64 s[10:11], 0
.LBB158_446:
	s_and_b64 vcc, exec, s[10:11]
	s_cbranch_vccz .LBB158_492
; %bb.447:
	s_cmp_gt_i32 s12, 22
	s_mov_b64 s[6:7], -1
	s_cbranch_scc0 .LBB158_485
; %bb.448:
	s_cmp_lt_i32 s12, 24
	s_cbranch_scc1 .LBB158_472
; %bb.449:
	s_cmp_gt_i32 s12, 24
	s_cbranch_scc0 .LBB158_459
; %bb.450:
	s_and_b32 s6, 0xffff, s23
	v_cvt_f32_u32_e32 v3, s6
	s_mov_b32 s7, 0x477fffff
	v_mov_b32_e32 v5, 0x80
	v_cmp_lt_u32_e32 vcc, s7, v3
	v_readfirstlane_b32 s6, v3
	s_cbranch_vccnz .LBB158_458
; %bb.451:
	s_cmp_gt_u32 s6, 0x37ffffff
	s_cbranch_scc0 .LBB158_453
; %bb.452:
	s_bfe_u32 s7, s6, 0x10015
	s_add_i32 s6, s6, s7
	s_add_i32 s6, s6, 0x88fffff
	s_lshr_b32 s10, s6, 21
	s_mov_b64 s[8:9], 0
	s_mov_b64 s[6:7], -1
	s_branch .LBB158_454
.LBB158_453:
	s_mov_b64 s[8:9], -1
	s_mov_b64 s[6:7], 0
                                        ; implicit-def: $sgpr10
.LBB158_454:
	s_andn2_b64 vcc, exec, s[8:9]
	v_mov_b32_e32 v4, s10
	s_cbranch_vccnz .LBB158_456
; %bb.455:
	v_add_f32_e32 v3, 0x42800000, v3
	v_and_b32_e32 v4, 0xff, v3
	v_cmp_ne_u32_e64 s[6:7], 0, v4
.LBB158_456:
	s_andn2_b64 vcc, exec, s[6:7]
	v_mov_b32_e32 v5, 0
	s_cbranch_vccnz .LBB158_458
; %bb.457:
	v_mov_b32_e32 v5, v4
.LBB158_458:
	s_mov_b64 s[6:7], 0
	global_store_byte v[0:1], v5, off
.LBB158_459:
	s_and_b64 vcc, exec, s[6:7]
	s_cbranch_vccz .LBB158_471
; %bb.460:
	s_and_b32 s6, 0xffff, s23
	v_cvt_f32_u32_e32 v3, s6
	s_mov_b32 s6, 0x43f00000
	v_cmp_gt_u32_e32 vcc, s6, v3
	v_readfirstlane_b32 s8, v3
	s_cbranch_vccz .LBB158_463
; %bb.461:
	s_cmp_gt_u32 s8, 0x3c7fffff
	s_cbranch_scc0 .LBB158_464
; %bb.462:
	s_bfe_u32 s6, s8, 0x10014
	s_add_i32 s6, s8, s6
	s_add_i32 s6, s6, 0x407ffff
	s_lshr_b32 s7, s6, 20
	s_and_b32 s6, s6, 0xff00000
	s_cmp_lg_u32 s6, 0x7f00000
	s_cselect_b32 s9, s7, 0x7e
	s_mov_b64 s[6:7], 0
	s_branch .LBB158_465
.LBB158_463:
	s_mov_b64 s[6:7], -1
                                        ; implicit-def: $vgpr4
	s_branch .LBB158_468
.LBB158_464:
	s_mov_b64 s[6:7], -1
                                        ; implicit-def: $sgpr9
.LBB158_465:
	s_andn2_b64 vcc, exec, s[6:7]
	v_mov_b32_e32 v4, s9
	s_cbranch_vccnz .LBB158_467
; %bb.466:
	v_add_f32_e32 v4, 0x46800000, v3
.LBB158_467:
	s_mov_b64 s[6:7], 0
.LBB158_468:
	s_andn2_b64 vcc, exec, s[6:7]
	s_cbranch_vccnz .LBB158_470
; %bb.469:
	s_cmp_gt_u32 s8, 0x7f800000
	s_movk_i32 s6, 0x7f
	s_cselect_b32 s6, s6, 0x7e
	v_mov_b32_e32 v4, s6
.LBB158_470:
	global_store_byte v[0:1], v4, off
.LBB158_471:
	s_mov_b64 s[6:7], 0
.LBB158_472:
	s_andn2_b64 vcc, exec, s[6:7]
	s_cbranch_vccnz .LBB158_484
; %bb.473:
	s_and_b32 s6, 0xffff, s23
	v_cvt_f32_u32_e32 v3, s6
	s_mov_b32 s6, 0x47800000
	v_cmp_gt_u32_e32 vcc, s6, v3
	v_readfirstlane_b32 s8, v3
	s_cbranch_vccz .LBB158_476
; %bb.474:
	s_cmp_gt_u32 s8, 0x387fffff
	s_cbranch_scc0 .LBB158_477
; %bb.475:
	s_bfe_u32 s6, s8, 0x10015
	s_add_i32 s6, s8, s6
	s_add_i32 s6, s6, 0x80fffff
	s_lshr_b32 s9, s6, 21
	s_mov_b64 s[6:7], 0
	s_branch .LBB158_478
.LBB158_476:
	s_mov_b64 s[6:7], -1
                                        ; implicit-def: $vgpr4
	s_branch .LBB158_481
.LBB158_477:
	s_mov_b64 s[6:7], -1
                                        ; implicit-def: $sgpr9
.LBB158_478:
	s_andn2_b64 vcc, exec, s[6:7]
	v_mov_b32_e32 v4, s9
	s_cbranch_vccnz .LBB158_480
; %bb.479:
	v_add_f32_e32 v4, 0x43000000, v3
.LBB158_480:
	s_mov_b64 s[6:7], 0
.LBB158_481:
	s_andn2_b64 vcc, exec, s[6:7]
	s_cbranch_vccnz .LBB158_483
; %bb.482:
	s_cmp_gt_u32 s8, 0x7f800000
	s_movk_i32 s6, 0x7f
	s_cselect_b32 s6, s6, 0x7c
	v_mov_b32_e32 v4, s6
.LBB158_483:
	global_store_byte v[0:1], v4, off
.LBB158_484:
	s_mov_b64 s[6:7], 0
	s_mov_b64 s[8:9], -1
.LBB158_485:
	s_andn2_b64 vcc, exec, s[6:7]
	s_mov_b64 s[6:7], 0
	s_cbranch_vccnz .LBB158_492
; %bb.486:
	s_cmp_gt_i32 s12, 14
	s_mov_b64 s[10:11], -1
	s_cbranch_scc0 .LBB158_490
; %bb.487:
	s_cmp_eq_u32 s12, 15
	s_mov_b64 s[4:5], -1
	s_cbranch_scc0 .LBB158_489
; %bb.488:
	s_and_b32 s4, 0xffff, s23
	v_cvt_f32_u32_e32 v3, s4
	s_mov_b64 s[4:5], 0
	s_mov_b64 s[8:9], -1
	v_bfe_u32 v4, v3, 16, 1
	v_add_u32_e32 v3, v3, v4
	v_add_u32_e32 v3, 0x7fff, v3
	global_store_short_d16_hi v[0:1], v3, off
.LBB158_489:
	s_mov_b64 s[10:11], 0
.LBB158_490:
	s_and_b64 vcc, exec, s[10:11]
	s_cbranch_vccz .LBB158_492
; %bb.491:
	s_cmp_lg_u32 s12, 11
	s_mov_b64 s[6:7], -1
	s_cselect_b64 s[4:5], -1, 0
.LBB158_492:
	s_and_b64 vcc, exec, s[4:5]
	s_mov_b64 s[4:5], s[0:1]
	s_cbranch_vccnz .LBB158_564
; %bb.493:
	s_andn2_b64 vcc, exec, s[6:7]
	s_cbranch_vccnz .LBB158_495
.LBB158_494:
	s_and_b32 s6, 0xffff, s23
	s_cmp_lg_u32 s6, 0
	s_cselect_b64 s[6:7], -1, 0
	v_cndmask_b32_e64 v3, 0, 1, s[6:7]
	s_mov_b64 s[8:9], -1
	global_store_byte v[0:1], v3, off
.LBB158_495:
	s_branch .LBB158_437
.LBB158_496:
	s_and_b32 s8, 0xffff, s14
	s_cmp_lt_i32 s8, 5
	s_mov_b64 s[6:7], -1
	s_cbranch_scc1 .LBB158_517
; %bb.497:
	s_cmp_lt_i32 s8, 8
	s_cbranch_scc1 .LBB158_507
; %bb.498:
	s_cmp_lt_i32 s8, 9
	s_cbranch_scc1 .LBB158_504
; %bb.499:
	s_cmp_gt_i32 s8, 9
	s_cbranch_scc0 .LBB158_501
; %bb.500:
	s_and_b32 s6, 0xffff, s23
	v_cvt_f64_u32_e32 v[3:4], s6
	v_mov_b32_e32 v5, 0
	v_mov_b32_e32 v6, v5
	s_mov_b64 s[6:7], 0
	global_store_dwordx4 v[0:1], v[3:6], off
.LBB158_501:
	s_andn2_b64 vcc, exec, s[6:7]
	s_cbranch_vccnz .LBB158_503
; %bb.502:
	s_and_b32 s6, 0xffff, s23
	v_cvt_f32_u32_e32 v3, s6
	v_mov_b32_e32 v4, 0
	global_store_dwordx2 v[0:1], v[3:4], off
.LBB158_503:
	s_mov_b64 s[6:7], 0
.LBB158_504:
	s_andn2_b64 vcc, exec, s[6:7]
	s_cbranch_vccnz .LBB158_506
; %bb.505:
	v_cvt_f16_u16_e32 v3, s23
	global_store_dword v[0:1], v3, off
.LBB158_506:
	s_mov_b64 s[6:7], 0
.LBB158_507:
	s_andn2_b64 vcc, exec, s[6:7]
	s_cbranch_vccnz .LBB158_516
; %bb.508:
	s_cmp_lt_i32 s8, 6
	s_mov_b64 s[6:7], -1
	s_cbranch_scc1 .LBB158_514
; %bb.509:
	s_cmp_gt_i32 s8, 6
	s_cbranch_scc0 .LBB158_511
; %bb.510:
	s_and_b32 s6, 0xffff, s23
	v_cvt_f64_u32_e32 v[3:4], s6
	s_mov_b64 s[6:7], 0
	global_store_dwordx2 v[0:1], v[3:4], off
.LBB158_511:
	s_andn2_b64 vcc, exec, s[6:7]
	s_cbranch_vccnz .LBB158_513
; %bb.512:
	s_and_b32 s6, 0xffff, s23
	v_cvt_f32_u32_e32 v3, s6
	global_store_dword v[0:1], v3, off
.LBB158_513:
	s_mov_b64 s[6:7], 0
.LBB158_514:
	s_andn2_b64 vcc, exec, s[6:7]
	s_cbranch_vccnz .LBB158_516
; %bb.515:
	v_cvt_f16_u16_e32 v3, s23
	global_store_short v[0:1], v3, off
.LBB158_516:
	s_mov_b64 s[6:7], 0
.LBB158_517:
	s_andn2_b64 vcc, exec, s[6:7]
	s_cbranch_vccnz .LBB158_533
; %bb.518:
	s_cmp_lt_i32 s8, 2
	s_mov_b64 s[6:7], -1
	s_cbranch_scc1 .LBB158_528
; %bb.519:
	s_cmp_lt_i32 s8, 3
	s_cbranch_scc1 .LBB158_525
; %bb.520:
	s_cmp_gt_i32 s8, 3
	s_cbranch_scc0 .LBB158_522
; %bb.521:
	s_and_b32 s6, s23, 0xffff
	v_mov_b32_e32 v3, s6
	v_mov_b32_e32 v4, 0
	global_store_dwordx2 v[0:1], v[3:4], off
	s_mov_b64 s[6:7], 0
.LBB158_522:
	s_andn2_b64 vcc, exec, s[6:7]
	s_cbranch_vccnz .LBB158_524
; %bb.523:
	s_and_b32 s6, 0xffff, s23
	v_mov_b32_e32 v3, s6
	global_store_dword v[0:1], v3, off
.LBB158_524:
	s_mov_b64 s[6:7], 0
.LBB158_525:
	s_andn2_b64 vcc, exec, s[6:7]
	s_cbranch_vccnz .LBB158_527
; %bb.526:
	v_mov_b32_e32 v3, s23
	global_store_short v[0:1], v3, off
.LBB158_527:
	s_mov_b64 s[6:7], 0
.LBB158_528:
	s_andn2_b64 vcc, exec, s[6:7]
	s_cbranch_vccnz .LBB158_533
; %bb.529:
	s_cmp_gt_i32 s8, 0
	s_mov_b64 s[6:7], -1
	s_cbranch_scc0 .LBB158_531
; %bb.530:
	v_mov_b32_e32 v3, s23
	global_store_byte v[0:1], v3, off
	s_mov_b64 s[6:7], 0
.LBB158_531:
	s_andn2_b64 vcc, exec, s[6:7]
	s_cbranch_vccnz .LBB158_533
; %bb.532:
	v_mov_b32_e32 v3, s23
	global_store_byte v[0:1], v3, off
.LBB158_533:
.LBB158_534:
	s_lshl_b32 s15, s22, 7
	v_add_u32_e32 v2, s15, v2
	v_ashrrev_i32_e32 v1, 31, v2
	v_mov_b32_e32 v3, s21
	v_add_co_u32_e32 v0, vcc, s20, v2
	s_cmp_lt_i32 s14, 11
	v_addc_co_u32_e32 v1, vcc, v3, v1, vcc
	s_cbranch_scc1 .LBB158_562
; %bb.535:
	s_and_b32 s16, 0xffff, s14
	s_mov_b64 s[12:13], -1
	s_mov_b64 s[8:9], 0
	s_cmp_gt_i32 s16, 25
	s_mov_b64 s[10:11], 0
	s_mov_b64 s[6:7], 0
	s_cbranch_scc0 .LBB158_573
; %bb.536:
	s_cmp_gt_i32 s16, 28
	s_cbranch_scc0 .LBB158_551
; %bb.537:
	s_cmp_gt_i32 s16, 43
	;; [unrolled: 3-line block ×3, first 2 shown]
	s_cbranch_scc0 .LBB158_541
; %bb.539:
	s_mov_b64 s[6:7], -1
	s_mov_b64 s[12:13], 0
	s_cmp_eq_u32 s16, 46
	s_cbranch_scc0 .LBB158_541
; %bb.540:
	s_and_b32 s6, 0xffff, s23
	v_cvt_f32_u32_e32 v3, s6
	s_mov_b64 s[6:7], 0
	s_mov_b64 s[10:11], -1
	v_bfe_u32 v4, v3, 16, 1
	v_add_u32_e32 v3, v3, v4
	v_add_u32_e32 v3, 0x7fff, v3
	v_lshrrev_b32_e32 v3, 16, v3
	global_store_dword v[0:1], v3, off
.LBB158_541:
	s_and_b64 vcc, exec, s[12:13]
	s_cbranch_vccz .LBB158_546
; %bb.542:
	s_cmp_eq_u32 s16, 44
	s_mov_b64 s[6:7], -1
	s_cbranch_scc0 .LBB158_546
; %bb.543:
	s_and_b32 s6, 0xffff, s23
	v_cvt_f32_u32_e32 v3, s6
	v_readfirstlane_b32 s7, v3
	s_lshr_b32 s6, s7, 23
	s_cmpk_eq_i32 s6, 0xff
	v_mov_b32_e32 v3, 0xff
	s_cbranch_scc1 .LBB158_545
; %bb.544:
	s_bitcmp1_b32 s7, 22
	s_cselect_b64 s[10:11], -1, 0
	s_and_b32 s7, s7, 0x3fffff
	s_or_b32 s7, s6, s7
	s_cmp_lg_u32 s7, 0
	s_cselect_b64 s[12:13], -1, 0
	s_and_b64 s[10:11], s[10:11], s[12:13]
	v_cndmask_b32_e64 v3, 0, 1, s[10:11]
	v_add_u32_e32 v3, s6, v3
.LBB158_545:
	s_mov_b64 s[6:7], 0
	s_mov_b64 s[10:11], -1
	global_store_byte v[0:1], v3, off
.LBB158_546:
	s_mov_b64 s[12:13], 0
.LBB158_547:
	s_and_b64 vcc, exec, s[12:13]
	s_cbranch_vccz .LBB158_550
; %bb.548:
	s_cmp_eq_u32 s16, 29
	s_mov_b64 s[6:7], -1
	s_cbranch_scc0 .LBB158_550
; %bb.549:
	s_and_b32 s6, s23, 0xffff
	v_mov_b32_e32 v3, s6
	v_mov_b32_e32 v4, 0
	global_store_dwordx2 v[0:1], v[3:4], off
	s_mov_b64 s[6:7], 0
	s_mov_b64 s[10:11], -1
.LBB158_550:
	s_mov_b64 s[12:13], 0
.LBB158_551:
	s_and_b64 vcc, exec, s[12:13]
	s_cbranch_vccz .LBB158_572
; %bb.552:
	s_cmp_lt_i32 s16, 27
	s_mov_b64 s[10:11], -1
	s_cbranch_scc1 .LBB158_558
; %bb.553:
	s_cmp_gt_i32 s16, 27
	s_cbranch_scc0 .LBB158_555
; %bb.554:
	s_and_b32 s10, 0xffff, s23
	v_mov_b32_e32 v3, s10
	s_mov_b64 s[10:11], 0
	global_store_dword v[0:1], v3, off
.LBB158_555:
	s_andn2_b64 vcc, exec, s[10:11]
	s_cbranch_vccnz .LBB158_557
; %bb.556:
	v_mov_b32_e32 v3, s23
	global_store_short v[0:1], v3, off
.LBB158_557:
	s_mov_b64 s[10:11], 0
.LBB158_558:
	s_andn2_b64 vcc, exec, s[10:11]
	s_cbranch_vccnz .LBB158_571
; %bb.559:
	s_and_b32 s10, 0xffff, s23
	v_cvt_f32_u32_e32 v3, s10
	s_mov_b32 s11, 0x437fffff
	v_mov_b32_e32 v5, 0x80
	v_cmp_lt_u32_e32 vcc, s11, v3
	v_readfirstlane_b32 s10, v3
	s_cbranch_vccnz .LBB158_570
; %bb.560:
	s_cmp_gt_u32 s10, 0x3bffffff
	s_cbranch_scc0 .LBB158_565
; %bb.561:
	s_bfe_u32 s11, s10, 0x10014
	s_add_i32 s10, s10, s11
	s_add_i32 s10, s10, 0x487ffff
	s_lshr_b32 s17, s10, 20
	s_mov_b64 s[12:13], 0
	s_mov_b64 s[10:11], -1
	s_branch .LBB158_566
.LBB158_562:
	s_mov_b64 s[10:11], 0
	s_cbranch_execnz .LBB158_623
.LBB158_563:
	s_andn2_b64 vcc, exec, s[10:11]
	s_cbranch_vccz .LBB158_661
	s_branch .LBB158_832
.LBB158_564:
	s_or_b64 s[4:5], s[0:1], exec
	s_trap 2
	s_cbranch_execz .LBB158_494
	s_branch .LBB158_495
.LBB158_565:
	s_mov_b64 s[12:13], -1
	s_mov_b64 s[10:11], 0
                                        ; implicit-def: $sgpr17
.LBB158_566:
	s_andn2_b64 vcc, exec, s[12:13]
	v_mov_b32_e32 v4, s17
	s_cbranch_vccnz .LBB158_568
; %bb.567:
	v_add_f32_e32 v3, 0x46000000, v3
	v_and_b32_e32 v4, 0xff, v3
	v_cmp_ne_u32_e64 s[10:11], 0, v4
.LBB158_568:
	s_andn2_b64 vcc, exec, s[10:11]
	v_mov_b32_e32 v5, 0
	s_cbranch_vccnz .LBB158_570
; %bb.569:
	v_mov_b32_e32 v5, v4
.LBB158_570:
	global_store_byte v[0:1], v5, off
.LBB158_571:
	s_mov_b64 s[10:11], -1
.LBB158_572:
	s_mov_b64 s[12:13], 0
.LBB158_573:
	s_and_b64 vcc, exec, s[12:13]
	s_cbranch_vccz .LBB158_619
; %bb.574:
	s_cmp_gt_i32 s16, 22
	s_mov_b64 s[8:9], -1
	s_cbranch_scc0 .LBB158_612
; %bb.575:
	s_cmp_lt_i32 s16, 24
	s_cbranch_scc1 .LBB158_599
; %bb.576:
	s_cmp_gt_i32 s16, 24
	s_cbranch_scc0 .LBB158_586
; %bb.577:
	s_and_b32 s8, 0xffff, s23
	v_cvt_f32_u32_e32 v3, s8
	s_mov_b32 s9, 0x477fffff
	v_mov_b32_e32 v5, 0x80
	v_cmp_lt_u32_e32 vcc, s9, v3
	v_readfirstlane_b32 s8, v3
	s_cbranch_vccnz .LBB158_585
; %bb.578:
	s_cmp_gt_u32 s8, 0x37ffffff
	s_cbranch_scc0 .LBB158_580
; %bb.579:
	s_bfe_u32 s9, s8, 0x10015
	s_add_i32 s8, s8, s9
	s_add_i32 s8, s8, 0x88fffff
	s_lshr_b32 s12, s8, 21
	s_mov_b64 s[10:11], 0
	s_mov_b64 s[8:9], -1
	s_branch .LBB158_581
.LBB158_580:
	s_mov_b64 s[10:11], -1
	s_mov_b64 s[8:9], 0
                                        ; implicit-def: $sgpr12
.LBB158_581:
	s_andn2_b64 vcc, exec, s[10:11]
	v_mov_b32_e32 v4, s12
	s_cbranch_vccnz .LBB158_583
; %bb.582:
	v_add_f32_e32 v3, 0x42800000, v3
	v_and_b32_e32 v4, 0xff, v3
	v_cmp_ne_u32_e64 s[8:9], 0, v4
.LBB158_583:
	s_andn2_b64 vcc, exec, s[8:9]
	v_mov_b32_e32 v5, 0
	s_cbranch_vccnz .LBB158_585
; %bb.584:
	v_mov_b32_e32 v5, v4
.LBB158_585:
	s_mov_b64 s[8:9], 0
	global_store_byte v[0:1], v5, off
.LBB158_586:
	s_and_b64 vcc, exec, s[8:9]
	s_cbranch_vccz .LBB158_598
; %bb.587:
	s_and_b32 s8, 0xffff, s23
	v_cvt_f32_u32_e32 v3, s8
	s_mov_b32 s8, 0x43f00000
	v_cmp_gt_u32_e32 vcc, s8, v3
	v_readfirstlane_b32 s10, v3
	s_cbranch_vccz .LBB158_590
; %bb.588:
	s_cmp_gt_u32 s10, 0x3c7fffff
	s_cbranch_scc0 .LBB158_591
; %bb.589:
	s_bfe_u32 s8, s10, 0x10014
	s_add_i32 s8, s10, s8
	s_add_i32 s8, s8, 0x407ffff
	s_lshr_b32 s9, s8, 20
	s_and_b32 s8, s8, 0xff00000
	s_cmp_lg_u32 s8, 0x7f00000
	s_cselect_b32 s11, s9, 0x7e
	s_mov_b64 s[8:9], 0
	s_branch .LBB158_592
.LBB158_590:
	s_mov_b64 s[8:9], -1
                                        ; implicit-def: $vgpr4
	s_branch .LBB158_595
.LBB158_591:
	s_mov_b64 s[8:9], -1
                                        ; implicit-def: $sgpr11
.LBB158_592:
	s_andn2_b64 vcc, exec, s[8:9]
	v_mov_b32_e32 v4, s11
	s_cbranch_vccnz .LBB158_594
; %bb.593:
	v_add_f32_e32 v4, 0x46800000, v3
.LBB158_594:
	s_mov_b64 s[8:9], 0
.LBB158_595:
	s_andn2_b64 vcc, exec, s[8:9]
	s_cbranch_vccnz .LBB158_597
; %bb.596:
	s_cmp_gt_u32 s10, 0x7f800000
	s_movk_i32 s8, 0x7f
	s_cselect_b32 s8, s8, 0x7e
	v_mov_b32_e32 v4, s8
.LBB158_597:
	global_store_byte v[0:1], v4, off
.LBB158_598:
	s_mov_b64 s[8:9], 0
.LBB158_599:
	s_andn2_b64 vcc, exec, s[8:9]
	s_cbranch_vccnz .LBB158_611
; %bb.600:
	s_and_b32 s8, 0xffff, s23
	v_cvt_f32_u32_e32 v3, s8
	s_mov_b32 s8, 0x47800000
	v_cmp_gt_u32_e32 vcc, s8, v3
	v_readfirstlane_b32 s10, v3
	s_cbranch_vccz .LBB158_603
; %bb.601:
	s_cmp_gt_u32 s10, 0x387fffff
	s_cbranch_scc0 .LBB158_604
; %bb.602:
	s_bfe_u32 s8, s10, 0x10015
	s_add_i32 s8, s10, s8
	s_add_i32 s8, s8, 0x80fffff
	s_lshr_b32 s11, s8, 21
	s_mov_b64 s[8:9], 0
	s_branch .LBB158_605
.LBB158_603:
	s_mov_b64 s[8:9], -1
                                        ; implicit-def: $vgpr4
	s_branch .LBB158_608
.LBB158_604:
	s_mov_b64 s[8:9], -1
                                        ; implicit-def: $sgpr11
.LBB158_605:
	s_andn2_b64 vcc, exec, s[8:9]
	v_mov_b32_e32 v4, s11
	s_cbranch_vccnz .LBB158_607
; %bb.606:
	v_add_f32_e32 v4, 0x43000000, v3
.LBB158_607:
	s_mov_b64 s[8:9], 0
.LBB158_608:
	s_andn2_b64 vcc, exec, s[8:9]
	s_cbranch_vccnz .LBB158_610
; %bb.609:
	s_cmp_gt_u32 s10, 0x7f800000
	s_movk_i32 s8, 0x7f
	s_cselect_b32 s8, s8, 0x7c
	v_mov_b32_e32 v4, s8
.LBB158_610:
	global_store_byte v[0:1], v4, off
.LBB158_611:
	s_mov_b64 s[8:9], 0
	s_mov_b64 s[10:11], -1
.LBB158_612:
	s_andn2_b64 vcc, exec, s[8:9]
	s_mov_b64 s[8:9], 0
	s_cbranch_vccnz .LBB158_619
; %bb.613:
	s_cmp_gt_i32 s16, 14
	s_mov_b64 s[12:13], -1
	s_cbranch_scc0 .LBB158_617
; %bb.614:
	s_cmp_eq_u32 s16, 15
	s_mov_b64 s[6:7], -1
	s_cbranch_scc0 .LBB158_616
; %bb.615:
	s_and_b32 s6, 0xffff, s23
	v_cvt_f32_u32_e32 v3, s6
	s_mov_b64 s[6:7], 0
	s_mov_b64 s[10:11], -1
	v_bfe_u32 v4, v3, 16, 1
	v_add_u32_e32 v3, v3, v4
	v_add_u32_e32 v3, 0x7fff, v3
	global_store_short_d16_hi v[0:1], v3, off
.LBB158_616:
	s_mov_b64 s[12:13], 0
.LBB158_617:
	s_and_b64 vcc, exec, s[12:13]
	s_cbranch_vccz .LBB158_619
; %bb.618:
	s_cmp_lg_u32 s16, 11
	s_mov_b64 s[8:9], -1
	s_cselect_b64 s[6:7], -1, 0
.LBB158_619:
	s_and_b64 vcc, exec, s[6:7]
	s_cbranch_vccnz .LBB158_721
; %bb.620:
	s_andn2_b64 vcc, exec, s[8:9]
	s_cbranch_vccnz .LBB158_622
.LBB158_621:
	s_and_b32 s6, 0xffff, s23
	s_cmp_lg_u32 s6, 0
	s_cselect_b64 s[6:7], -1, 0
	v_cndmask_b32_e64 v3, 0, 1, s[6:7]
	s_mov_b64 s[10:11], -1
	global_store_byte v[0:1], v3, off
.LBB158_622:
	s_branch .LBB158_563
.LBB158_623:
	s_and_b32 s8, 0xffff, s14
	s_cmp_lt_i32 s8, 5
	s_mov_b64 s[6:7], -1
	s_cbranch_scc1 .LBB158_644
; %bb.624:
	s_cmp_lt_i32 s8, 8
	s_cbranch_scc1 .LBB158_634
; %bb.625:
	s_cmp_lt_i32 s8, 9
	s_cbranch_scc1 .LBB158_631
; %bb.626:
	s_cmp_gt_i32 s8, 9
	s_cbranch_scc0 .LBB158_628
; %bb.627:
	s_and_b32 s6, 0xffff, s23
	v_cvt_f64_u32_e32 v[3:4], s6
	v_mov_b32_e32 v5, 0
	v_mov_b32_e32 v6, v5
	s_mov_b64 s[6:7], 0
	global_store_dwordx4 v[0:1], v[3:6], off
.LBB158_628:
	s_andn2_b64 vcc, exec, s[6:7]
	s_cbranch_vccnz .LBB158_630
; %bb.629:
	s_and_b32 s6, 0xffff, s23
	v_cvt_f32_u32_e32 v3, s6
	v_mov_b32_e32 v4, 0
	global_store_dwordx2 v[0:1], v[3:4], off
.LBB158_630:
	s_mov_b64 s[6:7], 0
.LBB158_631:
	s_andn2_b64 vcc, exec, s[6:7]
	s_cbranch_vccnz .LBB158_633
; %bb.632:
	v_cvt_f16_u16_e32 v3, s23
	global_store_dword v[0:1], v3, off
.LBB158_633:
	s_mov_b64 s[6:7], 0
.LBB158_634:
	s_andn2_b64 vcc, exec, s[6:7]
	s_cbranch_vccnz .LBB158_643
; %bb.635:
	s_cmp_lt_i32 s8, 6
	s_mov_b64 s[6:7], -1
	s_cbranch_scc1 .LBB158_641
; %bb.636:
	s_cmp_gt_i32 s8, 6
	s_cbranch_scc0 .LBB158_638
; %bb.637:
	s_and_b32 s6, 0xffff, s23
	v_cvt_f64_u32_e32 v[3:4], s6
	s_mov_b64 s[6:7], 0
	global_store_dwordx2 v[0:1], v[3:4], off
.LBB158_638:
	s_andn2_b64 vcc, exec, s[6:7]
	s_cbranch_vccnz .LBB158_640
; %bb.639:
	s_and_b32 s6, 0xffff, s23
	v_cvt_f32_u32_e32 v3, s6
	global_store_dword v[0:1], v3, off
.LBB158_640:
	s_mov_b64 s[6:7], 0
.LBB158_641:
	s_andn2_b64 vcc, exec, s[6:7]
	s_cbranch_vccnz .LBB158_643
; %bb.642:
	v_cvt_f16_u16_e32 v3, s23
	global_store_short v[0:1], v3, off
.LBB158_643:
	s_mov_b64 s[6:7], 0
.LBB158_644:
	s_andn2_b64 vcc, exec, s[6:7]
	s_cbranch_vccnz .LBB158_660
; %bb.645:
	s_cmp_lt_i32 s8, 2
	s_mov_b64 s[6:7], -1
	s_cbranch_scc1 .LBB158_655
; %bb.646:
	s_cmp_lt_i32 s8, 3
	s_cbranch_scc1 .LBB158_652
; %bb.647:
	s_cmp_gt_i32 s8, 3
	s_cbranch_scc0 .LBB158_649
; %bb.648:
	s_and_b32 s6, s23, 0xffff
	v_mov_b32_e32 v3, s6
	v_mov_b32_e32 v4, 0
	global_store_dwordx2 v[0:1], v[3:4], off
	s_mov_b64 s[6:7], 0
.LBB158_649:
	s_andn2_b64 vcc, exec, s[6:7]
	s_cbranch_vccnz .LBB158_651
; %bb.650:
	s_and_b32 s6, 0xffff, s23
	v_mov_b32_e32 v3, s6
	global_store_dword v[0:1], v3, off
.LBB158_651:
	s_mov_b64 s[6:7], 0
.LBB158_652:
	s_andn2_b64 vcc, exec, s[6:7]
	s_cbranch_vccnz .LBB158_654
; %bb.653:
	v_mov_b32_e32 v3, s23
	global_store_short v[0:1], v3, off
.LBB158_654:
	s_mov_b64 s[6:7], 0
.LBB158_655:
	s_andn2_b64 vcc, exec, s[6:7]
	s_cbranch_vccnz .LBB158_660
; %bb.656:
	s_cmp_gt_i32 s8, 0
	s_mov_b64 s[6:7], -1
	s_cbranch_scc0 .LBB158_658
; %bb.657:
	v_mov_b32_e32 v3, s23
	global_store_byte v[0:1], v3, off
	s_mov_b64 s[6:7], 0
.LBB158_658:
	s_andn2_b64 vcc, exec, s[6:7]
	s_cbranch_vccnz .LBB158_660
; %bb.659:
	v_mov_b32_e32 v3, s23
	global_store_byte v[0:1], v3, off
.LBB158_660:
.LBB158_661:
	v_add_u32_e32 v2, s15, v2
	v_ashrrev_i32_e32 v1, 31, v2
	v_mov_b32_e32 v3, s21
	v_add_co_u32_e32 v0, vcc, s20, v2
	s_cmp_lt_i32 s14, 11
	v_addc_co_u32_e32 v1, vcc, v3, v1, vcc
	s_cbranch_scc1 .LBB158_689
; %bb.662:
	s_and_b32 s16, 0xffff, s14
	s_mov_b64 s[12:13], -1
	s_mov_b64 s[8:9], 0
	s_cmp_gt_i32 s16, 25
	s_mov_b64 s[10:11], 0
	s_mov_b64 s[6:7], 0
	s_cbranch_scc0 .LBB158_730
; %bb.663:
	s_cmp_gt_i32 s16, 28
	s_cbranch_scc0 .LBB158_678
; %bb.664:
	s_cmp_gt_i32 s16, 43
	;; [unrolled: 3-line block ×3, first 2 shown]
	s_cbranch_scc0 .LBB158_668
; %bb.666:
	s_mov_b64 s[6:7], -1
	s_mov_b64 s[12:13], 0
	s_cmp_eq_u32 s16, 46
	s_cbranch_scc0 .LBB158_668
; %bb.667:
	s_and_b32 s6, 0xffff, s23
	v_cvt_f32_u32_e32 v3, s6
	s_mov_b64 s[6:7], 0
	s_mov_b64 s[10:11], -1
	v_bfe_u32 v4, v3, 16, 1
	v_add_u32_e32 v3, v3, v4
	v_add_u32_e32 v3, 0x7fff, v3
	v_lshrrev_b32_e32 v3, 16, v3
	global_store_dword v[0:1], v3, off
.LBB158_668:
	s_and_b64 vcc, exec, s[12:13]
	s_cbranch_vccz .LBB158_673
; %bb.669:
	s_cmp_eq_u32 s16, 44
	s_mov_b64 s[6:7], -1
	s_cbranch_scc0 .LBB158_673
; %bb.670:
	s_and_b32 s6, 0xffff, s23
	v_cvt_f32_u32_e32 v3, s6
	v_readfirstlane_b32 s7, v3
	s_lshr_b32 s6, s7, 23
	s_cmpk_eq_i32 s6, 0xff
	v_mov_b32_e32 v3, 0xff
	s_cbranch_scc1 .LBB158_672
; %bb.671:
	s_bitcmp1_b32 s7, 22
	s_cselect_b64 s[10:11], -1, 0
	s_and_b32 s7, s7, 0x3fffff
	s_or_b32 s7, s6, s7
	s_cmp_lg_u32 s7, 0
	s_cselect_b64 s[12:13], -1, 0
	s_and_b64 s[10:11], s[10:11], s[12:13]
	v_cndmask_b32_e64 v3, 0, 1, s[10:11]
	v_add_u32_e32 v3, s6, v3
.LBB158_672:
	s_mov_b64 s[6:7], 0
	s_mov_b64 s[10:11], -1
	global_store_byte v[0:1], v3, off
.LBB158_673:
	s_mov_b64 s[12:13], 0
.LBB158_674:
	s_and_b64 vcc, exec, s[12:13]
	s_cbranch_vccz .LBB158_677
; %bb.675:
	s_cmp_eq_u32 s16, 29
	s_mov_b64 s[6:7], -1
	s_cbranch_scc0 .LBB158_677
; %bb.676:
	s_and_b32 s6, s23, 0xffff
	v_mov_b32_e32 v3, s6
	v_mov_b32_e32 v4, 0
	global_store_dwordx2 v[0:1], v[3:4], off
	s_mov_b64 s[6:7], 0
	s_mov_b64 s[10:11], -1
.LBB158_677:
	s_mov_b64 s[12:13], 0
.LBB158_678:
	s_and_b64 vcc, exec, s[12:13]
	s_cbranch_vccz .LBB158_729
; %bb.679:
	s_cmp_lt_i32 s16, 27
	s_mov_b64 s[10:11], -1
	s_cbranch_scc1 .LBB158_685
; %bb.680:
	s_cmp_gt_i32 s16, 27
	s_cbranch_scc0 .LBB158_682
; %bb.681:
	s_and_b32 s10, 0xffff, s23
	v_mov_b32_e32 v3, s10
	s_mov_b64 s[10:11], 0
	global_store_dword v[0:1], v3, off
.LBB158_682:
	s_andn2_b64 vcc, exec, s[10:11]
	s_cbranch_vccnz .LBB158_684
; %bb.683:
	v_mov_b32_e32 v3, s23
	global_store_short v[0:1], v3, off
.LBB158_684:
	s_mov_b64 s[10:11], 0
.LBB158_685:
	s_andn2_b64 vcc, exec, s[10:11]
	s_cbranch_vccnz .LBB158_728
; %bb.686:
	s_and_b32 s10, 0xffff, s23
	v_cvt_f32_u32_e32 v3, s10
	s_mov_b32 s11, 0x437fffff
	v_mov_b32_e32 v5, 0x80
	v_cmp_lt_u32_e32 vcc, s11, v3
	v_readfirstlane_b32 s10, v3
	s_cbranch_vccnz .LBB158_727
; %bb.687:
	s_cmp_gt_u32 s10, 0x3bffffff
	s_cbranch_scc0 .LBB158_722
; %bb.688:
	s_bfe_u32 s11, s10, 0x10014
	s_add_i32 s10, s10, s11
	s_add_i32 s10, s10, 0x487ffff
	s_lshr_b32 s17, s10, 20
	s_mov_b64 s[12:13], 0
	s_mov_b64 s[10:11], -1
	s_branch .LBB158_723
.LBB158_689:
	s_mov_b64 s[10:11], 0
	s_cbranch_execnz .LBB158_794
.LBB158_690:
	s_andn2_b64 vcc, exec, s[10:11]
	s_cbranch_vccnz .LBB158_832
.LBB158_691:
	v_add_u32_e32 v0, s15, v2
	v_ashrrev_i32_e32 v1, 31, v0
	v_mov_b32_e32 v2, s21
	v_add_co_u32_e32 v0, vcc, s20, v0
	s_cmp_lt_i32 s14, 11
	v_addc_co_u32_e32 v1, vcc, v2, v1, vcc
	s_cbranch_scc1 .LBB158_720
; %bb.692:
	s_and_b32 s15, 0xffff, s14
	s_mov_b64 s[10:11], -1
	s_mov_b64 s[8:9], 0
	s_cmp_gt_i32 s15, 25
	s_mov_b64 s[6:7], 0
	s_cbranch_scc0 .LBB158_744
; %bb.693:
	s_cmp_gt_i32 s15, 28
	s_cbranch_scc0 .LBB158_709
; %bb.694:
	s_cmp_gt_i32 s15, 43
	;; [unrolled: 3-line block ×3, first 2 shown]
	s_cbranch_scc0 .LBB158_699
; %bb.696:
	s_cmp_eq_u32 s15, 46
	s_mov_b64 s[6:7], -1
	s_cbranch_scc0 .LBB158_698
; %bb.697:
	s_and_b32 s6, 0xffff, s23
	v_cvt_f32_u32_e32 v2, s6
	s_mov_b64 s[6:7], 0
	v_bfe_u32 v3, v2, 16, 1
	v_add_u32_e32 v2, v2, v3
	v_add_u32_e32 v2, 0x7fff, v2
	v_lshrrev_b32_e32 v2, 16, v2
	global_store_dword v[0:1], v2, off
.LBB158_698:
	s_mov_b64 s[10:11], 0
.LBB158_699:
	s_and_b64 vcc, exec, s[10:11]
	s_cbranch_vccz .LBB158_704
; %bb.700:
	s_cmp_eq_u32 s15, 44
	s_mov_b64 s[6:7], -1
	s_cbranch_scc0 .LBB158_704
; %bb.701:
	s_and_b32 s6, 0xffff, s23
	v_cvt_f32_u32_e32 v2, s6
	v_readfirstlane_b32 s7, v2
	s_lshr_b32 s6, s7, 23
	s_cmpk_eq_i32 s6, 0xff
	v_mov_b32_e32 v2, 0xff
	s_cbranch_scc1 .LBB158_703
; %bb.702:
	s_bitcmp1_b32 s7, 22
	s_cselect_b64 s[10:11], -1, 0
	s_and_b32 s7, s7, 0x3fffff
	s_or_b32 s7, s6, s7
	s_cmp_lg_u32 s7, 0
	s_cselect_b64 s[12:13], -1, 0
	s_and_b64 s[10:11], s[10:11], s[12:13]
	v_cndmask_b32_e64 v2, 0, 1, s[10:11]
	v_add_u32_e32 v2, s6, v2
.LBB158_703:
	s_mov_b64 s[6:7], 0
	global_store_byte v[0:1], v2, off
.LBB158_704:
	s_mov_b64 s[10:11], 0
.LBB158_705:
	s_and_b64 vcc, exec, s[10:11]
	s_cbranch_vccz .LBB158_708
; %bb.706:
	s_cmp_eq_u32 s15, 29
	s_mov_b64 s[6:7], -1
	s_cbranch_scc0 .LBB158_708
; %bb.707:
	s_and_b32 s6, s23, 0xffff
	v_mov_b32_e32 v2, s6
	v_mov_b32_e32 v3, 0
	global_store_dwordx2 v[0:1], v[2:3], off
	s_mov_b64 s[6:7], 0
.LBB158_708:
	s_mov_b64 s[10:11], 0
.LBB158_709:
	s_and_b64 vcc, exec, s[10:11]
	s_cbranch_vccz .LBB158_743
; %bb.710:
	s_cmp_lt_i32 s15, 27
	s_mov_b64 s[10:11], -1
	s_cbranch_scc1 .LBB158_716
; %bb.711:
	s_cmp_gt_i32 s15, 27
	s_cbranch_scc0 .LBB158_713
; %bb.712:
	s_and_b32 s10, 0xffff, s23
	v_mov_b32_e32 v2, s10
	global_store_dword v[0:1], v2, off
	s_mov_b64 s[10:11], 0
.LBB158_713:
	s_andn2_b64 vcc, exec, s[10:11]
	s_cbranch_vccnz .LBB158_715
; %bb.714:
	v_mov_b32_e32 v2, s23
	global_store_short v[0:1], v2, off
.LBB158_715:
	s_mov_b64 s[10:11], 0
.LBB158_716:
	s_andn2_b64 vcc, exec, s[10:11]
	s_cbranch_vccnz .LBB158_743
; %bb.717:
	s_and_b32 s10, 0xffff, s23
	v_cvt_f32_u32_e32 v2, s10
	s_mov_b32 s11, 0x437fffff
	v_mov_b32_e32 v4, 0x80
	v_cmp_lt_u32_e32 vcc, s11, v2
	v_readfirstlane_b32 s10, v2
	s_cbranch_vccnz .LBB158_742
; %bb.718:
	s_cmp_gt_u32 s10, 0x3bffffff
	s_cbranch_scc0 .LBB158_737
; %bb.719:
	s_bfe_u32 s11, s10, 0x10014
	s_add_i32 s10, s10, s11
	s_add_i32 s10, s10, 0x487ffff
	s_lshr_b32 s16, s10, 20
	s_mov_b64 s[12:13], 0
	s_mov_b64 s[10:11], -1
	s_branch .LBB158_738
.LBB158_720:
	s_mov_b64 s[8:9], 0
	s_mov_b64 s[6:7], -1
	s_branch .LBB158_833
.LBB158_721:
	s_trap 2
	s_or_b64 s[4:5], s[4:5], exec
	s_cbranch_execz .LBB158_621
	s_branch .LBB158_622
.LBB158_722:
	s_mov_b64 s[12:13], -1
	s_mov_b64 s[10:11], 0
                                        ; implicit-def: $sgpr17
.LBB158_723:
	s_andn2_b64 vcc, exec, s[12:13]
	v_mov_b32_e32 v4, s17
	s_cbranch_vccnz .LBB158_725
; %bb.724:
	v_add_f32_e32 v3, 0x46000000, v3
	v_and_b32_e32 v4, 0xff, v3
	v_cmp_ne_u32_e64 s[10:11], 0, v4
.LBB158_725:
	s_andn2_b64 vcc, exec, s[10:11]
	v_mov_b32_e32 v5, 0
	s_cbranch_vccnz .LBB158_727
; %bb.726:
	v_mov_b32_e32 v5, v4
.LBB158_727:
	global_store_byte v[0:1], v5, off
.LBB158_728:
	s_mov_b64 s[10:11], -1
.LBB158_729:
	s_mov_b64 s[12:13], 0
.LBB158_730:
	s_and_b64 vcc, exec, s[12:13]
	s_cbranch_vccz .LBB158_790
; %bb.731:
	s_cmp_gt_i32 s16, 22
	s_mov_b64 s[8:9], -1
	s_cbranch_scc0 .LBB158_783
; %bb.732:
	s_cmp_lt_i32 s16, 24
	s_cbranch_scc1 .LBB158_770
; %bb.733:
	s_cmp_gt_i32 s16, 24
	s_cbranch_scc0 .LBB158_757
; %bb.734:
	s_and_b32 s8, 0xffff, s23
	v_cvt_f32_u32_e32 v3, s8
	s_mov_b32 s9, 0x477fffff
	v_mov_b32_e32 v5, 0x80
	v_cmp_lt_u32_e32 vcc, s9, v3
	v_readfirstlane_b32 s8, v3
	s_cbranch_vccnz .LBB158_756
; %bb.735:
	s_cmp_gt_u32 s8, 0x37ffffff
	s_cbranch_scc0 .LBB158_751
; %bb.736:
	s_bfe_u32 s9, s8, 0x10015
	s_add_i32 s8, s8, s9
	s_add_i32 s8, s8, 0x88fffff
	s_lshr_b32 s12, s8, 21
	s_mov_b64 s[10:11], 0
	s_mov_b64 s[8:9], -1
	s_branch .LBB158_752
.LBB158_737:
	s_mov_b64 s[12:13], -1
	s_mov_b64 s[10:11], 0
                                        ; implicit-def: $sgpr16
.LBB158_738:
	s_andn2_b64 vcc, exec, s[12:13]
	v_mov_b32_e32 v3, s16
	s_cbranch_vccnz .LBB158_740
; %bb.739:
	v_add_f32_e32 v2, 0x46000000, v2
	v_and_b32_e32 v3, 0xff, v2
	v_cmp_ne_u32_e64 s[10:11], 0, v3
.LBB158_740:
	s_andn2_b64 vcc, exec, s[10:11]
	v_mov_b32_e32 v4, 0
	s_cbranch_vccnz .LBB158_742
; %bb.741:
	v_mov_b32_e32 v4, v3
.LBB158_742:
	global_store_byte v[0:1], v4, off
.LBB158_743:
	s_mov_b64 s[10:11], 0
.LBB158_744:
	s_and_b64 vcc, exec, s[10:11]
	s_cbranch_vccz .LBB158_914
; %bb.745:
	s_cmp_gt_i32 s15, 22
	s_mov_b64 s[8:9], -1
	s_cbranch_scc0 .LBB158_907
; %bb.746:
	s_cmp_lt_i32 s15, 24
	s_cbranch_scc1 .LBB158_894
; %bb.747:
	s_cmp_gt_i32 s15, 24
	s_cbranch_scc0 .LBB158_881
; %bb.748:
	s_and_b32 s8, 0xffff, s23
	v_cvt_f32_u32_e32 v2, s8
	s_mov_b32 s9, 0x477fffff
	v_mov_b32_e32 v4, 0x80
	v_cmp_lt_u32_e32 vcc, s9, v2
	v_readfirstlane_b32 s8, v2
	s_cbranch_vccnz .LBB158_880
; %bb.749:
	s_cmp_gt_u32 s8, 0x37ffffff
	s_cbranch_scc0 .LBB158_875
; %bb.750:
	s_bfe_u32 s9, s8, 0x10015
	s_add_i32 s8, s8, s9
	s_add_i32 s8, s8, 0x88fffff
	s_lshr_b32 s12, s8, 21
	s_mov_b64 s[10:11], 0
	s_mov_b64 s[8:9], -1
	s_branch .LBB158_876
.LBB158_751:
	s_mov_b64 s[10:11], -1
	s_mov_b64 s[8:9], 0
                                        ; implicit-def: $sgpr12
.LBB158_752:
	s_andn2_b64 vcc, exec, s[10:11]
	v_mov_b32_e32 v4, s12
	s_cbranch_vccnz .LBB158_754
; %bb.753:
	v_add_f32_e32 v3, 0x42800000, v3
	v_and_b32_e32 v4, 0xff, v3
	v_cmp_ne_u32_e64 s[8:9], 0, v4
.LBB158_754:
	s_andn2_b64 vcc, exec, s[8:9]
	v_mov_b32_e32 v5, 0
	s_cbranch_vccnz .LBB158_756
; %bb.755:
	v_mov_b32_e32 v5, v4
.LBB158_756:
	s_mov_b64 s[8:9], 0
	global_store_byte v[0:1], v5, off
.LBB158_757:
	s_and_b64 vcc, exec, s[8:9]
	s_cbranch_vccz .LBB158_769
; %bb.758:
	s_and_b32 s8, 0xffff, s23
	v_cvt_f32_u32_e32 v3, s8
	s_mov_b32 s8, 0x43f00000
	v_cmp_gt_u32_e32 vcc, s8, v3
	v_readfirstlane_b32 s10, v3
	s_cbranch_vccz .LBB158_761
; %bb.759:
	s_cmp_gt_u32 s10, 0x3c7fffff
	s_cbranch_scc0 .LBB158_762
; %bb.760:
	s_bfe_u32 s8, s10, 0x10014
	s_add_i32 s8, s10, s8
	s_add_i32 s8, s8, 0x407ffff
	s_lshr_b32 s9, s8, 20
	s_and_b32 s8, s8, 0xff00000
	s_cmp_lg_u32 s8, 0x7f00000
	s_cselect_b32 s11, s9, 0x7e
	s_mov_b64 s[8:9], 0
	s_branch .LBB158_763
.LBB158_761:
	s_mov_b64 s[8:9], -1
                                        ; implicit-def: $vgpr4
	s_branch .LBB158_766
.LBB158_762:
	s_mov_b64 s[8:9], -1
                                        ; implicit-def: $sgpr11
.LBB158_763:
	s_andn2_b64 vcc, exec, s[8:9]
	v_mov_b32_e32 v4, s11
	s_cbranch_vccnz .LBB158_765
; %bb.764:
	v_add_f32_e32 v4, 0x46800000, v3
.LBB158_765:
	s_mov_b64 s[8:9], 0
.LBB158_766:
	s_andn2_b64 vcc, exec, s[8:9]
	s_cbranch_vccnz .LBB158_768
; %bb.767:
	s_cmp_gt_u32 s10, 0x7f800000
	s_movk_i32 s8, 0x7f
	s_cselect_b32 s8, s8, 0x7e
	v_mov_b32_e32 v4, s8
.LBB158_768:
	global_store_byte v[0:1], v4, off
.LBB158_769:
	s_mov_b64 s[8:9], 0
.LBB158_770:
	s_andn2_b64 vcc, exec, s[8:9]
	s_cbranch_vccnz .LBB158_782
; %bb.771:
	s_and_b32 s8, 0xffff, s23
	v_cvt_f32_u32_e32 v3, s8
	s_mov_b32 s8, 0x47800000
	v_cmp_gt_u32_e32 vcc, s8, v3
	v_readfirstlane_b32 s10, v3
	s_cbranch_vccz .LBB158_774
; %bb.772:
	s_cmp_gt_u32 s10, 0x387fffff
	s_cbranch_scc0 .LBB158_775
; %bb.773:
	s_bfe_u32 s8, s10, 0x10015
	s_add_i32 s8, s10, s8
	s_add_i32 s8, s8, 0x80fffff
	s_lshr_b32 s11, s8, 21
	s_mov_b64 s[8:9], 0
	s_branch .LBB158_776
.LBB158_774:
	s_mov_b64 s[8:9], -1
                                        ; implicit-def: $vgpr4
	s_branch .LBB158_779
.LBB158_775:
	s_mov_b64 s[8:9], -1
                                        ; implicit-def: $sgpr11
.LBB158_776:
	s_andn2_b64 vcc, exec, s[8:9]
	v_mov_b32_e32 v4, s11
	s_cbranch_vccnz .LBB158_778
; %bb.777:
	v_add_f32_e32 v4, 0x43000000, v3
.LBB158_778:
	s_mov_b64 s[8:9], 0
.LBB158_779:
	s_andn2_b64 vcc, exec, s[8:9]
	s_cbranch_vccnz .LBB158_781
; %bb.780:
	s_cmp_gt_u32 s10, 0x7f800000
	s_movk_i32 s8, 0x7f
	s_cselect_b32 s8, s8, 0x7c
	v_mov_b32_e32 v4, s8
.LBB158_781:
	global_store_byte v[0:1], v4, off
.LBB158_782:
	s_mov_b64 s[8:9], 0
	s_mov_b64 s[10:11], -1
.LBB158_783:
	s_andn2_b64 vcc, exec, s[8:9]
	s_mov_b64 s[8:9], 0
	s_cbranch_vccnz .LBB158_790
; %bb.784:
	s_cmp_gt_i32 s16, 14
	s_mov_b64 s[12:13], -1
	s_cbranch_scc0 .LBB158_788
; %bb.785:
	s_cmp_eq_u32 s16, 15
	s_mov_b64 s[6:7], -1
	s_cbranch_scc0 .LBB158_787
; %bb.786:
	s_and_b32 s6, 0xffff, s23
	v_cvt_f32_u32_e32 v3, s6
	s_mov_b64 s[6:7], 0
	s_mov_b64 s[10:11], -1
	v_bfe_u32 v4, v3, 16, 1
	v_add_u32_e32 v3, v3, v4
	v_add_u32_e32 v3, 0x7fff, v3
	global_store_short_d16_hi v[0:1], v3, off
.LBB158_787:
	s_mov_b64 s[12:13], 0
.LBB158_788:
	s_and_b64 vcc, exec, s[12:13]
	s_cbranch_vccz .LBB158_790
; %bb.789:
	s_cmp_lg_u32 s16, 11
	s_mov_b64 s[8:9], -1
	s_cselect_b64 s[6:7], -1, 0
.LBB158_790:
	s_and_b64 vcc, exec, s[6:7]
	s_cbranch_vccnz .LBB158_874
; %bb.791:
	s_andn2_b64 vcc, exec, s[8:9]
	s_cbranch_vccnz .LBB158_793
.LBB158_792:
	s_and_b32 s6, 0xffff, s23
	s_cmp_lg_u32 s6, 0
	s_cselect_b64 s[6:7], -1, 0
	v_cndmask_b32_e64 v3, 0, 1, s[6:7]
	s_mov_b64 s[10:11], -1
	global_store_byte v[0:1], v3, off
.LBB158_793:
	s_branch .LBB158_690
.LBB158_794:
	s_and_b32 s8, 0xffff, s14
	s_cmp_lt_i32 s8, 5
	s_mov_b64 s[6:7], -1
	s_cbranch_scc1 .LBB158_815
; %bb.795:
	s_cmp_lt_i32 s8, 8
	s_cbranch_scc1 .LBB158_805
; %bb.796:
	s_cmp_lt_i32 s8, 9
	s_cbranch_scc1 .LBB158_802
; %bb.797:
	s_cmp_gt_i32 s8, 9
	s_cbranch_scc0 .LBB158_799
; %bb.798:
	s_and_b32 s6, 0xffff, s23
	v_cvt_f64_u32_e32 v[3:4], s6
	v_mov_b32_e32 v5, 0
	v_mov_b32_e32 v6, v5
	s_mov_b64 s[6:7], 0
	global_store_dwordx4 v[0:1], v[3:6], off
.LBB158_799:
	s_andn2_b64 vcc, exec, s[6:7]
	s_cbranch_vccnz .LBB158_801
; %bb.800:
	s_and_b32 s6, 0xffff, s23
	v_cvt_f32_u32_e32 v3, s6
	v_mov_b32_e32 v4, 0
	global_store_dwordx2 v[0:1], v[3:4], off
.LBB158_801:
	s_mov_b64 s[6:7], 0
.LBB158_802:
	s_andn2_b64 vcc, exec, s[6:7]
	s_cbranch_vccnz .LBB158_804
; %bb.803:
	v_cvt_f16_u16_e32 v3, s23
	global_store_dword v[0:1], v3, off
.LBB158_804:
	s_mov_b64 s[6:7], 0
.LBB158_805:
	s_andn2_b64 vcc, exec, s[6:7]
	s_cbranch_vccnz .LBB158_814
; %bb.806:
	s_cmp_lt_i32 s8, 6
	s_mov_b64 s[6:7], -1
	s_cbranch_scc1 .LBB158_812
; %bb.807:
	s_cmp_gt_i32 s8, 6
	s_cbranch_scc0 .LBB158_809
; %bb.808:
	s_and_b32 s6, 0xffff, s23
	v_cvt_f64_u32_e32 v[3:4], s6
	s_mov_b64 s[6:7], 0
	global_store_dwordx2 v[0:1], v[3:4], off
.LBB158_809:
	s_andn2_b64 vcc, exec, s[6:7]
	s_cbranch_vccnz .LBB158_811
; %bb.810:
	s_and_b32 s6, 0xffff, s23
	v_cvt_f32_u32_e32 v3, s6
	global_store_dword v[0:1], v3, off
.LBB158_811:
	s_mov_b64 s[6:7], 0
.LBB158_812:
	s_andn2_b64 vcc, exec, s[6:7]
	s_cbranch_vccnz .LBB158_814
; %bb.813:
	v_cvt_f16_u16_e32 v3, s23
	global_store_short v[0:1], v3, off
.LBB158_814:
	s_mov_b64 s[6:7], 0
.LBB158_815:
	s_andn2_b64 vcc, exec, s[6:7]
	s_cbranch_vccnz .LBB158_831
; %bb.816:
	s_cmp_lt_i32 s8, 2
	s_mov_b64 s[6:7], -1
	s_cbranch_scc1 .LBB158_826
; %bb.817:
	s_cmp_lt_i32 s8, 3
	s_cbranch_scc1 .LBB158_823
; %bb.818:
	s_cmp_gt_i32 s8, 3
	s_cbranch_scc0 .LBB158_820
; %bb.819:
	s_and_b32 s6, s23, 0xffff
	v_mov_b32_e32 v3, s6
	v_mov_b32_e32 v4, 0
	global_store_dwordx2 v[0:1], v[3:4], off
	s_mov_b64 s[6:7], 0
.LBB158_820:
	s_andn2_b64 vcc, exec, s[6:7]
	s_cbranch_vccnz .LBB158_822
; %bb.821:
	s_and_b32 s6, 0xffff, s23
	v_mov_b32_e32 v3, s6
	global_store_dword v[0:1], v3, off
.LBB158_822:
	s_mov_b64 s[6:7], 0
.LBB158_823:
	s_andn2_b64 vcc, exec, s[6:7]
	s_cbranch_vccnz .LBB158_825
; %bb.824:
	v_mov_b32_e32 v3, s23
	global_store_short v[0:1], v3, off
.LBB158_825:
	s_mov_b64 s[6:7], 0
.LBB158_826:
	s_andn2_b64 vcc, exec, s[6:7]
	s_cbranch_vccnz .LBB158_831
; %bb.827:
	s_cmp_gt_i32 s8, 0
	s_mov_b64 s[6:7], -1
	s_cbranch_scc0 .LBB158_829
; %bb.828:
	v_mov_b32_e32 v3, s23
	global_store_byte v[0:1], v3, off
	s_mov_b64 s[6:7], 0
.LBB158_829:
	s_andn2_b64 vcc, exec, s[6:7]
	s_cbranch_vccnz .LBB158_831
; %bb.830:
	v_mov_b32_e32 v3, s23
	global_store_byte v[0:1], v3, off
.LBB158_831:
	s_branch .LBB158_691
.LBB158_832:
	s_mov_b64 s[6:7], 0
	s_mov_b64 s[8:9], 0
                                        ; implicit-def: $sgpr14
                                        ; implicit-def: $vgpr0_vgpr1
.LBB158_833:
	s_andn2_b64 s[0:1], s[0:1], exec
	s_and_b64 s[4:5], s[4:5], exec
	s_and_b64 s[6:7], s[6:7], exec
	;; [unrolled: 1-line block ×3, first 2 shown]
	s_or_b64 s[0:1], s[0:1], s[4:5]
	s_or_b64 exec, exec, s[2:3]
	s_and_saveexec_b64 s[2:3], s[0:1]
	s_cbranch_execnz .LBB158_434
.LBB158_834:
	s_or_b64 exec, exec, s[2:3]
	s_and_saveexec_b64 s[0:1], s[18:19]
	s_xor_b64 s[0:1], exec, s[0:1]
	s_cbranch_execz .LBB158_435
.LBB158_835:
	s_and_b32 s2, 0xffff, s23
	s_cmp_lg_u32 s2, 0
	s_cselect_b64 s[2:3], -1, 0
	v_cndmask_b32_e64 v2, 0, 1, s[2:3]
	global_store_byte v[0:1], v2, off
	s_or_b64 exec, exec, s[0:1]
	s_and_saveexec_b64 s[0:1], s[6:7]
	s_cbranch_execz .LBB158_873
.LBB158_836:
	s_sext_i32_i16 s2, s14
	s_cmp_lt_i32 s2, 5
	s_mov_b64 s[0:1], -1
	s_cbranch_scc1 .LBB158_857
; %bb.837:
	s_cmp_lt_i32 s2, 8
	s_cbranch_scc1 .LBB158_847
; %bb.838:
	s_cmp_lt_i32 s2, 9
	s_cbranch_scc1 .LBB158_844
; %bb.839:
	s_cmp_gt_i32 s2, 9
	s_cbranch_scc0 .LBB158_841
; %bb.840:
	s_and_b32 s0, 0xffff, s23
	v_cvt_f64_u32_e32 v[2:3], s0
	v_mov_b32_e32 v4, 0
	v_mov_b32_e32 v5, v4
	s_mov_b64 s[0:1], 0
	global_store_dwordx4 v[0:1], v[2:5], off
.LBB158_841:
	s_andn2_b64 vcc, exec, s[0:1]
	s_cbranch_vccnz .LBB158_843
; %bb.842:
	s_and_b32 s0, 0xffff, s23
	v_cvt_f32_u32_e32 v2, s0
	v_mov_b32_e32 v3, 0
	global_store_dwordx2 v[0:1], v[2:3], off
.LBB158_843:
	s_mov_b64 s[0:1], 0
.LBB158_844:
	s_andn2_b64 vcc, exec, s[0:1]
	s_cbranch_vccnz .LBB158_846
; %bb.845:
	v_cvt_f16_u16_e32 v2, s23
	global_store_dword v[0:1], v2, off
.LBB158_846:
	s_mov_b64 s[0:1], 0
.LBB158_847:
	s_andn2_b64 vcc, exec, s[0:1]
	s_cbranch_vccnz .LBB158_856
; %bb.848:
	s_sext_i32_i16 s2, s14
	s_cmp_lt_i32 s2, 6
	s_mov_b64 s[0:1], -1
	s_cbranch_scc1 .LBB158_854
; %bb.849:
	s_cmp_gt_i32 s2, 6
	s_cbranch_scc0 .LBB158_851
; %bb.850:
	s_and_b32 s0, 0xffff, s23
	v_cvt_f64_u32_e32 v[2:3], s0
	s_mov_b64 s[0:1], 0
	global_store_dwordx2 v[0:1], v[2:3], off
.LBB158_851:
	s_andn2_b64 vcc, exec, s[0:1]
	s_cbranch_vccnz .LBB158_853
; %bb.852:
	s_and_b32 s0, 0xffff, s23
	v_cvt_f32_u32_e32 v2, s0
	global_store_dword v[0:1], v2, off
.LBB158_853:
	s_mov_b64 s[0:1], 0
.LBB158_854:
	s_andn2_b64 vcc, exec, s[0:1]
	s_cbranch_vccnz .LBB158_856
; %bb.855:
	v_cvt_f16_u16_e32 v2, s23
	global_store_short v[0:1], v2, off
.LBB158_856:
	s_mov_b64 s[0:1], 0
.LBB158_857:
	s_andn2_b64 vcc, exec, s[0:1]
	s_cbranch_vccnz .LBB158_873
; %bb.858:
	s_sext_i32_i16 s2, s14
	s_cmp_lt_i32 s2, 2
	s_mov_b64 s[0:1], -1
	s_cbranch_scc1 .LBB158_868
; %bb.859:
	s_cmp_lt_i32 s2, 3
	s_cbranch_scc1 .LBB158_865
; %bb.860:
	s_cmp_gt_i32 s2, 3
	s_cbranch_scc0 .LBB158_862
; %bb.861:
	s_and_b32 s0, s23, 0xffff
	v_mov_b32_e32 v2, s0
	v_mov_b32_e32 v3, 0
	global_store_dwordx2 v[0:1], v[2:3], off
	s_mov_b64 s[0:1], 0
.LBB158_862:
	s_andn2_b64 vcc, exec, s[0:1]
	s_cbranch_vccnz .LBB158_864
; %bb.863:
	s_and_b32 s0, 0xffff, s23
	v_mov_b32_e32 v2, s0
	global_store_dword v[0:1], v2, off
.LBB158_864:
	s_mov_b64 s[0:1], 0
.LBB158_865:
	s_andn2_b64 vcc, exec, s[0:1]
	s_cbranch_vccnz .LBB158_867
; %bb.866:
	v_mov_b32_e32 v2, s23
	global_store_short v[0:1], v2, off
.LBB158_867:
	s_mov_b64 s[0:1], 0
.LBB158_868:
	s_andn2_b64 vcc, exec, s[0:1]
	s_cbranch_vccnz .LBB158_873
; %bb.869:
	s_sext_i32_i16 s0, s14
	s_cmp_gt_i32 s0, 0
	s_mov_b64 s[0:1], -1
	s_cbranch_scc0 .LBB158_871
; %bb.870:
	v_mov_b32_e32 v2, s23
	global_store_byte v[0:1], v2, off
	s_mov_b64 s[0:1], 0
.LBB158_871:
	s_andn2_b64 vcc, exec, s[0:1]
	s_cbranch_vccnz .LBB158_873
; %bb.872:
	v_mov_b32_e32 v2, s23
	global_store_byte v[0:1], v2, off
	s_endpgm
.LBB158_873:
	s_endpgm
.LBB158_874:
	s_trap 2
	s_or_b64 s[4:5], s[4:5], exec
	s_cbranch_execz .LBB158_792
	s_branch .LBB158_793
.LBB158_875:
	s_mov_b64 s[10:11], -1
	s_mov_b64 s[8:9], 0
                                        ; implicit-def: $sgpr12
.LBB158_876:
	s_andn2_b64 vcc, exec, s[10:11]
	v_mov_b32_e32 v3, s12
	s_cbranch_vccnz .LBB158_878
; %bb.877:
	v_add_f32_e32 v2, 0x42800000, v2
	v_and_b32_e32 v3, 0xff, v2
	v_cmp_ne_u32_e64 s[8:9], 0, v3
.LBB158_878:
	s_andn2_b64 vcc, exec, s[8:9]
	v_mov_b32_e32 v4, 0
	s_cbranch_vccnz .LBB158_880
; %bb.879:
	v_mov_b32_e32 v4, v3
.LBB158_880:
	s_mov_b64 s[8:9], 0
	global_store_byte v[0:1], v4, off
.LBB158_881:
	s_and_b64 vcc, exec, s[8:9]
	s_cbranch_vccz .LBB158_893
; %bb.882:
	s_and_b32 s8, 0xffff, s23
	v_cvt_f32_u32_e32 v2, s8
	s_mov_b32 s8, 0x43f00000
	v_cmp_gt_u32_e32 vcc, s8, v2
	v_readfirstlane_b32 s10, v2
	s_cbranch_vccz .LBB158_885
; %bb.883:
	s_cmp_gt_u32 s10, 0x3c7fffff
	s_cbranch_scc0 .LBB158_886
; %bb.884:
	s_bfe_u32 s8, s10, 0x10014
	s_add_i32 s8, s10, s8
	s_add_i32 s8, s8, 0x407ffff
	s_lshr_b32 s9, s8, 20
	s_and_b32 s8, s8, 0xff00000
	s_cmp_lg_u32 s8, 0x7f00000
	s_cselect_b32 s11, s9, 0x7e
	s_mov_b64 s[8:9], 0
	s_branch .LBB158_887
.LBB158_885:
	s_mov_b64 s[8:9], -1
                                        ; implicit-def: $vgpr3
	s_branch .LBB158_890
.LBB158_886:
	s_mov_b64 s[8:9], -1
                                        ; implicit-def: $sgpr11
.LBB158_887:
	s_andn2_b64 vcc, exec, s[8:9]
	v_mov_b32_e32 v3, s11
	s_cbranch_vccnz .LBB158_889
; %bb.888:
	v_add_f32_e32 v3, 0x46800000, v2
.LBB158_889:
	s_mov_b64 s[8:9], 0
.LBB158_890:
	s_andn2_b64 vcc, exec, s[8:9]
	s_cbranch_vccnz .LBB158_892
; %bb.891:
	s_cmp_gt_u32 s10, 0x7f800000
	s_movk_i32 s8, 0x7f
	s_cselect_b32 s8, s8, 0x7e
	v_mov_b32_e32 v3, s8
.LBB158_892:
	global_store_byte v[0:1], v3, off
.LBB158_893:
	s_mov_b64 s[8:9], 0
.LBB158_894:
	s_andn2_b64 vcc, exec, s[8:9]
	s_cbranch_vccnz .LBB158_906
; %bb.895:
	s_and_b32 s8, 0xffff, s23
	v_cvt_f32_u32_e32 v2, s8
	s_mov_b32 s8, 0x47800000
	v_cmp_gt_u32_e32 vcc, s8, v2
	v_readfirstlane_b32 s10, v2
	s_cbranch_vccz .LBB158_898
; %bb.896:
	s_cmp_gt_u32 s10, 0x387fffff
	s_cbranch_scc0 .LBB158_899
; %bb.897:
	s_bfe_u32 s8, s10, 0x10015
	s_add_i32 s8, s10, s8
	s_add_i32 s8, s8, 0x80fffff
	s_lshr_b32 s11, s8, 21
	s_mov_b64 s[8:9], 0
	s_branch .LBB158_900
.LBB158_898:
	s_mov_b64 s[8:9], -1
                                        ; implicit-def: $vgpr3
	s_branch .LBB158_903
.LBB158_899:
	s_mov_b64 s[8:9], -1
                                        ; implicit-def: $sgpr11
.LBB158_900:
	s_andn2_b64 vcc, exec, s[8:9]
	v_mov_b32_e32 v3, s11
	s_cbranch_vccnz .LBB158_902
; %bb.901:
	v_add_f32_e32 v3, 0x43000000, v2
.LBB158_902:
	s_mov_b64 s[8:9], 0
.LBB158_903:
	s_andn2_b64 vcc, exec, s[8:9]
	s_cbranch_vccnz .LBB158_905
; %bb.904:
	s_cmp_gt_u32 s10, 0x7f800000
	s_movk_i32 s8, 0x7f
	s_cselect_b32 s8, s8, 0x7c
	v_mov_b32_e32 v3, s8
.LBB158_905:
	global_store_byte v[0:1], v3, off
.LBB158_906:
	s_mov_b64 s[8:9], 0
.LBB158_907:
	s_andn2_b64 vcc, exec, s[8:9]
	s_mov_b64 s[8:9], 0
	s_cbranch_vccnz .LBB158_914
; %bb.908:
	s_cmp_gt_i32 s15, 14
	s_mov_b64 s[10:11], -1
	s_cbranch_scc0 .LBB158_912
; %bb.909:
	s_cmp_eq_u32 s15, 15
	s_mov_b64 s[6:7], -1
	s_cbranch_scc0 .LBB158_911
; %bb.910:
	s_and_b32 s6, 0xffff, s23
	v_cvt_f32_u32_e32 v2, s6
	s_mov_b64 s[6:7], 0
	v_bfe_u32 v3, v2, 16, 1
	v_add_u32_e32 v2, v2, v3
	v_add_u32_e32 v2, 0x7fff, v2
	global_store_short_d16_hi v[0:1], v2, off
.LBB158_911:
	s_mov_b64 s[10:11], 0
.LBB158_912:
	s_and_b64 vcc, exec, s[10:11]
	s_cbranch_vccz .LBB158_914
; %bb.913:
	s_cmp_lg_u32 s15, 11
	s_mov_b64 s[8:9], -1
	s_cselect_b64 s[6:7], -1, 0
.LBB158_914:
	s_and_b64 vcc, exec, s[6:7]
	s_cbranch_vccnz .LBB158_916
.LBB158_915:
	s_mov_b64 s[6:7], 0
	s_branch .LBB158_833
.LBB158_916:
	s_mov_b64 s[8:9], 0
	s_or_b64 s[4:5], s[4:5], exec
	s_trap 2
	s_branch .LBB158_915
	.section	.rodata,"a",@progbits
	.p2align	6, 0x0
	.amdhsa_kernel _ZN2at6native32elementwise_kernel_manual_unrollILi128ELi4EZNS0_15gpu_kernel_implINS0_11FillFunctorItEEEEvRNS_18TensorIteratorBaseERKT_EUlibE_EEviT1_
		.amdhsa_group_segment_fixed_size 0
		.amdhsa_private_segment_fixed_size 0
		.amdhsa_kernarg_size 24
		.amdhsa_user_sgpr_count 6
		.amdhsa_user_sgpr_private_segment_buffer 1
		.amdhsa_user_sgpr_dispatch_ptr 0
		.amdhsa_user_sgpr_queue_ptr 0
		.amdhsa_user_sgpr_kernarg_segment_ptr 1
		.amdhsa_user_sgpr_dispatch_id 0
		.amdhsa_user_sgpr_flat_scratch_init 0
		.amdhsa_user_sgpr_private_segment_size 0
		.amdhsa_uses_dynamic_stack 0
		.amdhsa_system_sgpr_private_segment_wavefront_offset 0
		.amdhsa_system_sgpr_workgroup_id_x 1
		.amdhsa_system_sgpr_workgroup_id_y 0
		.amdhsa_system_sgpr_workgroup_id_z 0
		.amdhsa_system_sgpr_workgroup_info 0
		.amdhsa_system_vgpr_workitem_id 0
		.amdhsa_next_free_vgpr 23
		.amdhsa_next_free_sgpr 55
		.amdhsa_reserve_vcc 1
		.amdhsa_reserve_flat_scratch 0
		.amdhsa_float_round_mode_32 0
		.amdhsa_float_round_mode_16_64 0
		.amdhsa_float_denorm_mode_32 3
		.amdhsa_float_denorm_mode_16_64 3
		.amdhsa_dx10_clamp 1
		.amdhsa_ieee_mode 1
		.amdhsa_fp16_overflow 0
		.amdhsa_exception_fp_ieee_invalid_op 0
		.amdhsa_exception_fp_denorm_src 0
		.amdhsa_exception_fp_ieee_div_zero 0
		.amdhsa_exception_fp_ieee_overflow 0
		.amdhsa_exception_fp_ieee_underflow 0
		.amdhsa_exception_fp_ieee_inexact 0
		.amdhsa_exception_int_div_zero 0
	.end_amdhsa_kernel
	.section	.text._ZN2at6native32elementwise_kernel_manual_unrollILi128ELi4EZNS0_15gpu_kernel_implINS0_11FillFunctorItEEEEvRNS_18TensorIteratorBaseERKT_EUlibE_EEviT1_,"axG",@progbits,_ZN2at6native32elementwise_kernel_manual_unrollILi128ELi4EZNS0_15gpu_kernel_implINS0_11FillFunctorItEEEEvRNS_18TensorIteratorBaseERKT_EUlibE_EEviT1_,comdat
.Lfunc_end158:
	.size	_ZN2at6native32elementwise_kernel_manual_unrollILi128ELi4EZNS0_15gpu_kernel_implINS0_11FillFunctorItEEEEvRNS_18TensorIteratorBaseERKT_EUlibE_EEviT1_, .Lfunc_end158-_ZN2at6native32elementwise_kernel_manual_unrollILi128ELi4EZNS0_15gpu_kernel_implINS0_11FillFunctorItEEEEvRNS_18TensorIteratorBaseERKT_EUlibE_EEviT1_
                                        ; -- End function
	.set _ZN2at6native32elementwise_kernel_manual_unrollILi128ELi4EZNS0_15gpu_kernel_implINS0_11FillFunctorItEEEEvRNS_18TensorIteratorBaseERKT_EUlibE_EEviT1_.num_vgpr, 23
	.set _ZN2at6native32elementwise_kernel_manual_unrollILi128ELi4EZNS0_15gpu_kernel_implINS0_11FillFunctorItEEEEvRNS_18TensorIteratorBaseERKT_EUlibE_EEviT1_.num_agpr, 0
	.set _ZN2at6native32elementwise_kernel_manual_unrollILi128ELi4EZNS0_15gpu_kernel_implINS0_11FillFunctorItEEEEvRNS_18TensorIteratorBaseERKT_EUlibE_EEviT1_.numbered_sgpr, 55
	.set _ZN2at6native32elementwise_kernel_manual_unrollILi128ELi4EZNS0_15gpu_kernel_implINS0_11FillFunctorItEEEEvRNS_18TensorIteratorBaseERKT_EUlibE_EEviT1_.num_named_barrier, 0
	.set _ZN2at6native32elementwise_kernel_manual_unrollILi128ELi4EZNS0_15gpu_kernel_implINS0_11FillFunctorItEEEEvRNS_18TensorIteratorBaseERKT_EUlibE_EEviT1_.private_seg_size, 0
	.set _ZN2at6native32elementwise_kernel_manual_unrollILi128ELi4EZNS0_15gpu_kernel_implINS0_11FillFunctorItEEEEvRNS_18TensorIteratorBaseERKT_EUlibE_EEviT1_.uses_vcc, 1
	.set _ZN2at6native32elementwise_kernel_manual_unrollILi128ELi4EZNS0_15gpu_kernel_implINS0_11FillFunctorItEEEEvRNS_18TensorIteratorBaseERKT_EUlibE_EEviT1_.uses_flat_scratch, 0
	.set _ZN2at6native32elementwise_kernel_manual_unrollILi128ELi4EZNS0_15gpu_kernel_implINS0_11FillFunctorItEEEEvRNS_18TensorIteratorBaseERKT_EUlibE_EEviT1_.has_dyn_sized_stack, 0
	.set _ZN2at6native32elementwise_kernel_manual_unrollILi128ELi4EZNS0_15gpu_kernel_implINS0_11FillFunctorItEEEEvRNS_18TensorIteratorBaseERKT_EUlibE_EEviT1_.has_recursion, 0
	.set _ZN2at6native32elementwise_kernel_manual_unrollILi128ELi4EZNS0_15gpu_kernel_implINS0_11FillFunctorItEEEEvRNS_18TensorIteratorBaseERKT_EUlibE_EEviT1_.has_indirect_call, 0
	.section	.AMDGPU.csdata,"",@progbits
; Kernel info:
; codeLenInByte = 12132
; TotalNumSgprs: 59
; NumVgprs: 23
; ScratchSize: 0
; MemoryBound: 0
; FloatMode: 240
; IeeeMode: 1
; LDSByteSize: 0 bytes/workgroup (compile time only)
; SGPRBlocks: 7
; VGPRBlocks: 5
; NumSGPRsForWavesPerEU: 59
; NumVGPRsForWavesPerEU: 23
; Occupancy: 10
; WaveLimiterHint : 0
; COMPUTE_PGM_RSRC2:SCRATCH_EN: 0
; COMPUTE_PGM_RSRC2:USER_SGPR: 6
; COMPUTE_PGM_RSRC2:TRAP_HANDLER: 0
; COMPUTE_PGM_RSRC2:TGID_X_EN: 1
; COMPUTE_PGM_RSRC2:TGID_Y_EN: 0
; COMPUTE_PGM_RSRC2:TGID_Z_EN: 0
; COMPUTE_PGM_RSRC2:TIDIG_COMP_CNT: 0
	.section	.text._ZN2at6native32elementwise_kernel_manual_unrollILi128ELi4EZNS0_15gpu_kernel_implINS0_11FillFunctorItEEEEvRNS_18TensorIteratorBaseERKT_EUlibE0_EEviT1_,"axG",@progbits,_ZN2at6native32elementwise_kernel_manual_unrollILi128ELi4EZNS0_15gpu_kernel_implINS0_11FillFunctorItEEEEvRNS_18TensorIteratorBaseERKT_EUlibE0_EEviT1_,comdat
	.protected	_ZN2at6native32elementwise_kernel_manual_unrollILi128ELi4EZNS0_15gpu_kernel_implINS0_11FillFunctorItEEEEvRNS_18TensorIteratorBaseERKT_EUlibE0_EEviT1_ ; -- Begin function _ZN2at6native32elementwise_kernel_manual_unrollILi128ELi4EZNS0_15gpu_kernel_implINS0_11FillFunctorItEEEEvRNS_18TensorIteratorBaseERKT_EUlibE0_EEviT1_
	.globl	_ZN2at6native32elementwise_kernel_manual_unrollILi128ELi4EZNS0_15gpu_kernel_implINS0_11FillFunctorItEEEEvRNS_18TensorIteratorBaseERKT_EUlibE0_EEviT1_
	.p2align	8
	.type	_ZN2at6native32elementwise_kernel_manual_unrollILi128ELi4EZNS0_15gpu_kernel_implINS0_11FillFunctorItEEEEvRNS_18TensorIteratorBaseERKT_EUlibE0_EEviT1_,@function
_ZN2at6native32elementwise_kernel_manual_unrollILi128ELi4EZNS0_15gpu_kernel_implINS0_11FillFunctorItEEEEvRNS_18TensorIteratorBaseERKT_EUlibE0_EEviT1_: ; @_ZN2at6native32elementwise_kernel_manual_unrollILi128ELi4EZNS0_15gpu_kernel_implINS0_11FillFunctorItEEEEvRNS_18TensorIteratorBaseERKT_EUlibE0_EEviT1_
; %bb.0:
	s_load_dword s85, s[4:5], 0x0
	s_load_dword s33, s[4:5], 0x8
	s_add_u32 s34, s4, 8
	s_addc_u32 s35, s5, 0
	v_lshl_or_b32 v8, s6, 9, v0
	v_or_b32_e32 v9, 0x180, v8
	s_waitcnt lgkmcnt(0)
	s_add_i32 s82, s33, -1
	s_cmp_gt_u32 s82, 1
	v_cmp_le_i32_e32 vcc, s85, v9
	s_cselect_b64 s[46:47], -1, 0
	s_mov_b64 s[44:45], 0
	s_mov_b64 s[6:7], 0
	s_and_saveexec_b64 s[0:1], vcc
	s_xor_b64 s[48:49], exec, s[0:1]
	s_cbranch_execz .LBB159_462
; %bb.1:
	s_load_dword s83, s[34:35], 0x110
	s_cmp_lg_u32 s33, 0
	s_cselect_b64 s[66:67], -1, 0
	s_add_u32 s64, s34, 0xc4
	s_addc_u32 s65, s35, 0
	s_min_u32 s86, s82, 15
	s_cmp_gt_u32 s33, 1
	s_cselect_b64 s[60:61], -1, 0
	s_waitcnt lgkmcnt(0)
	s_and_b32 s50, s83, 0xffff
	v_cvt_f32_u32_e32 v4, s50
	s_load_dwordx2 s[58:59], s[34:35], 0xc4
	s_load_dword s0, s[4:5], 0x118
	s_load_dwordx2 s[56:57], s[34:35], 0x108
	s_mov_b32 s2, 0x47800000
	v_mov_b32_e32 v3, 0x7e
	v_and_b32_e32 v1, 0x400000, v4
	v_lshrrev_b32_e32 v0, 23, v4
	v_cmp_ne_u32_e32 vcc, 0, v1
	v_and_b32_e32 v1, 0x3fffff, v4
	s_waitcnt lgkmcnt(0)
	s_lshr_b32 s84, s0, 16
	s_movk_i32 s0, 0xff
	v_or_b32_e32 v1, v0, v1
	v_cmp_eq_u32_e64 s[18:19], s0, v0
	v_cmp_ne_u32_e64 s[0:1], 0, v1
	s_and_b64 s[0:1], vcc, s[0:1]
	v_cndmask_b32_e64 v1, 0, 1, s[0:1]
	s_mov_b32 s0, 0x43800000
	v_cmp_gt_u32_e64 s[16:17], s0, v4
	s_mov_b32 s0, 0x3bffffff
	v_add_f32_e32 v21, 0x46000000, v4
	v_add_u32_e32 v22, v0, v1
	v_cmp_lt_u32_e64 s[14:15], s0, v4
	v_bfe_u32 v0, v4, 20, 1
	v_readfirstlane_b32 s0, v21
	v_add_u32_e32 v0, v4, v0
	s_and_b32 s0, s0, 0xff
	v_cmp_gt_u32_e64 s[12:13], s2, v4
	s_mov_b32 s2, 0x37ffffff
	v_add_f32_e32 v18, 0x42800000, v4
	v_add_u32_e32 v1, 0x487ffff, v0
	s_cmp_lg_u32 s0, 0
	v_cmp_lt_u32_e64 s[10:11], s2, v4
	v_readfirstlane_b32 s2, v18
	v_lshrrev_b32_e32 v20, 20, v1
	s_cselect_b64 s[54:55], -1, 0
	v_bfe_u32 v1, v4, 21, 1
	s_and_b32 s2, s2, 0xff
	v_add_u32_e32 v1, v4, v1
	s_cmp_lg_u32 s2, 0
	s_mov_b32 s2, 0x43efffff
	v_add_u32_e32 v2, 0x88fffff, v1
	v_cmp_lt_u32_e64 s[6:7], s2, v4
	s_mov_b32 s2, 0x3c800000
	v_add_u32_e32 v0, 0x407ffff, v0
	v_lshrrev_b32_e32 v17, 21, v2
	v_cmp_gt_u32_e64 s[8:9], s2, v4
	v_lshrrev_b32_e32 v2, 20, v0
	v_and_b32_e32 v0, 0xff00000, v0
	s_mov_b32 s2, 0x7f00000
	v_cmp_ne_u32_e32 vcc, s2, v0
	v_add_u32_e32 v0, 0x80fffff, v1
	s_mov_b32 s20, 0x7f800000
	v_cndmask_b32_e32 v15, v3, v2, vcc
	v_lshrrev_b32_e32 v12, 21, v0
	v_mov_b32_e32 v0, 0x7f
	v_cmp_lt_u32_e32 vcc, s20, v4
	v_mov_b32_e32 v1, 0x7c
	v_cndmask_b32_e32 v19, v3, v0, vcc
	v_cndmask_b32_e32 v14, v1, v0, vcc
	v_bfe_u32 v0, v4, 16, 1
	v_add_u32_e32 v0, v4, v0
	s_load_dwordx4 s[28:31], s[34:35], 0x4
	s_load_dwordx2 s[62:63], s[34:35], 0x14
	v_add_u32_e32 v0, 0x7fff, v0
	v_lshrrev_b32_e32 v11, 16, v0
	v_cvt_f64_u32_e32 v[0:1], s50
	s_cselect_b64 s[52:53], -1, 0
	s_cmp_lg_u32 s50, 0
	s_mov_b32 s0, 0x477fffff
	s_mov_b32 s2, 0x38800000
	s_cselect_b64 s[20:21], -1, 0
	s_mov_b32 s51, 0
	v_cmp_lt_u32_e64 s[0:1], s0, v4
	v_add_f32_e32 v16, 0x46800000, v4
	v_cmp_gt_u32_e64 s[2:3], s2, v4
	v_add_f32_e32 v13, 0x43000000, v4
	v_cndmask_b32_e64 v10, 0, 1, s[20:21]
	v_cmp_gt_i32_e32 vcc, s85, v8
	s_mov_b64 s[22:23], -1
	s_mov_b64 s[74:75], 0
	s_mov_b64 s[68:69], 0
	v_cvt_f16_u16_e32 v9, s83
	s_and_saveexec_b64 s[70:71], vcc
	s_cbranch_execz .LBB159_114
; %bb.2:
	s_andn2_b64 vcc, exec, s[46:47]
	s_cbranch_vccnz .LBB159_7
; %bb.3:
	s_andn2_b64 vcc, exec, s[66:67]
	s_cbranch_vccnz .LBB159_8
; %bb.4:
	s_add_i32 s77, s86, 1
	s_cmp_eq_u32 s82, 2
	s_cbranch_scc1 .LBB159_9
; %bb.5:
	s_and_b32 s76, s77, 28
	s_mov_b32 s78, 0
	v_mov_b32_e32 v2, 0
	s_mov_b64 s[68:69], s[34:35]
	s_mov_b64 s[72:73], s[64:65]
	v_mov_b32_e32 v3, v8
.LBB159_6:                              ; =>This Inner Loop Header: Depth=1
	s_load_dwordx8 s[20:27], s[68:69], 0x4
	s_load_dwordx4 s[36:39], s[68:69], 0x24
	s_load_dwordx4 s[40:43], s[72:73], 0x0
	s_add_u32 s68, s68, 48
	s_addc_u32 s69, s69, 0
	s_waitcnt lgkmcnt(0)
	v_mul_hi_u32 v5, s21, v3
	s_add_i32 s78, s78, 4
	s_add_u32 s72, s72, 16
	s_addc_u32 s73, s73, 0
	v_add_u32_e32 v5, v3, v5
	v_lshrrev_b32_e32 v5, s22, v5
	v_mul_lo_u32 v6, v5, s20
	v_mul_hi_u32 v7, s24, v5
	s_cmp_lg_u32 s76, s78
	v_sub_u32_e32 v3, v3, v6
	v_add_u32_e32 v6, v5, v7
	v_lshrrev_b32_e32 v6, s25, v6
	v_mul_lo_u32 v7, v3, s40
	v_mul_hi_u32 v3, s27, v6
	v_mul_lo_u32 v24, v6, s23
	v_add_u32_e32 v3, v6, v3
	v_lshrrev_b32_e32 v23, s36, v3
	v_mul_hi_u32 v3, s38, v23
	v_sub_u32_e32 v5, v5, v24
	v_mul_lo_u32 v24, v23, s26
	v_mul_lo_u32 v5, v5, s41
	v_add_u32_e32 v3, v23, v3
	v_lshrrev_b32_e32 v3, s39, v3
	v_mul_lo_u32 v25, v3, s37
	v_sub_u32_e32 v6, v6, v24
	v_mul_lo_u32 v6, v6, s42
	v_add3_u32 v2, v7, v2, v5
	v_sub_u32_e32 v23, v23, v25
	v_mul_lo_u32 v23, v23, s43
	v_add3_u32 v2, v6, v2, v23
	s_cbranch_scc1 .LBB159_6
	s_branch .LBB159_10
.LBB159_7:
                                        ; implicit-def: $vgpr2
	s_branch .LBB159_14
.LBB159_8:
	v_mov_b32_e32 v2, 0
	s_branch .LBB159_13
.LBB159_9:
	v_mov_b32_e32 v2, 0
	s_mov_b32 s76, 0
	v_mov_b32_e32 v3, v8
.LBB159_10:
	s_and_b32 s24, s77, 3
	s_cmp_eq_u32 s24, 0
	s_cbranch_scc1 .LBB159_13
; %bb.11:
	s_lshl_b32 s20, s76, 2
	s_add_u32 s20, s34, s20
	s_addc_u32 s21, s35, 0
	s_add_u32 s20, s20, 0xc4
	s_addc_u32 s21, s21, 0
	s_mul_i32 s22, s76, 12
	s_add_u32 s22, s34, s22
	s_addc_u32 s23, s35, 0
.LBB159_12:                             ; =>This Inner Loop Header: Depth=1
	s_load_dwordx2 s[26:27], s[22:23], 0x4
	s_load_dword s25, s[22:23], 0xc
	s_add_u32 s22, s22, 12
	s_addc_u32 s23, s23, 0
	s_waitcnt lgkmcnt(0)
	v_mul_hi_u32 v5, s27, v3
	s_load_dword s27, s[20:21], 0x0
	s_add_u32 s20, s20, 4
	s_addc_u32 s21, s21, 0
	v_add_u32_e32 v5, v3, v5
	v_lshrrev_b32_e32 v5, s25, v5
	v_mul_lo_u32 v6, v5, s26
	s_add_i32 s24, s24, -1
	s_cmp_lg_u32 s24, 0
	v_sub_u32_e32 v3, v3, v6
	s_waitcnt lgkmcnt(0)
	v_mad_u64_u32 v[2:3], s[26:27], v3, s27, v[2:3]
	v_mov_b32_e32 v3, v5
	s_cbranch_scc1 .LBB159_12
.LBB159_13:
	s_cbranch_execnz .LBB159_16
.LBB159_14:
	s_waitcnt lgkmcnt(0)
	v_mul_hi_u32 v2, s29, v8
	s_andn2_b64 vcc, exec, s[60:61]
	v_add_u32_e32 v2, v8, v2
	v_lshrrev_b32_e32 v3, s30, v2
	v_mul_lo_u32 v2, v3, s28
	v_sub_u32_e32 v2, v8, v2
	v_mul_lo_u32 v2, v2, s58
	s_cbranch_vccnz .LBB159_16
; %bb.15:
	v_mul_hi_u32 v5, s62, v3
	v_add_u32_e32 v5, v3, v5
	v_lshrrev_b32_e32 v5, s63, v5
	v_mul_lo_u32 v5, v5, s31
	v_sub_u32_e32 v3, v3, v5
	v_mad_u64_u32 v[2:3], s[20:21], v3, s59, v[2:3]
.LBB159_16:
	v_mov_b32_e32 v3, s57
	s_and_b32 s26, s84, 0xff
	v_add_co_u32_e32 v6, vcc, s56, v2
	s_cmp_lt_i32 s26, 11
	v_addc_co_u32_e32 v7, vcc, 0, v3, vcc
	s_cbranch_scc1 .LBB159_23
; %bb.17:
	s_and_b32 s27, 0xffff, s26
	s_cmp_gt_i32 s27, 25
	s_cbranch_scc0 .LBB159_26
; %bb.18:
	s_cmp_gt_i32 s27, 28
	s_cbranch_scc0 .LBB159_27
; %bb.19:
	;; [unrolled: 3-line block ×4, first 2 shown]
	s_mov_b64 s[24:25], 0
	s_mov_b64 s[20:21], -1
	s_cmp_eq_u32 s27, 46
	s_mov_b64 s[22:23], 0
	s_cbranch_scc0 .LBB159_30
; %bb.22:
	global_store_dword v[6:7], v11, off
	s_mov_b64 s[22:23], -1
	s_mov_b64 s[20:21], 0
	s_branch .LBB159_30
.LBB159_23:
	s_mov_b64 s[20:21], 0
	s_mov_b64 s[22:23], 0
	s_cbranch_execnz .LBB159_74
.LBB159_24:
	s_andn2_b64 vcc, exec, s[22:23]
	s_cbranch_vccnz .LBB159_112
.LBB159_25:
	v_add_u32_e32 v8, 0x80, v8
	s_mov_b64 s[22:23], -1
	s_branch .LBB159_113
.LBB159_26:
	s_mov_b64 s[20:21], 0
	s_mov_b64 s[22:23], 0
	s_cbranch_execnz .LBB159_52
	s_branch .LBB159_73
.LBB159_27:
	s_mov_b64 s[24:25], -1
	s_mov_b64 s[20:21], 0
	s_mov_b64 s[22:23], 0
	s_branch .LBB159_38
.LBB159_28:
	s_mov_b64 s[24:25], -1
	s_mov_b64 s[20:21], 0
	s_mov_b64 s[22:23], 0
	s_branch .LBB159_34
.LBB159_29:
	s_mov_b64 s[24:25], -1
	s_mov_b64 s[20:21], 0
	s_mov_b64 s[22:23], 0
.LBB159_30:
	s_and_b64 vcc, exec, s[24:25]
	s_cbranch_vccz .LBB159_33
; %bb.31:
	s_cmp_eq_u32 s27, 44
	s_mov_b64 s[20:21], -1
	s_cbranch_scc0 .LBB159_33
; %bb.32:
	v_mov_b32_e32 v2, 0xffff
	v_cndmask_b32_e64 v2, v22, v2, s[18:19]
	global_store_byte v[6:7], v2, off
	s_mov_b64 s[22:23], -1
	s_mov_b64 s[20:21], 0
.LBB159_33:
	s_mov_b64 s[24:25], 0
.LBB159_34:
	s_and_b64 vcc, exec, s[24:25]
	s_cbranch_vccz .LBB159_37
; %bb.35:
	s_cmp_eq_u32 s27, 29
	s_mov_b64 s[20:21], -1
	s_cbranch_scc0 .LBB159_37
; %bb.36:
	v_mov_b32_e32 v2, s50
	v_mov_b32_e32 v3, s51
	global_store_dwordx2 v[6:7], v[2:3], off
	s_mov_b64 s[22:23], -1
	s_mov_b64 s[20:21], 0
.LBB159_37:
	s_mov_b64 s[24:25], 0
.LBB159_38:
	s_and_b64 vcc, exec, s[24:25]
	s_cbranch_vccz .LBB159_51
; %bb.39:
	s_cmp_lt_i32 s27, 27
	s_mov_b64 s[22:23], -1
	s_cbranch_scc1 .LBB159_45
; %bb.40:
	s_cmp_gt_i32 s27, 27
	s_cbranch_scc0 .LBB159_42
; %bb.41:
	v_mov_b32_e32 v2, s50
	s_mov_b64 s[22:23], 0
	global_store_dword v[6:7], v2, off
.LBB159_42:
	s_andn2_b64 vcc, exec, s[22:23]
	s_cbranch_vccnz .LBB159_44
; %bb.43:
	v_mov_b32_e32 v2, s83
	global_store_short v[6:7], v2, off
.LBB159_44:
	s_mov_b64 s[22:23], 0
.LBB159_45:
	s_andn2_b64 vcc, exec, s[22:23]
	s_cbranch_vccnz .LBB159_50
; %bb.46:
	s_andn2_b64 vcc, exec, s[16:17]
	v_mov_b32_e32 v2, 0x80
	s_cbranch_vccnz .LBB159_49
; %bb.47:
	s_or_b64 s[22:23], s[14:15], s[54:55]
	s_andn2_b64 vcc, exec, s[22:23]
	v_mov_b32_e32 v2, 0
	s_cbranch_vccnz .LBB159_49
; %bb.48:
	v_cndmask_b32_e64 v2, v21, v20, s[14:15]
.LBB159_49:
	global_store_byte v[6:7], v2, off
.LBB159_50:
	s_mov_b64 s[22:23], -1
.LBB159_51:
	s_branch .LBB159_73
.LBB159_52:
	s_cmp_gt_i32 s27, 22
	s_mov_b64 s[24:25], -1
	s_cbranch_scc0 .LBB159_65
; %bb.53:
	s_cmp_lt_i32 s27, 24
	s_mov_b64 s[22:23], -1
	s_cbranch_scc1 .LBB159_62
; %bb.54:
	s_cmp_gt_i32 s27, 24
	s_cbranch_scc0 .LBB159_59
; %bb.55:
	s_andn2_b64 vcc, exec, s[12:13]
	v_mov_b32_e32 v2, 0x80
	s_cbranch_vccnz .LBB159_58
; %bb.56:
	s_or_b64 s[22:23], s[10:11], s[52:53]
	s_andn2_b64 vcc, exec, s[22:23]
	v_mov_b32_e32 v2, 0
	s_cbranch_vccnz .LBB159_58
; %bb.57:
	v_cndmask_b32_e64 v2, v18, v17, s[10:11]
.LBB159_58:
	s_mov_b64 s[22:23], 0
	global_store_byte v[6:7], v2, off
.LBB159_59:
	s_and_b64 vcc, exec, s[22:23]
	s_cbranch_vccz .LBB159_61
; %bb.60:
	v_cndmask_b32_e64 v2, v15, v16, s[8:9]
	v_cndmask_b32_e64 v2, v2, v19, s[6:7]
	global_store_byte v[6:7], v2, off
.LBB159_61:
	s_mov_b64 s[22:23], 0
.LBB159_62:
	s_andn2_b64 vcc, exec, s[22:23]
	s_cbranch_vccnz .LBB159_64
; %bb.63:
	v_cndmask_b32_e64 v2, v12, v13, s[2:3]
	v_cndmask_b32_e64 v2, v2, v14, s[0:1]
	global_store_byte v[6:7], v2, off
.LBB159_64:
	s_mov_b64 s[24:25], 0
	s_mov_b64 s[22:23], -1
.LBB159_65:
	s_andn2_b64 vcc, exec, s[24:25]
	s_cbranch_vccnz .LBB159_73
; %bb.66:
	s_cmp_gt_i32 s27, 14
	s_mov_b64 s[24:25], -1
	s_cbranch_scc0 .LBB159_70
; %bb.67:
	s_cmp_eq_u32 s27, 15
	s_mov_b64 s[20:21], -1
	s_cbranch_scc0 .LBB159_69
; %bb.68:
	global_store_short v[6:7], v11, off
	s_mov_b64 s[22:23], -1
	s_mov_b64 s[20:21], 0
.LBB159_69:
	s_mov_b64 s[24:25], 0
.LBB159_70:
	s_and_b64 vcc, exec, s[24:25]
	s_cbranch_vccz .LBB159_73
; %bb.71:
	s_cmp_eq_u32 s27, 11
	s_mov_b64 s[20:21], -1
	s_cbranch_scc0 .LBB159_73
; %bb.72:
	s_mov_b64 s[22:23], -1
	s_mov_b64 s[20:21], 0
	global_store_byte v[6:7], v10, off
.LBB159_73:
	s_branch .LBB159_24
.LBB159_74:
	s_and_b32 s24, 0xffff, s26
	s_cmp_lt_i32 s24, 5
	s_mov_b64 s[22:23], -1
	s_cbranch_scc1 .LBB159_95
; %bb.75:
	s_cmp_lt_i32 s24, 8
	s_cbranch_scc1 .LBB159_85
; %bb.76:
	s_cmp_lt_i32 s24, 9
	s_cbranch_scc1 .LBB159_82
; %bb.77:
	s_cmp_gt_i32 s24, 9
	s_cbranch_scc0 .LBB159_79
; %bb.78:
	v_mov_b32_e32 v2, 0
	v_mov_b32_e32 v3, v2
	global_store_dwordx4 v[6:7], v[0:3], off
	s_mov_b64 s[22:23], 0
.LBB159_79:
	s_andn2_b64 vcc, exec, s[22:23]
	s_cbranch_vccnz .LBB159_81
; %bb.80:
	v_mov_b32_e32 v5, 0
	global_store_dwordx2 v[6:7], v[4:5], off
.LBB159_81:
	s_mov_b64 s[22:23], 0
.LBB159_82:
	s_andn2_b64 vcc, exec, s[22:23]
	s_cbranch_vccnz .LBB159_84
; %bb.83:
	global_store_dword v[6:7], v9, off
.LBB159_84:
	s_mov_b64 s[22:23], 0
.LBB159_85:
	s_andn2_b64 vcc, exec, s[22:23]
	s_cbranch_vccnz .LBB159_94
; %bb.86:
	s_cmp_lt_i32 s24, 6
	s_mov_b64 s[22:23], -1
	s_cbranch_scc1 .LBB159_92
; %bb.87:
	s_cmp_gt_i32 s24, 6
	s_cbranch_scc0 .LBB159_89
; %bb.88:
	global_store_dwordx2 v[6:7], v[0:1], off
	s_mov_b64 s[22:23], 0
.LBB159_89:
	s_andn2_b64 vcc, exec, s[22:23]
	s_cbranch_vccnz .LBB159_91
; %bb.90:
	global_store_dword v[6:7], v4, off
.LBB159_91:
	s_mov_b64 s[22:23], 0
.LBB159_92:
	s_andn2_b64 vcc, exec, s[22:23]
	s_cbranch_vccnz .LBB159_94
; %bb.93:
	global_store_short v[6:7], v9, off
.LBB159_94:
	s_mov_b64 s[22:23], 0
.LBB159_95:
	s_andn2_b64 vcc, exec, s[22:23]
	s_cbranch_vccnz .LBB159_111
; %bb.96:
	s_cmp_lt_i32 s24, 2
	s_mov_b64 s[22:23], -1
	s_cbranch_scc1 .LBB159_106
; %bb.97:
	s_cmp_lt_i32 s24, 3
	s_cbranch_scc1 .LBB159_103
; %bb.98:
	s_cmp_gt_i32 s24, 3
	s_cbranch_scc0 .LBB159_100
; %bb.99:
	v_mov_b32_e32 v2, s50
	v_mov_b32_e32 v3, s51
	global_store_dwordx2 v[6:7], v[2:3], off
	s_mov_b64 s[22:23], 0
.LBB159_100:
	s_andn2_b64 vcc, exec, s[22:23]
	s_cbranch_vccnz .LBB159_102
; %bb.101:
	v_mov_b32_e32 v2, s50
	global_store_dword v[6:7], v2, off
.LBB159_102:
	s_mov_b64 s[22:23], 0
.LBB159_103:
	s_andn2_b64 vcc, exec, s[22:23]
	s_cbranch_vccnz .LBB159_105
; %bb.104:
	v_mov_b32_e32 v2, s83
	global_store_short v[6:7], v2, off
.LBB159_105:
	s_mov_b64 s[22:23], 0
.LBB159_106:
	s_andn2_b64 vcc, exec, s[22:23]
	s_cbranch_vccnz .LBB159_111
; %bb.107:
	s_cmp_gt_i32 s24, 0
	s_mov_b64 s[22:23], -1
	s_cbranch_scc0 .LBB159_109
; %bb.108:
	v_mov_b32_e32 v2, s83
	global_store_byte v[6:7], v2, off
	s_mov_b64 s[22:23], 0
.LBB159_109:
	s_andn2_b64 vcc, exec, s[22:23]
	s_cbranch_vccnz .LBB159_111
; %bb.110:
	v_mov_b32_e32 v2, s83
	global_store_byte v[6:7], v2, off
.LBB159_111:
	s_branch .LBB159_25
.LBB159_112:
	s_mov_b64 s[22:23], 0
                                        ; implicit-def: $vgpr8
.LBB159_113:
	s_and_b64 s[68:69], s[20:21], exec
	s_orn2_b64 s[22:23], s[22:23], exec
.LBB159_114:
	s_or_b64 exec, exec, s[70:71]
	s_mov_b64 s[20:21], 0
                                        ; implicit-def: $sgpr36
                                        ; implicit-def: $vgpr6_vgpr7
	s_and_saveexec_b64 s[70:71], s[22:23]
	s_cbranch_execz .LBB159_121
; %bb.115:
	v_cmp_gt_i32_e32 vcc, s85, v8
	s_mov_b64 s[20:21], -1
	s_mov_b64 s[72:73], s[68:69]
	s_and_saveexec_b64 s[74:75], vcc
	s_cbranch_execz .LBB159_232
; %bb.116:
	s_andn2_b64 vcc, exec, s[46:47]
	s_cbranch_vccnz .LBB159_124
; %bb.117:
	s_andn2_b64 vcc, exec, s[66:67]
	s_cbranch_vccnz .LBB159_125
; %bb.118:
	s_add_i32 s79, s86, 1
	s_cmp_eq_u32 s82, 2
	s_cbranch_scc1 .LBB159_126
; %bb.119:
	s_and_b32 s78, s79, 28
	s_mov_b32 s80, 0
	v_mov_b32_e32 v2, 0
	s_mov_b64 s[72:73], s[34:35]
	s_mov_b64 s[76:77], s[64:65]
	v_mov_b32_e32 v3, v8
.LBB159_120:                            ; =>This Inner Loop Header: Depth=1
	s_load_dwordx8 s[20:27], s[72:73], 0x4
	s_load_dwordx4 s[36:39], s[72:73], 0x24
	s_load_dwordx4 s[40:43], s[76:77], 0x0
	s_add_u32 s72, s72, 48
	s_addc_u32 s73, s73, 0
	s_waitcnt lgkmcnt(0)
	v_mul_hi_u32 v5, s21, v3
	s_add_i32 s80, s80, 4
	s_add_u32 s76, s76, 16
	s_addc_u32 s77, s77, 0
	v_add_u32_e32 v5, v3, v5
	v_lshrrev_b32_e32 v5, s22, v5
	v_mul_lo_u32 v6, v5, s20
	v_mul_hi_u32 v7, s24, v5
	s_cmp_eq_u32 s78, s80
	v_sub_u32_e32 v3, v3, v6
	v_add_u32_e32 v6, v5, v7
	v_lshrrev_b32_e32 v6, s25, v6
	v_mul_lo_u32 v7, v3, s40
	v_mul_hi_u32 v3, s27, v6
	v_mul_lo_u32 v24, v6, s23
	v_add_u32_e32 v3, v6, v3
	v_lshrrev_b32_e32 v23, s36, v3
	v_mul_hi_u32 v3, s38, v23
	v_sub_u32_e32 v5, v5, v24
	v_mul_lo_u32 v24, v23, s26
	v_mul_lo_u32 v5, v5, s41
	v_add_u32_e32 v3, v23, v3
	v_lshrrev_b32_e32 v3, s39, v3
	v_mul_lo_u32 v25, v3, s37
	v_sub_u32_e32 v6, v6, v24
	v_mul_lo_u32 v6, v6, s42
	v_add3_u32 v2, v7, v2, v5
	v_sub_u32_e32 v23, v23, v25
	v_mul_lo_u32 v23, v23, s43
	v_add3_u32 v2, v6, v2, v23
	s_cbranch_scc0 .LBB159_120
	s_branch .LBB159_127
.LBB159_121:
	s_or_b64 exec, exec, s[70:71]
	s_mov_b64 s[0:1], 0
	s_and_saveexec_b64 s[2:3], s[68:69]
	s_cbranch_execnz .LBB159_422
.LBB159_122:
	s_or_b64 exec, exec, s[2:3]
	s_and_saveexec_b64 s[2:3], s[74:75]
	s_xor_b64 s[2:3], exec, s[2:3]
	s_cbranch_execz .LBB159_423
.LBB159_123:
	global_store_byte v[6:7], v10, off
	s_or_b64 exec, exec, s[2:3]
	s_and_saveexec_b64 s[2:3], s[20:21]
	s_xor_b64 s[2:3], exec, s[2:3]
	s_cbranch_execz .LBB159_461
	s_branch .LBB159_424
.LBB159_124:
                                        ; implicit-def: $vgpr2
	s_andn2_b64 vcc, exec, s[20:21]
	s_cbranch_vccz .LBB159_131
	s_branch .LBB159_133
.LBB159_125:
	v_mov_b32_e32 v2, 0
	s_branch .LBB159_130
.LBB159_126:
	v_mov_b32_e32 v2, 0
	s_mov_b32 s78, 0
	v_mov_b32_e32 v3, v8
.LBB159_127:
	s_and_b32 s24, s79, 3
	s_cmp_eq_u32 s24, 0
	s_cbranch_scc1 .LBB159_130
; %bb.128:
	s_lshl_b32 s20, s78, 2
	s_add_u32 s20, s34, s20
	s_addc_u32 s21, s35, 0
	s_add_u32 s20, s20, 0xc4
	s_addc_u32 s21, s21, 0
	s_mul_i32 s22, s78, 12
	s_add_u32 s22, s34, s22
	s_addc_u32 s23, s35, 0
.LBB159_129:                            ; =>This Inner Loop Header: Depth=1
	s_load_dwordx2 s[26:27], s[22:23], 0x4
	s_load_dword s25, s[22:23], 0xc
	s_add_u32 s22, s22, 12
	s_addc_u32 s23, s23, 0
	s_waitcnt lgkmcnt(0)
	v_mul_hi_u32 v5, s27, v3
	s_load_dword s27, s[20:21], 0x0
	s_add_u32 s20, s20, 4
	s_addc_u32 s21, s21, 0
	v_add_u32_e32 v5, v3, v5
	v_lshrrev_b32_e32 v5, s25, v5
	v_mul_lo_u32 v6, v5, s26
	s_add_i32 s24, s24, -1
	s_cmp_lg_u32 s24, 0
	v_sub_u32_e32 v3, v3, v6
	s_waitcnt lgkmcnt(0)
	v_mad_u64_u32 v[2:3], s[26:27], v3, s27, v[2:3]
	v_mov_b32_e32 v3, v5
	s_cbranch_scc1 .LBB159_129
.LBB159_130:
	s_cbranch_execnz .LBB159_133
.LBB159_131:
	s_waitcnt lgkmcnt(0)
	v_mul_hi_u32 v2, s29, v8
	s_andn2_b64 vcc, exec, s[60:61]
	v_add_u32_e32 v2, v8, v2
	v_lshrrev_b32_e32 v3, s30, v2
	v_mul_lo_u32 v2, v3, s28
	v_sub_u32_e32 v2, v8, v2
	v_mul_lo_u32 v2, v2, s58
	s_cbranch_vccnz .LBB159_133
; %bb.132:
	v_mul_hi_u32 v5, s62, v3
	v_add_u32_e32 v5, v3, v5
	v_lshrrev_b32_e32 v5, s63, v5
	v_mul_lo_u32 v5, v5, s31
	v_sub_u32_e32 v3, v3, v5
	v_mad_u64_u32 v[2:3], s[20:21], v3, s59, v[2:3]
.LBB159_133:
	v_mov_b32_e32 v3, s57
	s_and_b32 s26, s84, 0xff
	v_add_co_u32_e32 v6, vcc, s56, v2
	s_cmp_lt_i32 s26, 11
	v_addc_co_u32_e32 v7, vcc, 0, v3, vcc
	s_cbranch_scc1 .LBB159_140
; %bb.134:
	s_and_b32 s27, 0xffff, s26
	s_cmp_gt_i32 s27, 25
	s_cbranch_scc0 .LBB159_143
; %bb.135:
	s_cmp_gt_i32 s27, 28
	s_cbranch_scc0 .LBB159_144
; %bb.136:
	;; [unrolled: 3-line block ×4, first 2 shown]
	s_mov_b64 s[24:25], 0
	s_mov_b64 s[20:21], -1
	s_cmp_eq_u32 s27, 46
	s_mov_b64 s[22:23], 0
	s_cbranch_scc0 .LBB159_147
; %bb.139:
	global_store_dword v[6:7], v11, off
	s_mov_b64 s[22:23], -1
	s_mov_b64 s[20:21], 0
	s_branch .LBB159_147
.LBB159_140:
	s_mov_b64 s[22:23], 0
	s_mov_b64 s[20:21], s[68:69]
	s_cbranch_execnz .LBB159_192
.LBB159_141:
	s_andn2_b64 vcc, exec, s[22:23]
	s_cbranch_vccnz .LBB159_230
.LBB159_142:
	v_add_u32_e32 v8, 0x80, v8
	s_mov_b64 s[22:23], -1
	s_branch .LBB159_231
.LBB159_143:
	s_mov_b64 s[24:25], -1
	s_mov_b64 s[22:23], 0
	s_mov_b64 s[20:21], s[68:69]
	s_branch .LBB159_169
.LBB159_144:
	s_mov_b64 s[24:25], -1
	s_mov_b64 s[22:23], 0
	s_mov_b64 s[20:21], s[68:69]
	s_branch .LBB159_155
.LBB159_145:
	s_mov_b64 s[24:25], -1
	s_mov_b64 s[22:23], 0
	s_mov_b64 s[20:21], s[68:69]
	s_branch .LBB159_151
.LBB159_146:
	s_mov_b64 s[24:25], -1
	s_mov_b64 s[22:23], 0
	s_mov_b64 s[20:21], s[68:69]
.LBB159_147:
	s_and_b64 vcc, exec, s[24:25]
	s_cbranch_vccz .LBB159_150
; %bb.148:
	s_cmp_eq_u32 s27, 44
	s_mov_b64 s[20:21], -1
	s_cbranch_scc0 .LBB159_150
; %bb.149:
	v_mov_b32_e32 v2, 0xffff
	v_cndmask_b32_e64 v2, v22, v2, s[18:19]
	s_mov_b64 s[22:23], -1
	s_mov_b64 s[20:21], 0
	global_store_byte v[6:7], v2, off
.LBB159_150:
	s_mov_b64 s[24:25], 0
.LBB159_151:
	s_and_b64 vcc, exec, s[24:25]
	s_cbranch_vccz .LBB159_154
; %bb.152:
	s_cmp_eq_u32 s27, 29
	s_mov_b64 s[20:21], -1
	s_cbranch_scc0 .LBB159_154
; %bb.153:
	v_mov_b32_e32 v2, s50
	v_mov_b32_e32 v3, s51
	global_store_dwordx2 v[6:7], v[2:3], off
	s_mov_b64 s[22:23], -1
	s_mov_b64 s[20:21], 0
.LBB159_154:
	s_mov_b64 s[24:25], 0
.LBB159_155:
	s_and_b64 vcc, exec, s[24:25]
	s_cbranch_vccz .LBB159_168
; %bb.156:
	s_cmp_lt_i32 s27, 27
	s_mov_b64 s[22:23], -1
	s_cbranch_scc1 .LBB159_162
; %bb.157:
	s_cmp_gt_i32 s27, 27
	s_cbranch_scc0 .LBB159_159
; %bb.158:
	v_mov_b32_e32 v2, s50
	s_mov_b64 s[22:23], 0
	global_store_dword v[6:7], v2, off
.LBB159_159:
	s_andn2_b64 vcc, exec, s[22:23]
	s_cbranch_vccnz .LBB159_161
; %bb.160:
	v_mov_b32_e32 v2, s83
	global_store_short v[6:7], v2, off
.LBB159_161:
	s_mov_b64 s[22:23], 0
.LBB159_162:
	s_andn2_b64 vcc, exec, s[22:23]
	s_cbranch_vccnz .LBB159_167
; %bb.163:
	s_andn2_b64 vcc, exec, s[16:17]
	v_mov_b32_e32 v2, 0x80
	s_cbranch_vccnz .LBB159_166
; %bb.164:
	s_or_b64 s[22:23], s[14:15], s[54:55]
	s_andn2_b64 vcc, exec, s[22:23]
	v_mov_b32_e32 v2, 0
	s_cbranch_vccnz .LBB159_166
; %bb.165:
	v_cndmask_b32_e64 v2, v21, v20, s[14:15]
.LBB159_166:
	global_store_byte v[6:7], v2, off
.LBB159_167:
	s_mov_b64 s[22:23], -1
.LBB159_168:
	s_mov_b64 s[24:25], 0
.LBB159_169:
	s_and_b64 vcc, exec, s[24:25]
	s_cbranch_vccz .LBB159_191
; %bb.170:
	s_cmp_gt_i32 s27, 22
	s_mov_b64 s[24:25], -1
	s_cbranch_scc0 .LBB159_183
; %bb.171:
	s_cmp_lt_i32 s27, 24
	s_mov_b64 s[22:23], -1
	s_cbranch_scc1 .LBB159_180
; %bb.172:
	s_cmp_gt_i32 s27, 24
	s_cbranch_scc0 .LBB159_177
; %bb.173:
	s_andn2_b64 vcc, exec, s[12:13]
	v_mov_b32_e32 v2, 0x80
	s_cbranch_vccnz .LBB159_176
; %bb.174:
	s_or_b64 s[22:23], s[10:11], s[52:53]
	s_andn2_b64 vcc, exec, s[22:23]
	v_mov_b32_e32 v2, 0
	s_cbranch_vccnz .LBB159_176
; %bb.175:
	v_cndmask_b32_e64 v2, v18, v17, s[10:11]
.LBB159_176:
	s_mov_b64 s[22:23], 0
	global_store_byte v[6:7], v2, off
.LBB159_177:
	s_and_b64 vcc, exec, s[22:23]
	s_cbranch_vccz .LBB159_179
; %bb.178:
	v_cndmask_b32_e64 v2, v15, v16, s[8:9]
	v_cndmask_b32_e64 v2, v2, v19, s[6:7]
	global_store_byte v[6:7], v2, off
.LBB159_179:
	s_mov_b64 s[22:23], 0
.LBB159_180:
	s_andn2_b64 vcc, exec, s[22:23]
	s_cbranch_vccnz .LBB159_182
; %bb.181:
	v_cndmask_b32_e64 v2, v12, v13, s[2:3]
	v_cndmask_b32_e64 v2, v2, v14, s[0:1]
	global_store_byte v[6:7], v2, off
.LBB159_182:
	s_mov_b64 s[24:25], 0
	s_mov_b64 s[22:23], -1
.LBB159_183:
	s_andn2_b64 vcc, exec, s[24:25]
	s_cbranch_vccnz .LBB159_191
; %bb.184:
	s_cmp_gt_i32 s27, 14
	s_mov_b64 s[24:25], -1
	s_cbranch_scc0 .LBB159_188
; %bb.185:
	s_cmp_eq_u32 s27, 15
	s_mov_b64 s[20:21], -1
	s_cbranch_scc0 .LBB159_187
; %bb.186:
	global_store_short v[6:7], v11, off
	s_mov_b64 s[22:23], -1
	s_mov_b64 s[20:21], 0
.LBB159_187:
	s_mov_b64 s[24:25], 0
.LBB159_188:
	s_and_b64 vcc, exec, s[24:25]
	s_cbranch_vccz .LBB159_191
; %bb.189:
	s_cmp_eq_u32 s27, 11
	s_mov_b64 s[20:21], -1
	s_cbranch_scc0 .LBB159_191
; %bb.190:
	s_mov_b64 s[22:23], -1
	s_mov_b64 s[20:21], 0
	global_store_byte v[6:7], v10, off
.LBB159_191:
	s_branch .LBB159_141
.LBB159_192:
	s_and_b32 s24, 0xffff, s26
	s_cmp_lt_i32 s24, 5
	s_mov_b64 s[22:23], -1
	s_cbranch_scc1 .LBB159_213
; %bb.193:
	s_cmp_lt_i32 s24, 8
	s_cbranch_scc1 .LBB159_203
; %bb.194:
	s_cmp_lt_i32 s24, 9
	s_cbranch_scc1 .LBB159_200
; %bb.195:
	s_cmp_gt_i32 s24, 9
	s_cbranch_scc0 .LBB159_197
; %bb.196:
	v_mov_b32_e32 v2, 0
	v_mov_b32_e32 v3, v2
	s_mov_b64 s[22:23], 0
	global_store_dwordx4 v[6:7], v[0:3], off
.LBB159_197:
	s_andn2_b64 vcc, exec, s[22:23]
	s_cbranch_vccnz .LBB159_199
; %bb.198:
	v_mov_b32_e32 v5, 0
	global_store_dwordx2 v[6:7], v[4:5], off
.LBB159_199:
	s_mov_b64 s[22:23], 0
.LBB159_200:
	s_andn2_b64 vcc, exec, s[22:23]
	s_cbranch_vccnz .LBB159_202
; %bb.201:
	global_store_dword v[6:7], v9, off
.LBB159_202:
	s_mov_b64 s[22:23], 0
.LBB159_203:
	s_andn2_b64 vcc, exec, s[22:23]
	s_cbranch_vccnz .LBB159_212
; %bb.204:
	s_cmp_lt_i32 s24, 6
	s_mov_b64 s[22:23], -1
	s_cbranch_scc1 .LBB159_210
; %bb.205:
	s_cmp_gt_i32 s24, 6
	s_cbranch_scc0 .LBB159_207
; %bb.206:
	s_mov_b64 s[22:23], 0
	global_store_dwordx2 v[6:7], v[0:1], off
.LBB159_207:
	s_andn2_b64 vcc, exec, s[22:23]
	s_cbranch_vccnz .LBB159_209
; %bb.208:
	global_store_dword v[6:7], v4, off
.LBB159_209:
	s_mov_b64 s[22:23], 0
.LBB159_210:
	s_andn2_b64 vcc, exec, s[22:23]
	s_cbranch_vccnz .LBB159_212
; %bb.211:
	global_store_short v[6:7], v9, off
.LBB159_212:
	s_mov_b64 s[22:23], 0
.LBB159_213:
	s_andn2_b64 vcc, exec, s[22:23]
	s_cbranch_vccnz .LBB159_229
; %bb.214:
	s_cmp_lt_i32 s24, 2
	s_mov_b64 s[22:23], -1
	s_cbranch_scc1 .LBB159_224
; %bb.215:
	s_cmp_lt_i32 s24, 3
	s_cbranch_scc1 .LBB159_221
; %bb.216:
	s_cmp_gt_i32 s24, 3
	s_cbranch_scc0 .LBB159_218
; %bb.217:
	v_mov_b32_e32 v2, s50
	v_mov_b32_e32 v3, s51
	s_mov_b64 s[22:23], 0
	global_store_dwordx2 v[6:7], v[2:3], off
.LBB159_218:
	s_andn2_b64 vcc, exec, s[22:23]
	s_cbranch_vccnz .LBB159_220
; %bb.219:
	v_mov_b32_e32 v2, s50
	global_store_dword v[6:7], v2, off
.LBB159_220:
	s_mov_b64 s[22:23], 0
.LBB159_221:
	s_andn2_b64 vcc, exec, s[22:23]
	s_cbranch_vccnz .LBB159_223
; %bb.222:
	v_mov_b32_e32 v2, s83
	global_store_short v[6:7], v2, off
.LBB159_223:
	s_mov_b64 s[22:23], 0
.LBB159_224:
	s_andn2_b64 vcc, exec, s[22:23]
	s_cbranch_vccnz .LBB159_229
; %bb.225:
	s_cmp_gt_i32 s24, 0
	s_mov_b64 s[22:23], -1
	s_cbranch_scc0 .LBB159_227
; %bb.226:
	v_mov_b32_e32 v2, s83
	s_mov_b64 s[22:23], 0
	global_store_byte v[6:7], v2, off
.LBB159_227:
	s_andn2_b64 vcc, exec, s[22:23]
	s_cbranch_vccnz .LBB159_229
; %bb.228:
	v_mov_b32_e32 v2, s83
	global_store_byte v[6:7], v2, off
.LBB159_229:
	s_branch .LBB159_142
.LBB159_230:
	s_mov_b64 s[22:23], 0
                                        ; implicit-def: $vgpr8
.LBB159_231:
	s_andn2_b64 s[24:25], s[68:69], exec
	s_and_b64 s[20:21], s[20:21], exec
	s_or_b64 s[72:73], s[24:25], s[20:21]
	s_orn2_b64 s[20:21], s[22:23], exec
.LBB159_232:
	s_or_b64 exec, exec, s[74:75]
	s_mov_b64 s[22:23], 0
	s_mov_b64 s[24:25], 0
                                        ; implicit-def: $sgpr36
                                        ; implicit-def: $vgpr6_vgpr7
	s_and_saveexec_b64 s[74:75], s[20:21]
	s_cbranch_execz .LBB159_421
; %bb.233:
	v_cmp_gt_i32_e32 vcc, s85, v8
	s_mov_b64 s[22:23], -1
	s_mov_b64 s[78:79], s[72:73]
	s_and_saveexec_b64 s[76:77], vcc
	s_cbranch_execz .LBB159_349
; %bb.234:
	s_andn2_b64 vcc, exec, s[46:47]
	s_cbranch_vccnz .LBB159_239
; %bb.235:
	s_andn2_b64 vcc, exec, s[66:67]
	s_cbranch_vccnz .LBB159_240
; %bb.236:
	s_add_i32 s88, s86, 1
	s_cmp_eq_u32 s82, 2
	s_cbranch_scc1 .LBB159_241
; %bb.237:
	s_and_b32 s87, s88, 28
	s_mov_b32 s89, 0
	v_mov_b32_e32 v2, 0
	s_mov_b64 s[78:79], s[34:35]
	s_mov_b64 s[80:81], s[64:65]
	v_mov_b32_e32 v3, v8
.LBB159_238:                            ; =>This Inner Loop Header: Depth=1
	s_load_dwordx8 s[20:27], s[78:79], 0x4
	s_load_dwordx4 s[36:39], s[78:79], 0x24
	s_load_dwordx4 s[40:43], s[80:81], 0x0
	s_add_u32 s78, s78, 48
	s_addc_u32 s79, s79, 0
	s_waitcnt lgkmcnt(0)
	v_mul_hi_u32 v5, s21, v3
	s_add_i32 s89, s89, 4
	s_add_u32 s80, s80, 16
	s_addc_u32 s81, s81, 0
	v_add_u32_e32 v5, v3, v5
	v_lshrrev_b32_e32 v5, s22, v5
	v_mul_lo_u32 v6, v5, s20
	v_mul_hi_u32 v7, s24, v5
	s_cmp_eq_u32 s87, s89
	v_sub_u32_e32 v3, v3, v6
	v_add_u32_e32 v6, v5, v7
	v_lshrrev_b32_e32 v6, s25, v6
	v_mul_lo_u32 v7, v3, s40
	v_mul_hi_u32 v3, s27, v6
	v_mul_lo_u32 v24, v6, s23
	v_add_u32_e32 v3, v6, v3
	v_lshrrev_b32_e32 v23, s36, v3
	v_mul_hi_u32 v3, s38, v23
	v_sub_u32_e32 v5, v5, v24
	v_mul_lo_u32 v24, v23, s26
	v_mul_lo_u32 v5, v5, s41
	v_add_u32_e32 v3, v23, v3
	v_lshrrev_b32_e32 v3, s39, v3
	v_mul_lo_u32 v25, v3, s37
	v_sub_u32_e32 v6, v6, v24
	v_mul_lo_u32 v6, v6, s42
	v_add3_u32 v2, v7, v2, v5
	v_sub_u32_e32 v23, v23, v25
	v_mul_lo_u32 v23, v23, s43
	v_add3_u32 v2, v6, v2, v23
	s_cbranch_scc0 .LBB159_238
	s_branch .LBB159_242
.LBB159_239:
	s_mov_b64 s[20:21], -1
                                        ; implicit-def: $vgpr2
	s_branch .LBB159_246
.LBB159_240:
	v_mov_b32_e32 v2, 0
	s_branch .LBB159_245
.LBB159_241:
	v_mov_b32_e32 v2, 0
	s_mov_b32 s87, 0
	v_mov_b32_e32 v3, v8
.LBB159_242:
	s_and_b32 s24, s88, 3
	s_cmp_eq_u32 s24, 0
	s_cbranch_scc1 .LBB159_245
; %bb.243:
	s_lshl_b32 s20, s87, 2
	s_add_u32 s20, s34, s20
	s_addc_u32 s21, s35, 0
	s_add_u32 s20, s20, 0xc4
	s_addc_u32 s21, s21, 0
	s_mul_i32 s22, s87, 12
	s_add_u32 s22, s34, s22
	s_addc_u32 s23, s35, 0
.LBB159_244:                            ; =>This Inner Loop Header: Depth=1
	s_load_dwordx2 s[26:27], s[22:23], 0x4
	s_load_dword s25, s[22:23], 0xc
	s_add_u32 s22, s22, 12
	s_addc_u32 s23, s23, 0
	s_waitcnt lgkmcnt(0)
	v_mul_hi_u32 v5, s27, v3
	s_load_dword s27, s[20:21], 0x0
	s_add_u32 s20, s20, 4
	s_addc_u32 s21, s21, 0
	v_add_u32_e32 v5, v3, v5
	v_lshrrev_b32_e32 v5, s25, v5
	v_mul_lo_u32 v6, v5, s26
	s_add_i32 s24, s24, -1
	s_cmp_lg_u32 s24, 0
	v_sub_u32_e32 v3, v3, v6
	s_waitcnt lgkmcnt(0)
	v_mad_u64_u32 v[2:3], s[26:27], v3, s27, v[2:3]
	v_mov_b32_e32 v3, v5
	s_cbranch_scc1 .LBB159_244
.LBB159_245:
	s_mov_b64 s[20:21], 0
.LBB159_246:
	s_andn2_b64 vcc, exec, s[20:21]
	s_cbranch_vccnz .LBB159_249
; %bb.247:
	s_waitcnt lgkmcnt(0)
	v_mul_hi_u32 v2, s29, v8
	s_andn2_b64 vcc, exec, s[60:61]
	v_add_u32_e32 v2, v8, v2
	v_lshrrev_b32_e32 v3, s30, v2
	v_mul_lo_u32 v2, v3, s28
	v_sub_u32_e32 v2, v8, v2
	v_mul_lo_u32 v2, v2, s58
	s_cbranch_vccnz .LBB159_249
; %bb.248:
	v_mul_hi_u32 v5, s62, v3
	v_add_u32_e32 v5, v3, v5
	v_lshrrev_b32_e32 v5, s63, v5
	v_mul_lo_u32 v5, v5, s31
	v_sub_u32_e32 v3, v3, v5
	v_mad_u64_u32 v[2:3], s[20:21], v3, s59, v[2:3]
.LBB159_249:
	v_mov_b32_e32 v3, s57
	s_and_b32 s26, s84, 0xff
	v_add_co_u32_e32 v6, vcc, s56, v2
	s_cmp_lt_i32 s26, 11
	v_addc_co_u32_e32 v7, vcc, 0, v3, vcc
	s_cbranch_scc1 .LBB159_256
; %bb.250:
	s_and_b32 s27, 0xffff, s26
	s_cmp_gt_i32 s27, 25
	s_cbranch_scc0 .LBB159_257
; %bb.251:
	s_cmp_gt_i32 s27, 28
	s_cbranch_scc0 .LBB159_258
; %bb.252:
	;; [unrolled: 3-line block ×4, first 2 shown]
	s_mov_b64 s[24:25], 0
	s_mov_b64 s[20:21], -1
	s_cmp_eq_u32 s27, 46
	s_mov_b64 s[22:23], 0
	s_cbranch_scc0 .LBB159_261
; %bb.255:
	global_store_dword v[6:7], v11, off
	s_mov_b64 s[22:23], -1
	s_mov_b64 s[20:21], 0
	s_branch .LBB159_261
.LBB159_256:
	s_mov_b64 s[24:25], -1
	s_mov_b64 s[22:23], 0
	s_mov_b64 s[20:21], s[72:73]
	s_branch .LBB159_306
.LBB159_257:
	s_mov_b64 s[24:25], -1
	s_mov_b64 s[22:23], 0
	s_mov_b64 s[20:21], s[72:73]
	s_branch .LBB159_283
.LBB159_258:
	s_mov_b64 s[24:25], -1
	s_mov_b64 s[22:23], 0
	s_mov_b64 s[20:21], s[72:73]
	s_branch .LBB159_269
.LBB159_259:
	s_mov_b64 s[24:25], -1
	s_mov_b64 s[22:23], 0
	s_mov_b64 s[20:21], s[72:73]
	s_branch .LBB159_265
.LBB159_260:
	s_mov_b64 s[24:25], -1
	s_mov_b64 s[22:23], 0
	s_mov_b64 s[20:21], s[72:73]
.LBB159_261:
	s_and_b64 vcc, exec, s[24:25]
	s_cbranch_vccz .LBB159_264
; %bb.262:
	s_cmp_eq_u32 s27, 44
	s_mov_b64 s[20:21], -1
	s_cbranch_scc0 .LBB159_264
; %bb.263:
	v_mov_b32_e32 v2, 0xffff
	v_cndmask_b32_e64 v2, v22, v2, s[18:19]
	s_mov_b64 s[22:23], -1
	s_mov_b64 s[20:21], 0
	global_store_byte v[6:7], v2, off
.LBB159_264:
	s_mov_b64 s[24:25], 0
.LBB159_265:
	s_and_b64 vcc, exec, s[24:25]
	s_cbranch_vccz .LBB159_268
; %bb.266:
	s_cmp_eq_u32 s27, 29
	s_mov_b64 s[20:21], -1
	s_cbranch_scc0 .LBB159_268
; %bb.267:
	v_mov_b32_e32 v2, s50
	v_mov_b32_e32 v3, s51
	global_store_dwordx2 v[6:7], v[2:3], off
	s_mov_b64 s[22:23], -1
	s_mov_b64 s[20:21], 0
.LBB159_268:
	s_mov_b64 s[24:25], 0
.LBB159_269:
	s_and_b64 vcc, exec, s[24:25]
	s_cbranch_vccz .LBB159_282
; %bb.270:
	s_cmp_lt_i32 s27, 27
	s_mov_b64 s[22:23], -1
	s_cbranch_scc1 .LBB159_276
; %bb.271:
	s_cmp_gt_i32 s27, 27
	s_cbranch_scc0 .LBB159_273
; %bb.272:
	v_mov_b32_e32 v2, s50
	s_mov_b64 s[22:23], 0
	global_store_dword v[6:7], v2, off
.LBB159_273:
	s_andn2_b64 vcc, exec, s[22:23]
	s_cbranch_vccnz .LBB159_275
; %bb.274:
	v_mov_b32_e32 v2, s83
	global_store_short v[6:7], v2, off
.LBB159_275:
	s_mov_b64 s[22:23], 0
.LBB159_276:
	s_andn2_b64 vcc, exec, s[22:23]
	s_cbranch_vccnz .LBB159_281
; %bb.277:
	s_andn2_b64 vcc, exec, s[16:17]
	v_mov_b32_e32 v2, 0x80
	s_cbranch_vccnz .LBB159_280
; %bb.278:
	s_or_b64 s[22:23], s[14:15], s[54:55]
	s_andn2_b64 vcc, exec, s[22:23]
	v_mov_b32_e32 v2, 0
	s_cbranch_vccnz .LBB159_280
; %bb.279:
	v_cndmask_b32_e64 v2, v21, v20, s[14:15]
.LBB159_280:
	global_store_byte v[6:7], v2, off
.LBB159_281:
	s_mov_b64 s[22:23], -1
.LBB159_282:
	s_mov_b64 s[24:25], 0
.LBB159_283:
	s_and_b64 vcc, exec, s[24:25]
	s_cbranch_vccz .LBB159_305
; %bb.284:
	s_cmp_gt_i32 s27, 22
	s_mov_b64 s[24:25], -1
	s_cbranch_scc0 .LBB159_297
; %bb.285:
	s_cmp_lt_i32 s27, 24
	s_mov_b64 s[22:23], -1
	s_cbranch_scc1 .LBB159_294
; %bb.286:
	s_cmp_gt_i32 s27, 24
	s_cbranch_scc0 .LBB159_291
; %bb.287:
	s_andn2_b64 vcc, exec, s[12:13]
	v_mov_b32_e32 v2, 0x80
	s_cbranch_vccnz .LBB159_290
; %bb.288:
	s_or_b64 s[22:23], s[10:11], s[52:53]
	s_andn2_b64 vcc, exec, s[22:23]
	v_mov_b32_e32 v2, 0
	s_cbranch_vccnz .LBB159_290
; %bb.289:
	v_cndmask_b32_e64 v2, v18, v17, s[10:11]
.LBB159_290:
	s_mov_b64 s[22:23], 0
	global_store_byte v[6:7], v2, off
.LBB159_291:
	s_and_b64 vcc, exec, s[22:23]
	s_cbranch_vccz .LBB159_293
; %bb.292:
	v_cndmask_b32_e64 v2, v15, v16, s[8:9]
	v_cndmask_b32_e64 v2, v2, v19, s[6:7]
	global_store_byte v[6:7], v2, off
.LBB159_293:
	s_mov_b64 s[22:23], 0
.LBB159_294:
	s_andn2_b64 vcc, exec, s[22:23]
	s_cbranch_vccnz .LBB159_296
; %bb.295:
	v_cndmask_b32_e64 v2, v12, v13, s[2:3]
	v_cndmask_b32_e64 v2, v2, v14, s[0:1]
	global_store_byte v[6:7], v2, off
.LBB159_296:
	s_mov_b64 s[24:25], 0
	s_mov_b64 s[22:23], -1
.LBB159_297:
	s_andn2_b64 vcc, exec, s[24:25]
	s_cbranch_vccnz .LBB159_305
; %bb.298:
	s_cmp_gt_i32 s27, 14
	s_mov_b64 s[24:25], -1
	s_cbranch_scc0 .LBB159_302
; %bb.299:
	s_cmp_eq_u32 s27, 15
	s_mov_b64 s[20:21], -1
	s_cbranch_scc0 .LBB159_301
; %bb.300:
	global_store_short v[6:7], v11, off
	s_mov_b64 s[22:23], -1
	s_mov_b64 s[20:21], 0
.LBB159_301:
	s_mov_b64 s[24:25], 0
.LBB159_302:
	s_and_b64 vcc, exec, s[24:25]
	s_cbranch_vccz .LBB159_305
; %bb.303:
	s_cmp_eq_u32 s27, 11
	s_mov_b64 s[20:21], -1
	s_cbranch_scc0 .LBB159_305
; %bb.304:
	s_mov_b64 s[22:23], -1
	s_mov_b64 s[20:21], 0
	global_store_byte v[6:7], v10, off
.LBB159_305:
	s_mov_b64 s[24:25], 0
.LBB159_306:
	s_and_b64 vcc, exec, s[24:25]
	s_cbranch_vccz .LBB159_345
; %bb.307:
	s_and_b32 s24, 0xffff, s26
	s_cmp_lt_i32 s24, 5
	s_mov_b64 s[22:23], -1
	s_cbranch_scc1 .LBB159_328
; %bb.308:
	s_cmp_lt_i32 s24, 8
	s_cbranch_scc1 .LBB159_318
; %bb.309:
	s_cmp_lt_i32 s24, 9
	s_cbranch_scc1 .LBB159_315
; %bb.310:
	s_cmp_gt_i32 s24, 9
	s_cbranch_scc0 .LBB159_312
; %bb.311:
	v_mov_b32_e32 v2, 0
	v_mov_b32_e32 v3, v2
	s_mov_b64 s[22:23], 0
	global_store_dwordx4 v[6:7], v[0:3], off
.LBB159_312:
	s_andn2_b64 vcc, exec, s[22:23]
	s_cbranch_vccnz .LBB159_314
; %bb.313:
	v_mov_b32_e32 v5, 0
	global_store_dwordx2 v[6:7], v[4:5], off
.LBB159_314:
	s_mov_b64 s[22:23], 0
.LBB159_315:
	s_andn2_b64 vcc, exec, s[22:23]
	s_cbranch_vccnz .LBB159_317
; %bb.316:
	global_store_dword v[6:7], v9, off
.LBB159_317:
	s_mov_b64 s[22:23], 0
.LBB159_318:
	s_andn2_b64 vcc, exec, s[22:23]
	s_cbranch_vccnz .LBB159_327
; %bb.319:
	s_cmp_lt_i32 s24, 6
	s_mov_b64 s[22:23], -1
	s_cbranch_scc1 .LBB159_325
; %bb.320:
	s_cmp_gt_i32 s24, 6
	s_cbranch_scc0 .LBB159_322
; %bb.321:
	s_mov_b64 s[22:23], 0
	global_store_dwordx2 v[6:7], v[0:1], off
.LBB159_322:
	s_andn2_b64 vcc, exec, s[22:23]
	s_cbranch_vccnz .LBB159_324
; %bb.323:
	global_store_dword v[6:7], v4, off
.LBB159_324:
	s_mov_b64 s[22:23], 0
.LBB159_325:
	s_andn2_b64 vcc, exec, s[22:23]
	s_cbranch_vccnz .LBB159_327
; %bb.326:
	global_store_short v[6:7], v9, off
.LBB159_327:
	s_mov_b64 s[22:23], 0
.LBB159_328:
	s_andn2_b64 vcc, exec, s[22:23]
	s_cbranch_vccnz .LBB159_344
; %bb.329:
	s_cmp_lt_i32 s24, 2
	s_mov_b64 s[22:23], -1
	s_cbranch_scc1 .LBB159_339
; %bb.330:
	s_cmp_lt_i32 s24, 3
	s_cbranch_scc1 .LBB159_336
; %bb.331:
	s_cmp_gt_i32 s24, 3
	s_cbranch_scc0 .LBB159_333
; %bb.332:
	v_mov_b32_e32 v2, s50
	v_mov_b32_e32 v3, s51
	s_mov_b64 s[22:23], 0
	global_store_dwordx2 v[6:7], v[2:3], off
.LBB159_333:
	s_andn2_b64 vcc, exec, s[22:23]
	s_cbranch_vccnz .LBB159_335
; %bb.334:
	v_mov_b32_e32 v2, s50
	global_store_dword v[6:7], v2, off
.LBB159_335:
	s_mov_b64 s[22:23], 0
.LBB159_336:
	s_andn2_b64 vcc, exec, s[22:23]
	s_cbranch_vccnz .LBB159_338
; %bb.337:
	v_mov_b32_e32 v2, s83
	global_store_short v[6:7], v2, off
.LBB159_338:
	s_mov_b64 s[22:23], 0
.LBB159_339:
	s_andn2_b64 vcc, exec, s[22:23]
	s_cbranch_vccnz .LBB159_344
; %bb.340:
	s_cmp_gt_i32 s24, 0
	s_mov_b64 s[22:23], -1
	s_cbranch_scc0 .LBB159_342
; %bb.341:
	v_mov_b32_e32 v2, s83
	s_mov_b64 s[22:23], 0
	global_store_byte v[6:7], v2, off
.LBB159_342:
	s_andn2_b64 vcc, exec, s[22:23]
	s_cbranch_vccnz .LBB159_344
; %bb.343:
	v_mov_b32_e32 v2, s83
	global_store_byte v[6:7], v2, off
.LBB159_344:
	s_mov_b64 s[22:23], -1
.LBB159_345:
	s_andn2_b64 vcc, exec, s[22:23]
	s_cbranch_vccnz .LBB159_347
; %bb.346:
	v_add_u32_e32 v8, 0x80, v8
	s_mov_b64 s[22:23], -1
	s_branch .LBB159_348
.LBB159_347:
	s_mov_b64 s[22:23], 0
                                        ; implicit-def: $vgpr8
.LBB159_348:
	s_andn2_b64 s[24:25], s[72:73], exec
	s_and_b64 s[20:21], s[20:21], exec
	s_or_b64 s[78:79], s[24:25], s[20:21]
	s_orn2_b64 s[22:23], s[22:23], exec
.LBB159_349:
	s_or_b64 exec, exec, s[76:77]
	s_mov_b64 s[20:21], 0
	s_mov_b64 s[26:27], 0
                                        ; implicit-def: $sgpr36
                                        ; implicit-def: $vgpr6_vgpr7
	s_and_saveexec_b64 s[76:77], s[22:23]
	s_cbranch_execz .LBB159_420
; %bb.350:
	v_cmp_gt_i32_e32 vcc, s85, v8
	s_mov_b64 s[22:23], 0
	s_mov_b64 s[24:25], s[78:79]
                                        ; implicit-def: $sgpr36
                                        ; implicit-def: $vgpr6_vgpr7
	s_and_saveexec_b64 s[80:81], vcc
	s_cbranch_execz .LBB159_419
; %bb.351:
	s_andn2_b64 vcc, exec, s[46:47]
	s_cbranch_vccnz .LBB159_356
; %bb.352:
	s_andn2_b64 vcc, exec, s[66:67]
	s_cbranch_vccnz .LBB159_357
; %bb.353:
	s_add_i32 s86, s86, 1
	s_cmp_eq_u32 s82, 2
	s_cbranch_scc1 .LBB159_358
; %bb.354:
	s_and_b32 s85, s86, 28
	s_mov_b32 s87, 0
	v_mov_b32_e32 v2, 0
	s_mov_b64 s[66:67], s[34:35]
	v_mov_b32_e32 v3, v8
.LBB159_355:                            ; =>This Inner Loop Header: Depth=1
	s_load_dwordx8 s[20:27], s[66:67], 0x4
	s_load_dwordx4 s[36:39], s[66:67], 0x24
	s_load_dwordx4 s[40:43], s[64:65], 0x0
	s_add_u32 s66, s66, 48
	s_addc_u32 s67, s67, 0
	s_waitcnt lgkmcnt(0)
	v_mul_hi_u32 v5, s21, v3
	s_add_i32 s87, s87, 4
	s_add_u32 s64, s64, 16
	s_addc_u32 s65, s65, 0
	v_add_u32_e32 v5, v3, v5
	v_lshrrev_b32_e32 v5, s22, v5
	v_mul_lo_u32 v6, v5, s20
	v_mul_hi_u32 v7, s24, v5
	s_cmp_eq_u32 s85, s87
	v_sub_u32_e32 v3, v3, v6
	v_add_u32_e32 v6, v5, v7
	v_lshrrev_b32_e32 v6, s25, v6
	v_mul_lo_u32 v7, v3, s40
	v_mul_hi_u32 v3, s27, v6
	v_mul_lo_u32 v24, v6, s23
	v_add_u32_e32 v3, v6, v3
	v_lshrrev_b32_e32 v23, s36, v3
	v_mul_hi_u32 v3, s38, v23
	v_sub_u32_e32 v5, v5, v24
	v_mul_lo_u32 v24, v23, s26
	v_mul_lo_u32 v5, v5, s41
	v_add_u32_e32 v3, v23, v3
	v_lshrrev_b32_e32 v3, s39, v3
	v_mul_lo_u32 v25, v3, s37
	v_sub_u32_e32 v6, v6, v24
	v_mul_lo_u32 v6, v6, s42
	v_add3_u32 v2, v7, v2, v5
	v_sub_u32_e32 v23, v23, v25
	v_mul_lo_u32 v23, v23, s43
	v_add3_u32 v2, v6, v2, v23
	s_cbranch_scc0 .LBB159_355
	s_branch .LBB159_359
.LBB159_356:
	s_mov_b64 s[20:21], -1
                                        ; implicit-def: $vgpr2
	s_branch .LBB159_363
.LBB159_357:
	v_mov_b32_e32 v2, 0
	s_branch .LBB159_362
.LBB159_358:
	v_mov_b32_e32 v2, 0
	s_mov_b32 s85, 0
	v_mov_b32_e32 v3, v8
.LBB159_359:
	s_and_b32 s24, s86, 3
	s_cmp_eq_u32 s24, 0
	s_cbranch_scc1 .LBB159_362
; %bb.360:
	s_lshl_b32 s20, s85, 2
	s_add_u32 s20, s34, s20
	s_addc_u32 s21, s35, 0
	s_add_u32 s20, s20, 0xc4
	s_addc_u32 s21, s21, 0
	s_mul_i32 s22, s85, 12
	s_add_u32 s22, s34, s22
	s_addc_u32 s23, s35, 0
.LBB159_361:                            ; =>This Inner Loop Header: Depth=1
	s_load_dwordx2 s[26:27], s[22:23], 0x4
	s_load_dword s25, s[22:23], 0xc
	s_add_u32 s22, s22, 12
	s_addc_u32 s23, s23, 0
	s_waitcnt lgkmcnt(0)
	v_mul_hi_u32 v5, s27, v3
	s_load_dword s27, s[20:21], 0x0
	s_add_u32 s20, s20, 4
	s_addc_u32 s21, s21, 0
	v_add_u32_e32 v5, v3, v5
	v_lshrrev_b32_e32 v5, s25, v5
	v_mul_lo_u32 v6, v5, s26
	s_add_i32 s24, s24, -1
	s_cmp_lg_u32 s24, 0
	v_sub_u32_e32 v3, v3, v6
	s_waitcnt lgkmcnt(0)
	v_mad_u64_u32 v[2:3], s[26:27], v3, s27, v[2:3]
	v_mov_b32_e32 v3, v5
	s_cbranch_scc1 .LBB159_361
.LBB159_362:
	s_mov_b64 s[20:21], 0
.LBB159_363:
	s_andn2_b64 vcc, exec, s[20:21]
	s_cbranch_vccnz .LBB159_366
; %bb.364:
	s_waitcnt lgkmcnt(0)
	v_mul_hi_u32 v2, s29, v8
	s_andn2_b64 vcc, exec, s[60:61]
	v_add_u32_e32 v2, v8, v2
	v_lshrrev_b32_e32 v3, s30, v2
	v_mul_lo_u32 v2, v3, s28
	v_sub_u32_e32 v2, v8, v2
	v_mul_lo_u32 v2, v2, s58
	s_cbranch_vccnz .LBB159_366
; %bb.365:
	v_mul_hi_u32 v5, s62, v3
	v_add_u32_e32 v5, v3, v5
	v_lshrrev_b32_e32 v5, s63, v5
	v_mul_lo_u32 v5, v5, s31
	v_sub_u32_e32 v3, v3, v5
	v_mad_u64_u32 v[2:3], s[20:21], v3, s59, v[2:3]
.LBB159_366:
	v_mov_b32_e32 v3, s57
	s_and_b32 s36, s84, 0xff
	v_add_co_u32_e32 v6, vcc, s56, v2
	s_cmp_lt_i32 s36, 11
	v_addc_co_u32_e32 v7, vcc, 0, v3, vcc
	s_cbranch_scc1 .LBB159_416
; %bb.367:
	s_and_b32 s24, 0xffff, s36
	s_mov_b64 s[22:23], -1
	s_cmp_gt_i32 s24, 25
	s_mov_b64 s[20:21], s[78:79]
	s_cbranch_scc0 .LBB159_395
; %bb.368:
	s_cmp_gt_i32 s24, 28
	s_mov_b64 s[20:21], s[78:79]
	s_cbranch_scc0 .LBB159_382
; %bb.369:
	s_cmp_gt_i32 s24, 43
	s_mov_b64 s[20:21], s[78:79]
	s_cbranch_scc0 .LBB159_378
; %bb.370:
	s_cmp_gt_i32 s24, 45
	s_mov_b64 s[20:21], s[78:79]
	s_cbranch_scc0 .LBB159_374
; %bb.371:
	s_cmp_eq_u32 s24, 46
	s_mov_b64 s[20:21], -1
	s_cbranch_scc0 .LBB159_373
; %bb.372:
	global_store_dword v[6:7], v11, off
	s_mov_b64 s[20:21], 0
.LBB159_373:
	s_mov_b64 s[22:23], 0
.LBB159_374:
	s_and_b64 vcc, exec, s[22:23]
	s_cbranch_vccz .LBB159_377
; %bb.375:
	s_cmp_eq_u32 s24, 44
	s_mov_b64 s[20:21], -1
	s_cbranch_scc0 .LBB159_377
; %bb.376:
	v_mov_b32_e32 v2, 0xffff
	v_cndmask_b32_e64 v2, v22, v2, s[18:19]
	global_store_byte v[6:7], v2, off
	s_mov_b64 s[20:21], 0
.LBB159_377:
	s_mov_b64 s[22:23], 0
.LBB159_378:
	s_and_b64 vcc, exec, s[22:23]
	s_cbranch_vccz .LBB159_381
; %bb.379:
	s_cmp_eq_u32 s24, 29
	s_mov_b64 s[20:21], -1
	s_cbranch_scc0 .LBB159_381
; %bb.380:
	v_mov_b32_e32 v2, s50
	v_mov_b32_e32 v3, s51
	global_store_dwordx2 v[6:7], v[2:3], off
	s_mov_b64 s[20:21], 0
.LBB159_381:
	s_mov_b64 s[22:23], 0
.LBB159_382:
	s_and_b64 vcc, exec, s[22:23]
	s_cbranch_vccz .LBB159_394
; %bb.383:
	s_cmp_lt_i32 s24, 27
	s_mov_b64 s[18:19], -1
	s_cbranch_scc1 .LBB159_389
; %bb.384:
	s_cmp_gt_i32 s24, 27
	s_cbranch_scc0 .LBB159_386
; %bb.385:
	v_mov_b32_e32 v2, s50
	s_mov_b64 s[18:19], 0
	global_store_dword v[6:7], v2, off
.LBB159_386:
	s_andn2_b64 vcc, exec, s[18:19]
	s_cbranch_vccnz .LBB159_388
; %bb.387:
	v_mov_b32_e32 v2, s83
	global_store_short v[6:7], v2, off
.LBB159_388:
	s_mov_b64 s[18:19], 0
.LBB159_389:
	s_andn2_b64 vcc, exec, s[18:19]
	s_cbranch_vccnz .LBB159_394
; %bb.390:
	s_andn2_b64 vcc, exec, s[16:17]
	v_mov_b32_e32 v2, 0x80
	s_cbranch_vccnz .LBB159_393
; %bb.391:
	s_or_b64 s[16:17], s[14:15], s[54:55]
	s_andn2_b64 vcc, exec, s[16:17]
	v_mov_b32_e32 v2, 0
	s_cbranch_vccnz .LBB159_393
; %bb.392:
	v_cndmask_b32_e64 v2, v21, v20, s[14:15]
.LBB159_393:
	global_store_byte v[6:7], v2, off
.LBB159_394:
	s_mov_b64 s[22:23], 0
.LBB159_395:
	s_mov_b64 s[14:15], 0
	s_and_b64 vcc, exec, s[22:23]
	s_cbranch_vccz .LBB159_417
; %bb.396:
	s_cmp_gt_i32 s24, 22
	s_mov_b64 s[16:17], -1
	s_cbranch_scc0 .LBB159_409
; %bb.397:
	s_cmp_lt_i32 s24, 24
	s_cbranch_scc1 .LBB159_406
; %bb.398:
	s_cmp_gt_i32 s24, 24
	s_cbranch_scc0 .LBB159_403
; %bb.399:
	s_andn2_b64 vcc, exec, s[12:13]
	v_mov_b32_e32 v2, 0x80
	s_cbranch_vccnz .LBB159_402
; %bb.400:
	s_or_b64 s[12:13], s[10:11], s[52:53]
	s_andn2_b64 vcc, exec, s[12:13]
	v_mov_b32_e32 v2, 0
	s_cbranch_vccnz .LBB159_402
; %bb.401:
	v_cndmask_b32_e64 v2, v18, v17, s[10:11]
.LBB159_402:
	s_mov_b64 s[16:17], 0
	global_store_byte v[6:7], v2, off
.LBB159_403:
	s_and_b64 vcc, exec, s[16:17]
	s_cbranch_vccz .LBB159_405
; %bb.404:
	v_cndmask_b32_e64 v2, v15, v16, s[8:9]
	v_cndmask_b32_e64 v2, v2, v19, s[6:7]
	global_store_byte v[6:7], v2, off
.LBB159_405:
	s_mov_b64 s[16:17], 0
.LBB159_406:
	s_andn2_b64 vcc, exec, s[16:17]
	s_cbranch_vccnz .LBB159_408
; %bb.407:
	v_cndmask_b32_e64 v2, v12, v13, s[2:3]
	v_cndmask_b32_e64 v2, v2, v14, s[0:1]
	global_store_byte v[6:7], v2, off
.LBB159_408:
	s_mov_b64 s[16:17], 0
.LBB159_409:
	s_andn2_b64 vcc, exec, s[16:17]
	s_mov_b64 s[0:1], 0
	s_cbranch_vccnz .LBB159_418
; %bb.410:
	s_cmp_gt_i32 s24, 14
	s_mov_b64 s[2:3], -1
	s_cbranch_scc0 .LBB159_414
; %bb.411:
	s_cmp_eq_u32 s24, 15
	s_mov_b64 s[20:21], -1
	s_cbranch_scc0 .LBB159_413
; %bb.412:
	global_store_short v[6:7], v11, off
	s_mov_b64 s[20:21], 0
.LBB159_413:
	s_mov_b64 s[2:3], 0
.LBB159_414:
	s_and_b64 vcc, exec, s[2:3]
	s_cbranch_vccz .LBB159_418
; %bb.415:
	s_cmp_lg_u32 s24, 11
	s_cselect_b64 s[2:3], -1, 0
	s_andn2_b64 s[6:7], s[20:21], exec
	s_and_b64 s[2:3], s[2:3], exec
	s_mov_b64 s[0:1], -1
	s_or_b64 s[20:21], s[6:7], s[2:3]
	s_branch .LBB159_418
.LBB159_416:
	s_mov_b64 s[0:1], 0
	s_mov_b64 s[14:15], -1
	s_mov_b64 s[20:21], s[78:79]
	s_branch .LBB159_418
.LBB159_417:
	s_mov_b64 s[0:1], 0
.LBB159_418:
	s_and_b64 s[22:23], s[0:1], exec
	s_andn2_b64 s[0:1], s[78:79], exec
	s_and_b64 s[2:3], s[20:21], exec
	s_and_b64 s[26:27], s[14:15], exec
	s_or_b64 s[24:25], s[0:1], s[2:3]
.LBB159_419:
	s_or_b64 exec, exec, s[80:81]
	s_andn2_b64 s[0:1], s[78:79], exec
	s_and_b64 s[2:3], s[24:25], exec
	s_and_b64 s[26:27], s[26:27], exec
	;; [unrolled: 1-line block ×3, first 2 shown]
	s_or_b64 s[78:79], s[0:1], s[2:3]
.LBB159_420:
	s_or_b64 exec, exec, s[76:77]
	s_andn2_b64 s[0:1], s[72:73], exec
	s_and_b64 s[2:3], s[78:79], exec
	s_and_b64 s[24:25], s[26:27], exec
	;; [unrolled: 1-line block ×3, first 2 shown]
	s_or_b64 s[72:73], s[0:1], s[2:3]
.LBB159_421:
	s_or_b64 exec, exec, s[74:75]
	s_andn2_b64 s[0:1], s[68:69], exec
	s_and_b64 s[2:3], s[72:73], exec
	s_and_b64 s[20:21], s[24:25], exec
	;; [unrolled: 1-line block ×3, first 2 shown]
	s_or_b64 s[68:69], s[0:1], s[2:3]
	s_or_b64 exec, exec, s[70:71]
	s_mov_b64 s[0:1], 0
	s_and_saveexec_b64 s[2:3], s[68:69]
	s_cbranch_execz .LBB159_122
.LBB159_422:
	s_mov_b64 s[0:1], exec
	s_andn2_b64 s[74:75], s[74:75], exec
	s_trap 2
	s_or_b64 exec, exec, s[2:3]
	s_and_saveexec_b64 s[2:3], s[74:75]
	s_xor_b64 s[2:3], exec, s[2:3]
	s_cbranch_execnz .LBB159_123
.LBB159_423:
	s_or_b64 exec, exec, s[2:3]
	s_and_saveexec_b64 s[2:3], s[20:21]
	s_xor_b64 s[2:3], exec, s[2:3]
	s_cbranch_execz .LBB159_461
.LBB159_424:
	s_sext_i32_i16 s8, s36
	s_cmp_lt_i32 s8, 5
	s_mov_b64 s[6:7], -1
	s_cbranch_scc1 .LBB159_445
; %bb.425:
	s_cmp_lt_i32 s8, 8
	s_cbranch_scc1 .LBB159_435
; %bb.426:
	s_cmp_lt_i32 s8, 9
	s_cbranch_scc1 .LBB159_432
; %bb.427:
	s_cmp_gt_i32 s8, 9
	s_cbranch_scc0 .LBB159_429
; %bb.428:
	v_mov_b32_e32 v2, 0
	v_mov_b32_e32 v3, v2
	s_mov_b64 s[6:7], 0
	global_store_dwordx4 v[6:7], v[0:3], off
.LBB159_429:
	s_andn2_b64 vcc, exec, s[6:7]
	s_cbranch_vccnz .LBB159_431
; %bb.430:
	v_mov_b32_e32 v5, 0
	global_store_dwordx2 v[6:7], v[4:5], off
.LBB159_431:
	s_mov_b64 s[6:7], 0
.LBB159_432:
	s_andn2_b64 vcc, exec, s[6:7]
	s_cbranch_vccnz .LBB159_434
; %bb.433:
	global_store_dword v[6:7], v9, off
.LBB159_434:
	s_mov_b64 s[6:7], 0
.LBB159_435:
	s_andn2_b64 vcc, exec, s[6:7]
	s_cbranch_vccnz .LBB159_444
; %bb.436:
	s_sext_i32_i16 s8, s36
	s_cmp_lt_i32 s8, 6
	s_mov_b64 s[6:7], -1
	s_cbranch_scc1 .LBB159_442
; %bb.437:
	s_cmp_gt_i32 s8, 6
	s_cbranch_scc0 .LBB159_439
; %bb.438:
	s_mov_b64 s[6:7], 0
	global_store_dwordx2 v[6:7], v[0:1], off
.LBB159_439:
	s_andn2_b64 vcc, exec, s[6:7]
	s_cbranch_vccnz .LBB159_441
; %bb.440:
	global_store_dword v[6:7], v4, off
.LBB159_441:
	s_mov_b64 s[6:7], 0
.LBB159_442:
	s_andn2_b64 vcc, exec, s[6:7]
	s_cbranch_vccnz .LBB159_444
; %bb.443:
	global_store_short v[6:7], v9, off
.LBB159_444:
	s_mov_b64 s[6:7], 0
.LBB159_445:
	s_andn2_b64 vcc, exec, s[6:7]
	s_cbranch_vccnz .LBB159_461
; %bb.446:
	s_sext_i32_i16 s8, s36
	s_cmp_lt_i32 s8, 2
	s_mov_b64 s[6:7], -1
	s_cbranch_scc1 .LBB159_456
; %bb.447:
	s_cmp_lt_i32 s8, 3
	s_cbranch_scc1 .LBB159_453
; %bb.448:
	s_cmp_gt_i32 s8, 3
	s_cbranch_scc0 .LBB159_450
; %bb.449:
	v_mov_b32_e32 v0, s50
	v_mov_b32_e32 v1, s51
	s_mov_b64 s[6:7], 0
	global_store_dwordx2 v[6:7], v[0:1], off
.LBB159_450:
	s_andn2_b64 vcc, exec, s[6:7]
	s_cbranch_vccnz .LBB159_452
; %bb.451:
	v_mov_b32_e32 v0, s50
	global_store_dword v[6:7], v0, off
.LBB159_452:
	s_mov_b64 s[6:7], 0
.LBB159_453:
	s_andn2_b64 vcc, exec, s[6:7]
	s_cbranch_vccnz .LBB159_455
; %bb.454:
	v_mov_b32_e32 v0, s83
	global_store_short v[6:7], v0, off
.LBB159_455:
	s_mov_b64 s[6:7], 0
.LBB159_456:
	s_andn2_b64 vcc, exec, s[6:7]
	s_cbranch_vccnz .LBB159_461
; %bb.457:
	s_sext_i32_i16 s6, s36
	s_cmp_gt_i32 s6, 0
	s_mov_b64 s[6:7], -1
	s_cbranch_scc0 .LBB159_459
; %bb.458:
	v_mov_b32_e32 v0, s83
	s_mov_b64 s[6:7], 0
	global_store_byte v[6:7], v0, off
.LBB159_459:
	s_andn2_b64 vcc, exec, s[6:7]
	s_cbranch_vccnz .LBB159_461
; %bb.460:
	v_mov_b32_e32 v0, s83
	global_store_byte v[6:7], v0, off
.LBB159_461:
	s_or_b64 exec, exec, s[2:3]
	s_and_b64 s[6:7], s[0:1], exec
                                        ; implicit-def: $vgpr9
                                        ; implicit-def: $vgpr8
.LBB159_462:
	s_or_saveexec_b64 s[24:25], s[48:49]
	s_mov_b64 s[2:3], 0
                                        ; implicit-def: $sgpr15
                                        ; implicit-def: $vgpr0_vgpr1
                                        ; implicit-def: $sgpr14
	s_xor_b64 exec, exec, s[24:25]
	s_cbranch_execz .LBB159_945
; %bb.463:
	v_cndmask_b32_e64 v0, 0, 1, s[46:47]
	v_cmp_ne_u32_e64 s[0:1], 1, v0
	s_andn2_b64 vcc, exec, s[46:47]
	s_cbranch_vccnz .LBB159_469
; %bb.464:
	s_cmp_lg_u32 s33, 0
	s_waitcnt lgkmcnt(0)
	s_mov_b32 s28, 0
	s_cbranch_scc0 .LBB159_470
; %bb.465:
	s_min_u32 s29, s82, 15
	s_add_i32 s29, s29, 1
	s_cmp_eq_u32 s82, 2
	s_cbranch_scc1 .LBB159_471
; %bb.466:
	s_and_b32 s28, s29, 28
	s_add_u32 s2, s34, 0xc4
	s_addc_u32 s3, s35, 0
	s_mov_b32 s30, 0
	v_mov_b32_e32 v6, 0
	s_mov_b64 s[26:27], s[34:35]
	v_mov_b32_e32 v0, v8
.LBB159_467:                            ; =>This Inner Loop Header: Depth=1
	s_load_dwordx8 s[8:15], s[26:27], 0x4
	s_load_dwordx4 s[16:19], s[26:27], 0x24
	s_load_dwordx4 s[20:23], s[2:3], 0x0
	s_add_u32 s26, s26, 48
	s_addc_u32 s27, s27, 0
	s_waitcnt lgkmcnt(0)
	v_mul_hi_u32 v1, s9, v0
	s_add_i32 s30, s30, 4
	s_add_u32 s2, s2, 16
	s_addc_u32 s3, s3, 0
	v_add_u32_e32 v1, v0, v1
	v_lshrrev_b32_e32 v1, s10, v1
	v_mul_lo_u32 v2, v1, s8
	v_mul_hi_u32 v3, s12, v1
	s_cmp_lg_u32 s28, s30
	v_sub_u32_e32 v0, v0, v2
	v_add_u32_e32 v2, v1, v3
	v_lshrrev_b32_e32 v2, s13, v2
	v_mul_lo_u32 v3, v0, s20
	v_mul_hi_u32 v0, s15, v2
	v_mul_lo_u32 v5, v2, s11
	v_add_u32_e32 v0, v2, v0
	v_lshrrev_b32_e32 v4, s16, v0
	v_mul_hi_u32 v0, s18, v4
	v_sub_u32_e32 v1, v1, v5
	v_mul_lo_u32 v5, v4, s14
	v_mul_lo_u32 v1, v1, s21
	v_add_u32_e32 v0, v4, v0
	v_lshrrev_b32_e32 v0, s19, v0
	v_mul_lo_u32 v7, v0, s17
	v_sub_u32_e32 v2, v2, v5
	v_mul_lo_u32 v2, v2, s22
	v_add3_u32 v1, v3, v6, v1
	v_sub_u32_e32 v4, v4, v7
	v_mul_lo_u32 v4, v4, s23
	v_add3_u32 v6, v2, v1, v4
	s_cbranch_scc1 .LBB159_467
; %bb.468:
	s_and_b32 s10, s29, 3
	s_cmp_eq_u32 s10, 0
	s_cbranch_scc0 .LBB159_472
	s_branch .LBB159_474
.LBB159_469:
                                        ; implicit-def: $vgpr6
	s_branch .LBB159_475
.LBB159_470:
	v_mov_b32_e32 v6, 0
	s_branch .LBB159_474
.LBB159_471:
	v_mov_b32_e32 v6, 0
	v_mov_b32_e32 v0, v8
	s_and_b32 s10, s29, 3
	s_cmp_eq_u32 s10, 0
	s_cbranch_scc1 .LBB159_474
.LBB159_472:
	s_lshl_b32 s2, s28, 2
	s_add_u32 s2, s34, s2
	s_addc_u32 s3, s35, 0
	s_add_u32 s2, s2, 0xc4
	s_addc_u32 s3, s3, 0
	s_mul_i32 s8, s28, 12
	s_add_u32 s8, s34, s8
	s_addc_u32 s9, s35, 0
.LBB159_473:                            ; =>This Inner Loop Header: Depth=1
	s_load_dwordx2 s[12:13], s[8:9], 0x4
	s_load_dword s11, s[8:9], 0xc
	s_add_u32 s8, s8, 12
	s_addc_u32 s9, s9, 0
	s_waitcnt lgkmcnt(0)
	v_mul_hi_u32 v1, s13, v0
	s_load_dword s13, s[2:3], 0x0
	s_add_u32 s2, s2, 4
	s_addc_u32 s3, s3, 0
	v_add_u32_e32 v1, v0, v1
	v_lshrrev_b32_e32 v1, s11, v1
	v_mul_lo_u32 v2, v1, s12
	s_add_i32 s10, s10, -1
	s_cmp_lg_u32 s10, 0
	v_sub_u32_e32 v0, v0, v2
	s_waitcnt lgkmcnt(0)
	v_mad_u64_u32 v[6:7], s[12:13], v0, s13, v[6:7]
	v_mov_b32_e32 v0, v1
	s_cbranch_scc1 .LBB159_473
.LBB159_474:
	s_cbranch_execnz .LBB159_477
.LBB159_475:
	s_load_dwordx4 s[8:11], s[34:35], 0x4
	s_load_dword s2, s[34:35], 0xc4
	s_cmp_lt_u32 s33, 2
	s_waitcnt lgkmcnt(0)
	v_mul_hi_u32 v0, s9, v8
	v_add_u32_e32 v0, v8, v0
	v_lshrrev_b32_e32 v0, s10, v0
	v_mul_lo_u32 v1, v0, s8
	v_sub_u32_e32 v1, v8, v1
	v_mul_lo_u32 v6, v1, s2
	s_cbranch_scc1 .LBB159_477
; %bb.476:
	s_load_dwordx4 s[8:11], s[34:35], 0x10
	s_load_dword s2, s[34:35], 0xc8
	s_waitcnt lgkmcnt(0)
	v_mul_hi_u32 v1, s9, v0
	v_add_u32_e32 v1, v0, v1
	v_lshrrev_b32_e32 v1, s10, v1
	v_mul_lo_u32 v1, v1, s8
	v_sub_u32_e32 v0, v0, v1
	v_mad_u64_u32 v[6:7], s[2:3], v0, s2, v[6:7]
.LBB159_477:
	s_and_b64 vcc, exec, s[0:1]
	v_add_u32_e32 v0, 0x80, v8
	s_cbranch_vccnz .LBB159_483
; %bb.478:
	s_cmp_lg_u32 s33, 0
	s_waitcnt lgkmcnt(0)
	s_mov_b32 s28, 0
	s_cbranch_scc0 .LBB159_484
; %bb.479:
	s_min_u32 s29, s82, 15
	s_add_i32 s29, s29, 1
	s_cmp_eq_u32 s82, 2
	s_cbranch_scc1 .LBB159_485
; %bb.480:
	s_and_b32 s28, s29, 28
	s_add_u32 s2, s34, 0xc4
	s_addc_u32 s3, s35, 0
	s_mov_b32 s30, 0
	v_mov_b32_e32 v4, 0
	s_mov_b64 s[26:27], s[34:35]
	v_mov_b32_e32 v1, v0
.LBB159_481:                            ; =>This Inner Loop Header: Depth=1
	s_load_dwordx8 s[8:15], s[26:27], 0x4
	s_load_dwordx4 s[16:19], s[26:27], 0x24
	s_load_dwordx4 s[20:23], s[2:3], 0x0
	s_add_u32 s26, s26, 48
	s_addc_u32 s27, s27, 0
	s_waitcnt lgkmcnt(0)
	v_mul_hi_u32 v2, s9, v1
	s_add_i32 s30, s30, 4
	s_add_u32 s2, s2, 16
	s_addc_u32 s3, s3, 0
	v_add_u32_e32 v2, v1, v2
	v_lshrrev_b32_e32 v2, s10, v2
	v_mul_lo_u32 v3, v2, s8
	v_mul_hi_u32 v5, s12, v2
	s_cmp_lg_u32 s28, s30
	v_sub_u32_e32 v1, v1, v3
	v_add_u32_e32 v3, v2, v5
	v_lshrrev_b32_e32 v3, s13, v3
	v_mul_lo_u32 v5, v1, s20
	v_mul_hi_u32 v1, s15, v3
	v_mul_lo_u32 v10, v3, s11
	v_add_u32_e32 v1, v3, v1
	v_lshrrev_b32_e32 v7, s16, v1
	v_mul_hi_u32 v1, s18, v7
	v_sub_u32_e32 v2, v2, v10
	v_mul_lo_u32 v10, v7, s14
	v_mul_lo_u32 v2, v2, s21
	v_add_u32_e32 v1, v7, v1
	v_lshrrev_b32_e32 v1, s19, v1
	v_mul_lo_u32 v11, v1, s17
	v_sub_u32_e32 v3, v3, v10
	v_mul_lo_u32 v3, v3, s22
	v_add3_u32 v2, v5, v4, v2
	v_sub_u32_e32 v7, v7, v11
	v_mul_lo_u32 v7, v7, s23
	v_add3_u32 v4, v3, v2, v7
	s_cbranch_scc1 .LBB159_481
; %bb.482:
	s_and_b32 s10, s29, 3
	s_cmp_eq_u32 s10, 0
	s_cbranch_scc0 .LBB159_486
	s_branch .LBB159_488
.LBB159_483:
                                        ; implicit-def: $vgpr4
	s_branch .LBB159_489
.LBB159_484:
	v_mov_b32_e32 v4, 0
	s_branch .LBB159_488
.LBB159_485:
	v_mov_b32_e32 v4, 0
	v_mov_b32_e32 v1, v0
	s_and_b32 s10, s29, 3
	s_cmp_eq_u32 s10, 0
	s_cbranch_scc1 .LBB159_488
.LBB159_486:
	s_lshl_b32 s2, s28, 2
	s_add_u32 s2, s34, s2
	s_addc_u32 s3, s35, 0
	s_add_u32 s2, s2, 0xc4
	s_addc_u32 s3, s3, 0
	s_mul_i32 s8, s28, 12
	s_add_u32 s8, s34, s8
	s_addc_u32 s9, s35, 0
.LBB159_487:                            ; =>This Inner Loop Header: Depth=1
	s_load_dwordx2 s[12:13], s[8:9], 0x4
	s_load_dword s11, s[8:9], 0xc
	s_add_u32 s8, s8, 12
	s_addc_u32 s9, s9, 0
	s_waitcnt lgkmcnt(0)
	v_mul_hi_u32 v2, s13, v1
	s_load_dword s13, s[2:3], 0x0
	s_add_u32 s2, s2, 4
	s_addc_u32 s3, s3, 0
	v_add_u32_e32 v2, v1, v2
	v_lshrrev_b32_e32 v2, s11, v2
	v_mul_lo_u32 v3, v2, s12
	s_add_i32 s10, s10, -1
	s_cmp_lg_u32 s10, 0
	v_sub_u32_e32 v1, v1, v3
	s_waitcnt lgkmcnt(0)
	v_mad_u64_u32 v[4:5], s[12:13], v1, s13, v[4:5]
	v_mov_b32_e32 v1, v2
	s_cbranch_scc1 .LBB159_487
.LBB159_488:
	s_cbranch_execnz .LBB159_491
.LBB159_489:
	s_load_dwordx4 s[8:11], s[34:35], 0x4
	s_load_dword s2, s[34:35], 0xc4
	s_cmp_lt_u32 s33, 2
	s_waitcnt lgkmcnt(0)
	v_mul_hi_u32 v1, s9, v0
	v_add_u32_e32 v1, v0, v1
	v_lshrrev_b32_e32 v1, s10, v1
	v_mul_lo_u32 v2, v1, s8
	v_sub_u32_e32 v0, v0, v2
	v_mul_lo_u32 v4, v0, s2
	s_cbranch_scc1 .LBB159_491
; %bb.490:
	s_load_dwordx4 s[8:11], s[34:35], 0x10
	s_load_dword s2, s[34:35], 0xc8
	s_waitcnt lgkmcnt(0)
	v_mul_hi_u32 v0, s9, v1
	v_add_u32_e32 v0, v1, v0
	v_lshrrev_b32_e32 v0, s10, v0
	v_mul_lo_u32 v0, v0, s8
	v_sub_u32_e32 v0, v1, v0
	v_mad_u64_u32 v[4:5], s[2:3], v0, s2, v[4:5]
.LBB159_491:
	s_and_b64 vcc, exec, s[0:1]
	v_add_u32_e32 v0, 0x100, v8
	s_cbranch_vccnz .LBB159_497
; %bb.492:
	s_cmp_lg_u32 s33, 0
	s_waitcnt lgkmcnt(0)
	s_mov_b32 s28, 0
	s_cbranch_scc0 .LBB159_498
; %bb.493:
	s_min_u32 s29, s82, 15
	s_add_i32 s29, s29, 1
	s_cmp_eq_u32 s82, 2
	s_cbranch_scc1 .LBB159_499
; %bb.494:
	s_and_b32 s28, s29, 28
	s_add_u32 s2, s34, 0xc4
	s_addc_u32 s3, s35, 0
	s_mov_b32 s30, 0
	v_mov_b32_e32 v2, 0
	s_mov_b64 s[26:27], s[34:35]
	v_mov_b32_e32 v1, v0
.LBB159_495:                            ; =>This Inner Loop Header: Depth=1
	s_load_dwordx8 s[8:15], s[26:27], 0x4
	s_load_dwordx4 s[16:19], s[26:27], 0x24
	s_load_dwordx4 s[20:23], s[2:3], 0x0
	s_add_u32 s26, s26, 48
	s_addc_u32 s27, s27, 0
	s_waitcnt lgkmcnt(0)
	v_mul_hi_u32 v3, s9, v1
	s_add_i32 s30, s30, 4
	s_add_u32 s2, s2, 16
	s_addc_u32 s3, s3, 0
	v_add_u32_e32 v3, v1, v3
	v_lshrrev_b32_e32 v3, s10, v3
	v_mul_lo_u32 v5, v3, s8
	v_mul_hi_u32 v7, s12, v3
	s_cmp_lg_u32 s28, s30
	v_sub_u32_e32 v1, v1, v5
	v_add_u32_e32 v5, v3, v7
	v_lshrrev_b32_e32 v5, s13, v5
	v_mul_lo_u32 v7, v1, s20
	v_mul_hi_u32 v1, s15, v5
	v_mul_lo_u32 v10, v5, s11
	v_add_u32_e32 v1, v5, v1
	v_lshrrev_b32_e32 v8, s16, v1
	v_mul_hi_u32 v1, s18, v8
	v_sub_u32_e32 v3, v3, v10
	v_mul_lo_u32 v10, v8, s14
	v_mul_lo_u32 v3, v3, s21
	v_add_u32_e32 v1, v8, v1
	v_lshrrev_b32_e32 v1, s19, v1
	v_mul_lo_u32 v11, v1, s17
	v_sub_u32_e32 v5, v5, v10
	v_mul_lo_u32 v5, v5, s22
	v_add3_u32 v2, v7, v2, v3
	v_sub_u32_e32 v8, v8, v11
	v_mul_lo_u32 v8, v8, s23
	v_add3_u32 v2, v5, v2, v8
	s_cbranch_scc1 .LBB159_495
; %bb.496:
	s_and_b32 s10, s29, 3
	s_cmp_eq_u32 s10, 0
	s_cbranch_scc0 .LBB159_500
	s_branch .LBB159_502
.LBB159_497:
                                        ; implicit-def: $vgpr2
	s_branch .LBB159_503
.LBB159_498:
	v_mov_b32_e32 v2, 0
	s_branch .LBB159_502
.LBB159_499:
	v_mov_b32_e32 v2, 0
	v_mov_b32_e32 v1, v0
	s_and_b32 s10, s29, 3
	s_cmp_eq_u32 s10, 0
	s_cbranch_scc1 .LBB159_502
.LBB159_500:
	s_lshl_b32 s2, s28, 2
	s_add_u32 s2, s34, s2
	s_addc_u32 s3, s35, 0
	s_add_u32 s2, s2, 0xc4
	s_addc_u32 s3, s3, 0
	s_mul_i32 s8, s28, 12
	s_add_u32 s8, s34, s8
	s_addc_u32 s9, s35, 0
.LBB159_501:                            ; =>This Inner Loop Header: Depth=1
	s_load_dwordx2 s[12:13], s[8:9], 0x4
	s_load_dword s11, s[8:9], 0xc
	s_add_u32 s8, s8, 12
	s_addc_u32 s9, s9, 0
	s_waitcnt lgkmcnt(0)
	v_mul_hi_u32 v3, s13, v1
	s_load_dword s13, s[2:3], 0x0
	s_add_u32 s2, s2, 4
	s_addc_u32 s3, s3, 0
	v_add_u32_e32 v3, v1, v3
	v_lshrrev_b32_e32 v5, s11, v3
	v_mul_lo_u32 v3, v5, s12
	s_add_i32 s10, s10, -1
	s_cmp_lg_u32 s10, 0
	v_sub_u32_e32 v1, v1, v3
	s_waitcnt lgkmcnt(0)
	v_mad_u64_u32 v[2:3], s[12:13], v1, s13, v[2:3]
	v_mov_b32_e32 v1, v5
	s_cbranch_scc1 .LBB159_501
.LBB159_502:
	s_cbranch_execnz .LBB159_505
.LBB159_503:
	s_load_dwordx4 s[8:11], s[34:35], 0x4
	s_load_dword s2, s[34:35], 0xc4
	s_cmp_lt_u32 s33, 2
	s_waitcnt lgkmcnt(0)
	v_mul_hi_u32 v1, s9, v0
	v_add_u32_e32 v1, v0, v1
	v_lshrrev_b32_e32 v1, s10, v1
	v_mul_lo_u32 v2, v1, s8
	v_sub_u32_e32 v0, v0, v2
	v_mul_lo_u32 v2, v0, s2
	s_cbranch_scc1 .LBB159_505
; %bb.504:
	s_load_dwordx4 s[8:11], s[34:35], 0x10
	s_load_dword s2, s[34:35], 0xc8
	s_waitcnt lgkmcnt(0)
	v_mul_hi_u32 v0, s9, v1
	v_add_u32_e32 v0, v1, v0
	v_lshrrev_b32_e32 v0, s10, v0
	v_mul_lo_u32 v0, v0, s8
	v_sub_u32_e32 v0, v1, v0
	v_mad_u64_u32 v[2:3], s[2:3], v0, s2, v[2:3]
.LBB159_505:
	s_and_b64 vcc, exec, s[0:1]
	s_cbranch_vccnz .LBB159_511
; %bb.506:
	s_cmp_lg_u32 s33, 0
	s_mov_b32 s26, 0
	s_cbranch_scc0 .LBB159_512
; %bb.507:
	s_min_u32 s27, s82, 15
	s_add_i32 s27, s27, 1
	s_cmp_eq_u32 s82, 2
	s_cbranch_scc1 .LBB159_513
; %bb.508:
	s_and_b32 s26, s27, 28
	s_add_u32 s20, s34, 0xc4
	s_addc_u32 s21, s35, 0
	s_waitcnt lgkmcnt(0)
	s_mov_b32 s28, 0
	v_mov_b32_e32 v0, 0
	s_mov_b64 s[22:23], s[34:35]
	v_mov_b32_e32 v1, v9
.LBB159_509:                            ; =>This Inner Loop Header: Depth=1
	s_load_dwordx8 s[8:15], s[22:23], 0x4
	s_load_dwordx4 s[0:3], s[22:23], 0x24
	s_load_dwordx4 s[16:19], s[20:21], 0x0
	s_add_u32 s22, s22, 48
	s_addc_u32 s23, s23, 0
	s_waitcnt lgkmcnt(0)
	v_mul_hi_u32 v3, s9, v1
	s_add_i32 s28, s28, 4
	s_add_u32 s20, s20, 16
	s_addc_u32 s21, s21, 0
	v_add_u32_e32 v3, v1, v3
	v_lshrrev_b32_e32 v3, s10, v3
	v_mul_lo_u32 v5, v3, s8
	v_mul_hi_u32 v7, s12, v3
	s_cmp_lg_u32 s26, s28
	v_sub_u32_e32 v1, v1, v5
	v_add_u32_e32 v5, v3, v7
	v_lshrrev_b32_e32 v5, s13, v5
	v_mul_lo_u32 v7, v1, s16
	v_mul_hi_u32 v1, s15, v5
	v_mul_lo_u32 v10, v5, s11
	v_add_u32_e32 v1, v5, v1
	v_lshrrev_b32_e32 v8, s0, v1
	v_mul_hi_u32 v1, s2, v8
	v_sub_u32_e32 v3, v3, v10
	v_mul_lo_u32 v10, v8, s14
	v_mul_lo_u32 v3, v3, s17
	v_add_u32_e32 v1, v8, v1
	v_lshrrev_b32_e32 v1, s3, v1
	v_mul_lo_u32 v11, v1, s1
	v_sub_u32_e32 v5, v5, v10
	v_mul_lo_u32 v5, v5, s18
	v_add3_u32 v0, v7, v0, v3
	v_sub_u32_e32 v8, v8, v11
	v_mul_lo_u32 v8, v8, s19
	v_add3_u32 v0, v5, v0, v8
	s_cbranch_scc1 .LBB159_509
; %bb.510:
	s_and_b32 s8, s27, 3
	s_cmp_eq_u32 s8, 0
	s_cbranch_scc0 .LBB159_514
	s_branch .LBB159_516
.LBB159_511:
                                        ; implicit-def: $vgpr0
	s_branch .LBB159_517
.LBB159_512:
	v_mov_b32_e32 v0, 0
	s_branch .LBB159_516
.LBB159_513:
	v_mov_b32_e32 v0, 0
	v_mov_b32_e32 v1, v9
	s_and_b32 s8, s27, 3
	s_cmp_eq_u32 s8, 0
	s_cbranch_scc1 .LBB159_516
.LBB159_514:
	s_lshl_b32 s0, s26, 2
	s_add_u32 s0, s34, s0
	s_addc_u32 s1, s35, 0
	s_add_u32 s0, s0, 0xc4
	s_addc_u32 s1, s1, 0
	s_mul_i32 s2, s26, 12
	s_add_u32 s2, s34, s2
	s_addc_u32 s3, s35, 0
.LBB159_515:                            ; =>This Inner Loop Header: Depth=1
	s_load_dwordx2 s[10:11], s[2:3], 0x4
	s_load_dword s9, s[2:3], 0xc
	s_add_u32 s2, s2, 12
	s_addc_u32 s3, s3, 0
	s_waitcnt lgkmcnt(0)
	v_mul_hi_u32 v3, s11, v1
	s_load_dword s11, s[0:1], 0x0
	s_add_u32 s0, s0, 4
	s_addc_u32 s1, s1, 0
	v_add_u32_e32 v3, v1, v3
	v_lshrrev_b32_e32 v3, s9, v3
	v_mul_lo_u32 v5, v3, s10
	s_add_i32 s8, s8, -1
	s_cmp_lg_u32 s8, 0
	v_sub_u32_e32 v1, v1, v5
	s_waitcnt lgkmcnt(0)
	v_mad_u64_u32 v[0:1], s[10:11], v1, s11, v[0:1]
	v_mov_b32_e32 v1, v3
	s_cbranch_scc1 .LBB159_515
.LBB159_516:
	s_cbranch_execnz .LBB159_519
.LBB159_517:
	s_load_dwordx4 s[0:3], s[34:35], 0x4
	s_waitcnt lgkmcnt(0)
	s_load_dword s3, s[34:35], 0xc4
	s_cmp_lt_u32 s33, 2
	v_mul_hi_u32 v0, s1, v9
	v_add_u32_e32 v0, v9, v0
	v_lshrrev_b32_e32 v1, s2, v0
	v_mul_lo_u32 v0, v1, s0
	v_sub_u32_e32 v0, v9, v0
	s_waitcnt lgkmcnt(0)
	v_mul_lo_u32 v0, v0, s3
	s_cbranch_scc1 .LBB159_519
; %bb.518:
	s_load_dwordx4 s[0:3], s[34:35], 0x10
	s_waitcnt lgkmcnt(0)
	s_load_dword s3, s[34:35], 0xc8
	v_mul_hi_u32 v3, s1, v1
	v_add_u32_e32 v3, v1, v3
	v_lshrrev_b32_e32 v3, s2, v3
	v_mul_lo_u32 v3, v3, s0
	v_sub_u32_e32 v1, v1, v3
	s_waitcnt lgkmcnt(0)
	v_mad_u64_u32 v[0:1], s[0:1], v1, s3, v[0:1]
.LBB159_519:
	s_load_dwordx2 s[2:3], s[34:35], 0x108
	s_load_dword s12, s[4:5], 0x118
	s_load_dword s14, s[34:35], 0x110
	s_waitcnt lgkmcnt(0)
	v_mov_b32_e32 v1, s3
	s_bfe_u32 s13, s12, 0x80010
	v_add_co_u32_e32 v5, vcc, s2, v6
	s_cmp_lt_i32 s13, 11
	v_addc_co_u32_e32 v6, vcc, 0, v1, vcc
	s_cbranch_scc1 .LBB159_547
; %bb.520:
	s_and_b32 s15, 0xffff, s13
	s_mov_b64 s[10:11], -1
	s_mov_b64 s[4:5], 0
	s_cmp_gt_i32 s15, 25
	s_mov_b64 s[8:9], 0
	s_mov_b64 s[0:1], 0
	s_cbranch_scc0 .LBB159_557
; %bb.521:
	s_cmp_gt_i32 s15, 28
	s_cbranch_scc0 .LBB159_536
; %bb.522:
	s_cmp_gt_i32 s15, 43
	;; [unrolled: 3-line block ×3, first 2 shown]
	s_cbranch_scc0 .LBB159_526
; %bb.524:
	s_mov_b64 s[0:1], -1
	s_mov_b64 s[10:11], 0
	s_cmp_eq_u32 s15, 46
	s_cbranch_scc0 .LBB159_526
; %bb.525:
	s_and_b32 s0, 0xffff, s14
	v_cvt_f32_u32_e32 v1, s0
	s_mov_b64 s[0:1], 0
	s_mov_b64 s[8:9], -1
	v_bfe_u32 v3, v1, 16, 1
	v_add_u32_e32 v1, v1, v3
	v_add_u32_e32 v1, 0x7fff, v1
	v_lshrrev_b32_e32 v1, 16, v1
	global_store_dword v[5:6], v1, off
.LBB159_526:
	s_and_b64 vcc, exec, s[10:11]
	s_cbranch_vccz .LBB159_531
; %bb.527:
	s_cmp_eq_u32 s15, 44
	s_mov_b64 s[0:1], -1
	s_cbranch_scc0 .LBB159_531
; %bb.528:
	s_and_b32 s0, 0xffff, s14
	v_cvt_f32_u32_e32 v1, s0
	v_readfirstlane_b32 s1, v1
	s_lshr_b32 s0, s1, 23
	s_cmpk_eq_i32 s0, 0xff
	v_mov_b32_e32 v1, 0xff
	s_cbranch_scc1 .LBB159_530
; %bb.529:
	s_bitcmp1_b32 s1, 22
	s_cselect_b64 s[8:9], -1, 0
	s_and_b32 s1, s1, 0x3fffff
	s_or_b32 s1, s0, s1
	s_cmp_lg_u32 s1, 0
	s_cselect_b64 s[10:11], -1, 0
	s_and_b64 s[8:9], s[8:9], s[10:11]
	v_cndmask_b32_e64 v1, 0, 1, s[8:9]
	v_add_u32_e32 v1, s0, v1
.LBB159_530:
	s_mov_b64 s[0:1], 0
	s_mov_b64 s[8:9], -1
	global_store_byte v[5:6], v1, off
.LBB159_531:
	s_mov_b64 s[10:11], 0
.LBB159_532:
	s_and_b64 vcc, exec, s[10:11]
	s_cbranch_vccz .LBB159_535
; %bb.533:
	s_cmp_eq_u32 s15, 29
	s_mov_b64 s[0:1], -1
	s_cbranch_scc0 .LBB159_535
; %bb.534:
	s_and_b32 s0, s14, 0xffff
	v_mov_b32_e32 v7, s0
	v_mov_b32_e32 v8, 0
	global_store_dwordx2 v[5:6], v[7:8], off
	s_mov_b64 s[0:1], 0
	s_mov_b64 s[8:9], -1
.LBB159_535:
	s_mov_b64 s[10:11], 0
.LBB159_536:
	s_and_b64 vcc, exec, s[10:11]
	s_cbranch_vccz .LBB159_556
; %bb.537:
	s_cmp_lt_i32 s15, 27
	s_mov_b64 s[8:9], -1
	s_cbranch_scc1 .LBB159_543
; %bb.538:
	s_cmp_gt_i32 s15, 27
	s_cbranch_scc0 .LBB159_540
; %bb.539:
	s_and_b32 s8, 0xffff, s14
	v_mov_b32_e32 v1, s8
	s_mov_b64 s[8:9], 0
	global_store_dword v[5:6], v1, off
.LBB159_540:
	s_andn2_b64 vcc, exec, s[8:9]
	s_cbranch_vccnz .LBB159_542
; %bb.541:
	v_mov_b32_e32 v1, s14
	global_store_short v[5:6], v1, off
.LBB159_542:
	s_mov_b64 s[8:9], 0
.LBB159_543:
	s_andn2_b64 vcc, exec, s[8:9]
	s_cbranch_vccnz .LBB159_555
; %bb.544:
	s_and_b32 s8, 0xffff, s14
	v_cvt_f32_u32_e32 v1, s8
	s_mov_b32 s9, 0x437fffff
	v_mov_b32_e32 v7, 0x80
	v_cmp_lt_u32_e32 vcc, s9, v1
	v_readfirstlane_b32 s8, v1
	s_cbranch_vccnz .LBB159_554
; %bb.545:
	s_cmp_gt_u32 s8, 0x3bffffff
	s_cbranch_scc0 .LBB159_549
; %bb.546:
	s_bfe_u32 s9, s8, 0x10014
	s_add_i32 s8, s8, s9
	s_add_i32 s8, s8, 0x487ffff
	s_lshr_b32 s16, s8, 20
	s_mov_b64 s[10:11], 0
	s_mov_b64 s[8:9], -1
	s_branch .LBB159_550
.LBB159_547:
	s_mov_b64 s[8:9], 0
	s_mov_b64 s[0:1], s[6:7]
	s_cbranch_execnz .LBB159_607
.LBB159_548:
	s_andn2_b64 vcc, exec, s[8:9]
	s_cbranch_vccz .LBB159_645
	s_branch .LBB159_943
.LBB159_549:
	s_mov_b64 s[10:11], -1
	s_mov_b64 s[8:9], 0
                                        ; implicit-def: $sgpr16
.LBB159_550:
	s_andn2_b64 vcc, exec, s[10:11]
	v_mov_b32_e32 v3, s16
	s_cbranch_vccnz .LBB159_552
; %bb.551:
	v_add_f32_e32 v1, 0x46000000, v1
	v_and_b32_e32 v3, 0xff, v1
	v_cmp_ne_u32_e64 s[8:9], 0, v3
.LBB159_552:
	s_andn2_b64 vcc, exec, s[8:9]
	v_mov_b32_e32 v7, 0
	s_cbranch_vccnz .LBB159_554
; %bb.553:
	v_mov_b32_e32 v7, v3
.LBB159_554:
	global_store_byte v[5:6], v7, off
.LBB159_555:
	s_mov_b64 s[8:9], -1
.LBB159_556:
	s_mov_b64 s[10:11], 0
.LBB159_557:
	s_and_b64 vcc, exec, s[10:11]
	s_cbranch_vccz .LBB159_603
; %bb.558:
	s_cmp_gt_i32 s15, 22
	s_mov_b64 s[4:5], -1
	s_cbranch_scc0 .LBB159_596
; %bb.559:
	s_cmp_lt_i32 s15, 24
	s_cbranch_scc1 .LBB159_583
; %bb.560:
	s_cmp_gt_i32 s15, 24
	s_cbranch_scc0 .LBB159_570
; %bb.561:
	s_and_b32 s4, 0xffff, s14
	v_cvt_f32_u32_e32 v1, s4
	s_mov_b32 s5, 0x477fffff
	v_mov_b32_e32 v7, 0x80
	v_cmp_lt_u32_e32 vcc, s5, v1
	v_readfirstlane_b32 s4, v1
	s_cbranch_vccnz .LBB159_569
; %bb.562:
	s_cmp_gt_u32 s4, 0x37ffffff
	s_cbranch_scc0 .LBB159_564
; %bb.563:
	s_bfe_u32 s5, s4, 0x10015
	s_add_i32 s4, s4, s5
	s_add_i32 s4, s4, 0x88fffff
	s_lshr_b32 s10, s4, 21
	s_mov_b64 s[8:9], 0
	s_mov_b64 s[4:5], -1
	s_branch .LBB159_565
.LBB159_564:
	s_mov_b64 s[8:9], -1
	s_mov_b64 s[4:5], 0
                                        ; implicit-def: $sgpr10
.LBB159_565:
	s_andn2_b64 vcc, exec, s[8:9]
	v_mov_b32_e32 v3, s10
	s_cbranch_vccnz .LBB159_567
; %bb.566:
	v_add_f32_e32 v1, 0x42800000, v1
	v_and_b32_e32 v3, 0xff, v1
	v_cmp_ne_u32_e64 s[4:5], 0, v3
.LBB159_567:
	s_andn2_b64 vcc, exec, s[4:5]
	v_mov_b32_e32 v7, 0
	s_cbranch_vccnz .LBB159_569
; %bb.568:
	v_mov_b32_e32 v7, v3
.LBB159_569:
	s_mov_b64 s[4:5], 0
	global_store_byte v[5:6], v7, off
.LBB159_570:
	s_and_b64 vcc, exec, s[4:5]
	s_cbranch_vccz .LBB159_582
; %bb.571:
	s_and_b32 s4, 0xffff, s14
	v_cvt_f32_u32_e32 v1, s4
	s_mov_b32 s4, 0x43f00000
	v_cmp_gt_u32_e32 vcc, s4, v1
	v_readfirstlane_b32 s8, v1
	s_cbranch_vccz .LBB159_574
; %bb.572:
	s_cmp_gt_u32 s8, 0x3c7fffff
	s_cbranch_scc0 .LBB159_575
; %bb.573:
	s_bfe_u32 s4, s8, 0x10014
	s_add_i32 s4, s8, s4
	s_add_i32 s4, s4, 0x407ffff
	s_lshr_b32 s5, s4, 20
	s_and_b32 s4, s4, 0xff00000
	s_cmp_lg_u32 s4, 0x7f00000
	s_cselect_b32 s9, s5, 0x7e
	s_mov_b64 s[4:5], 0
	s_branch .LBB159_576
.LBB159_574:
	s_mov_b64 s[4:5], -1
                                        ; implicit-def: $vgpr3
	s_branch .LBB159_579
.LBB159_575:
	s_mov_b64 s[4:5], -1
                                        ; implicit-def: $sgpr9
.LBB159_576:
	s_andn2_b64 vcc, exec, s[4:5]
	v_mov_b32_e32 v3, s9
	s_cbranch_vccnz .LBB159_578
; %bb.577:
	v_add_f32_e32 v3, 0x46800000, v1
.LBB159_578:
	s_mov_b64 s[4:5], 0
.LBB159_579:
	s_andn2_b64 vcc, exec, s[4:5]
	s_cbranch_vccnz .LBB159_581
; %bb.580:
	s_cmp_gt_u32 s8, 0x7f800000
	s_movk_i32 s4, 0x7f
	s_cselect_b32 s4, s4, 0x7e
	v_mov_b32_e32 v3, s4
.LBB159_581:
	global_store_byte v[5:6], v3, off
.LBB159_582:
	s_mov_b64 s[4:5], 0
.LBB159_583:
	s_andn2_b64 vcc, exec, s[4:5]
	s_cbranch_vccnz .LBB159_595
; %bb.584:
	s_and_b32 s4, 0xffff, s14
	v_cvt_f32_u32_e32 v1, s4
	s_mov_b32 s4, 0x47800000
	v_cmp_gt_u32_e32 vcc, s4, v1
	v_readfirstlane_b32 s8, v1
	s_cbranch_vccz .LBB159_587
; %bb.585:
	s_cmp_gt_u32 s8, 0x387fffff
	s_cbranch_scc0 .LBB159_588
; %bb.586:
	s_bfe_u32 s4, s8, 0x10015
	s_add_i32 s4, s8, s4
	s_add_i32 s4, s4, 0x80fffff
	s_lshr_b32 s9, s4, 21
	s_mov_b64 s[4:5], 0
	s_branch .LBB159_589
.LBB159_587:
	s_mov_b64 s[4:5], -1
                                        ; implicit-def: $vgpr3
	s_branch .LBB159_592
.LBB159_588:
	s_mov_b64 s[4:5], -1
                                        ; implicit-def: $sgpr9
.LBB159_589:
	s_andn2_b64 vcc, exec, s[4:5]
	v_mov_b32_e32 v3, s9
	s_cbranch_vccnz .LBB159_591
; %bb.590:
	v_add_f32_e32 v3, 0x43000000, v1
.LBB159_591:
	s_mov_b64 s[4:5], 0
.LBB159_592:
	s_andn2_b64 vcc, exec, s[4:5]
	s_cbranch_vccnz .LBB159_594
; %bb.593:
	s_cmp_gt_u32 s8, 0x7f800000
	s_movk_i32 s4, 0x7f
	s_cselect_b32 s4, s4, 0x7c
	v_mov_b32_e32 v3, s4
.LBB159_594:
	global_store_byte v[5:6], v3, off
.LBB159_595:
	s_mov_b64 s[4:5], 0
	s_mov_b64 s[8:9], -1
.LBB159_596:
	s_andn2_b64 vcc, exec, s[4:5]
	s_mov_b64 s[4:5], 0
	s_cbranch_vccnz .LBB159_603
; %bb.597:
	s_cmp_gt_i32 s15, 14
	s_mov_b64 s[10:11], -1
	s_cbranch_scc0 .LBB159_601
; %bb.598:
	s_cmp_eq_u32 s15, 15
	s_mov_b64 s[0:1], -1
	s_cbranch_scc0 .LBB159_600
; %bb.599:
	s_and_b32 s0, 0xffff, s14
	v_cvt_f32_u32_e32 v1, s0
	s_mov_b64 s[0:1], 0
	s_mov_b64 s[8:9], -1
	v_bfe_u32 v3, v1, 16, 1
	v_add_u32_e32 v1, v1, v3
	v_add_u32_e32 v1, 0x7fff, v1
	global_store_short_d16_hi v[5:6], v1, off
.LBB159_600:
	s_mov_b64 s[10:11], 0
.LBB159_601:
	s_and_b64 vcc, exec, s[10:11]
	s_cbranch_vccz .LBB159_603
; %bb.602:
	s_cmp_lg_u32 s15, 11
	s_mov_b64 s[4:5], -1
	s_cselect_b64 s[0:1], -1, 0
.LBB159_603:
	s_and_b64 vcc, exec, s[0:1]
	s_mov_b64 s[0:1], s[6:7]
	s_cbranch_vccnz .LBB159_675
; %bb.604:
	s_andn2_b64 vcc, exec, s[4:5]
	s_cbranch_vccnz .LBB159_606
.LBB159_605:
	s_and_b32 s4, 0xffff, s14
	s_cmp_lg_u32 s4, 0
	s_cselect_b64 s[4:5], -1, 0
	v_cndmask_b32_e64 v1, 0, 1, s[4:5]
	global_store_byte v[5:6], v1, off
	s_mov_b64 s[8:9], -1
.LBB159_606:
	s_branch .LBB159_548
.LBB159_607:
	s_and_b32 s8, 0xffff, s13
	s_cmp_lt_i32 s8, 5
	s_mov_b64 s[4:5], -1
	s_cbranch_scc1 .LBB159_628
; %bb.608:
	s_cmp_lt_i32 s8, 8
	s_cbranch_scc1 .LBB159_618
; %bb.609:
	s_cmp_lt_i32 s8, 9
	s_cbranch_scc1 .LBB159_615
; %bb.610:
	s_cmp_gt_i32 s8, 9
	s_cbranch_scc0 .LBB159_612
; %bb.611:
	s_and_b32 s4, 0xffff, s14
	v_cvt_f64_u32_e32 v[7:8], s4
	v_mov_b32_e32 v9, 0
	v_mov_b32_e32 v10, v9
	s_mov_b64 s[4:5], 0
	global_store_dwordx4 v[5:6], v[7:10], off
.LBB159_612:
	s_andn2_b64 vcc, exec, s[4:5]
	s_cbranch_vccnz .LBB159_614
; %bb.613:
	s_and_b32 s4, 0xffff, s14
	v_cvt_f32_u32_e32 v7, s4
	v_mov_b32_e32 v8, 0
	global_store_dwordx2 v[5:6], v[7:8], off
.LBB159_614:
	s_mov_b64 s[4:5], 0
.LBB159_615:
	s_andn2_b64 vcc, exec, s[4:5]
	s_cbranch_vccnz .LBB159_617
; %bb.616:
	v_cvt_f16_u16_e32 v1, s14
	global_store_dword v[5:6], v1, off
.LBB159_617:
	s_mov_b64 s[4:5], 0
.LBB159_618:
	s_andn2_b64 vcc, exec, s[4:5]
	s_cbranch_vccnz .LBB159_627
; %bb.619:
	s_cmp_lt_i32 s8, 6
	s_mov_b64 s[4:5], -1
	s_cbranch_scc1 .LBB159_625
; %bb.620:
	s_cmp_gt_i32 s8, 6
	s_cbranch_scc0 .LBB159_622
; %bb.621:
	s_and_b32 s4, 0xffff, s14
	v_cvt_f64_u32_e32 v[7:8], s4
	s_mov_b64 s[4:5], 0
	global_store_dwordx2 v[5:6], v[7:8], off
.LBB159_622:
	s_andn2_b64 vcc, exec, s[4:5]
	s_cbranch_vccnz .LBB159_624
; %bb.623:
	s_and_b32 s4, 0xffff, s14
	v_cvt_f32_u32_e32 v1, s4
	global_store_dword v[5:6], v1, off
.LBB159_624:
	s_mov_b64 s[4:5], 0
.LBB159_625:
	s_andn2_b64 vcc, exec, s[4:5]
	s_cbranch_vccnz .LBB159_627
; %bb.626:
	v_cvt_f16_u16_e32 v1, s14
	global_store_short v[5:6], v1, off
.LBB159_627:
	s_mov_b64 s[4:5], 0
.LBB159_628:
	s_andn2_b64 vcc, exec, s[4:5]
	s_cbranch_vccnz .LBB159_644
; %bb.629:
	s_cmp_lt_i32 s8, 2
	s_mov_b64 s[4:5], -1
	s_cbranch_scc1 .LBB159_639
; %bb.630:
	s_cmp_lt_i32 s8, 3
	s_cbranch_scc1 .LBB159_636
; %bb.631:
	s_cmp_gt_i32 s8, 3
	s_cbranch_scc0 .LBB159_633
; %bb.632:
	s_and_b32 s4, s14, 0xffff
	v_mov_b32_e32 v7, s4
	v_mov_b32_e32 v8, 0
	global_store_dwordx2 v[5:6], v[7:8], off
	s_mov_b64 s[4:5], 0
.LBB159_633:
	s_andn2_b64 vcc, exec, s[4:5]
	s_cbranch_vccnz .LBB159_635
; %bb.634:
	s_and_b32 s4, 0xffff, s14
	v_mov_b32_e32 v1, s4
	global_store_dword v[5:6], v1, off
.LBB159_635:
	s_mov_b64 s[4:5], 0
.LBB159_636:
	s_andn2_b64 vcc, exec, s[4:5]
	s_cbranch_vccnz .LBB159_638
; %bb.637:
	v_mov_b32_e32 v1, s14
	global_store_short v[5:6], v1, off
.LBB159_638:
	s_mov_b64 s[4:5], 0
.LBB159_639:
	s_andn2_b64 vcc, exec, s[4:5]
	s_cbranch_vccnz .LBB159_644
; %bb.640:
	s_cmp_gt_i32 s8, 0
	s_mov_b64 s[4:5], -1
	s_cbranch_scc0 .LBB159_642
; %bb.641:
	v_mov_b32_e32 v1, s14
	global_store_byte v[5:6], v1, off
	s_mov_b64 s[4:5], 0
.LBB159_642:
	s_andn2_b64 vcc, exec, s[4:5]
	s_cbranch_vccnz .LBB159_644
; %bb.643:
	v_mov_b32_e32 v1, s14
	global_store_byte v[5:6], v1, off
.LBB159_644:
.LBB159_645:
	s_lshr_b32 s4, s12, 16
	v_mov_b32_e32 v1, s3
	s_and_b32 s15, s4, 0xff
	v_add_co_u32_e32 v3, vcc, s2, v4
	s_cmp_lt_i32 s15, 11
	v_addc_co_u32_e32 v4, vcc, 0, v1, vcc
	s_cbranch_scc1 .LBB159_673
; %bb.646:
	s_and_b32 s16, 0xffff, s15
	s_mov_b64 s[12:13], -1
	s_mov_b64 s[8:9], 0
	s_cmp_gt_i32 s16, 25
	s_mov_b64 s[10:11], 0
	s_mov_b64 s[4:5], 0
	s_cbranch_scc0 .LBB159_684
; %bb.647:
	s_cmp_gt_i32 s16, 28
	s_cbranch_scc0 .LBB159_662
; %bb.648:
	s_cmp_gt_i32 s16, 43
	;; [unrolled: 3-line block ×3, first 2 shown]
	s_cbranch_scc0 .LBB159_652
; %bb.650:
	s_mov_b64 s[4:5], -1
	s_mov_b64 s[12:13], 0
	s_cmp_eq_u32 s16, 46
	s_cbranch_scc0 .LBB159_652
; %bb.651:
	s_and_b32 s4, 0xffff, s14
	v_cvt_f32_u32_e32 v1, s4
	s_mov_b64 s[4:5], 0
	s_mov_b64 s[10:11], -1
	v_bfe_u32 v5, v1, 16, 1
	v_add_u32_e32 v1, v1, v5
	v_add_u32_e32 v1, 0x7fff, v1
	v_lshrrev_b32_e32 v1, 16, v1
	global_store_dword v[3:4], v1, off
.LBB159_652:
	s_and_b64 vcc, exec, s[12:13]
	s_cbranch_vccz .LBB159_657
; %bb.653:
	s_cmp_eq_u32 s16, 44
	s_mov_b64 s[4:5], -1
	s_cbranch_scc0 .LBB159_657
; %bb.654:
	s_and_b32 s4, 0xffff, s14
	v_cvt_f32_u32_e32 v1, s4
	v_readfirstlane_b32 s5, v1
	s_lshr_b32 s4, s5, 23
	s_cmpk_eq_i32 s4, 0xff
	v_mov_b32_e32 v1, 0xff
	s_cbranch_scc1 .LBB159_656
; %bb.655:
	s_bitcmp1_b32 s5, 22
	s_cselect_b64 s[10:11], -1, 0
	s_and_b32 s5, s5, 0x3fffff
	s_or_b32 s5, s4, s5
	s_cmp_lg_u32 s5, 0
	s_cselect_b64 s[12:13], -1, 0
	s_and_b64 s[10:11], s[10:11], s[12:13]
	v_cndmask_b32_e64 v1, 0, 1, s[10:11]
	v_add_u32_e32 v1, s4, v1
.LBB159_656:
	s_mov_b64 s[4:5], 0
	s_mov_b64 s[10:11], -1
	global_store_byte v[3:4], v1, off
.LBB159_657:
	s_mov_b64 s[12:13], 0
.LBB159_658:
	s_and_b64 vcc, exec, s[12:13]
	s_cbranch_vccz .LBB159_661
; %bb.659:
	s_cmp_eq_u32 s16, 29
	s_mov_b64 s[4:5], -1
	s_cbranch_scc0 .LBB159_661
; %bb.660:
	s_and_b32 s4, s14, 0xffff
	v_mov_b32_e32 v5, s4
	v_mov_b32_e32 v6, 0
	global_store_dwordx2 v[3:4], v[5:6], off
	s_mov_b64 s[4:5], 0
	s_mov_b64 s[10:11], -1
.LBB159_661:
	s_mov_b64 s[12:13], 0
.LBB159_662:
	s_and_b64 vcc, exec, s[12:13]
	s_cbranch_vccz .LBB159_683
; %bb.663:
	s_cmp_lt_i32 s16, 27
	s_mov_b64 s[10:11], -1
	s_cbranch_scc1 .LBB159_669
; %bb.664:
	s_cmp_gt_i32 s16, 27
	s_cbranch_scc0 .LBB159_666
; %bb.665:
	s_and_b32 s10, 0xffff, s14
	v_mov_b32_e32 v1, s10
	s_mov_b64 s[10:11], 0
	global_store_dword v[3:4], v1, off
.LBB159_666:
	s_andn2_b64 vcc, exec, s[10:11]
	s_cbranch_vccnz .LBB159_668
; %bb.667:
	v_mov_b32_e32 v1, s14
	global_store_short v[3:4], v1, off
.LBB159_668:
	s_mov_b64 s[10:11], 0
.LBB159_669:
	s_andn2_b64 vcc, exec, s[10:11]
	s_cbranch_vccnz .LBB159_682
; %bb.670:
	s_and_b32 s10, 0xffff, s14
	v_cvt_f32_u32_e32 v1, s10
	s_mov_b32 s11, 0x437fffff
	v_mov_b32_e32 v6, 0x80
	v_cmp_lt_u32_e32 vcc, s11, v1
	v_readfirstlane_b32 s10, v1
	s_cbranch_vccnz .LBB159_681
; %bb.671:
	s_cmp_gt_u32 s10, 0x3bffffff
	s_cbranch_scc0 .LBB159_676
; %bb.672:
	s_bfe_u32 s11, s10, 0x10014
	s_add_i32 s10, s10, s11
	s_add_i32 s10, s10, 0x487ffff
	s_lshr_b32 s17, s10, 20
	s_mov_b64 s[12:13], 0
	s_mov_b64 s[10:11], -1
	s_branch .LBB159_677
.LBB159_673:
	s_mov_b64 s[10:11], 0
	s_cbranch_execnz .LBB159_734
.LBB159_674:
	s_andn2_b64 vcc, exec, s[10:11]
	s_cbranch_vccz .LBB159_772
	s_branch .LBB159_943
.LBB159_675:
	s_or_b64 s[0:1], s[6:7], exec
	s_trap 2
	s_cbranch_execz .LBB159_605
	s_branch .LBB159_606
.LBB159_676:
	s_mov_b64 s[12:13], -1
	s_mov_b64 s[10:11], 0
                                        ; implicit-def: $sgpr17
.LBB159_677:
	s_andn2_b64 vcc, exec, s[12:13]
	v_mov_b32_e32 v5, s17
	s_cbranch_vccnz .LBB159_679
; %bb.678:
	v_add_f32_e32 v1, 0x46000000, v1
	v_and_b32_e32 v5, 0xff, v1
	v_cmp_ne_u32_e64 s[10:11], 0, v5
.LBB159_679:
	s_andn2_b64 vcc, exec, s[10:11]
	v_mov_b32_e32 v6, 0
	s_cbranch_vccnz .LBB159_681
; %bb.680:
	v_mov_b32_e32 v6, v5
.LBB159_681:
	global_store_byte v[3:4], v6, off
.LBB159_682:
	s_mov_b64 s[10:11], -1
.LBB159_683:
	s_mov_b64 s[12:13], 0
.LBB159_684:
	s_and_b64 vcc, exec, s[12:13]
	s_cbranch_vccz .LBB159_730
; %bb.685:
	s_cmp_gt_i32 s16, 22
	s_mov_b64 s[8:9], -1
	s_cbranch_scc0 .LBB159_723
; %bb.686:
	s_cmp_lt_i32 s16, 24
	s_cbranch_scc1 .LBB159_710
; %bb.687:
	s_cmp_gt_i32 s16, 24
	s_cbranch_scc0 .LBB159_697
; %bb.688:
	s_and_b32 s8, 0xffff, s14
	v_cvt_f32_u32_e32 v1, s8
	s_mov_b32 s9, 0x477fffff
	v_mov_b32_e32 v6, 0x80
	v_cmp_lt_u32_e32 vcc, s9, v1
	v_readfirstlane_b32 s8, v1
	s_cbranch_vccnz .LBB159_696
; %bb.689:
	s_cmp_gt_u32 s8, 0x37ffffff
	s_cbranch_scc0 .LBB159_691
; %bb.690:
	s_bfe_u32 s9, s8, 0x10015
	s_add_i32 s8, s8, s9
	s_add_i32 s8, s8, 0x88fffff
	s_lshr_b32 s12, s8, 21
	s_mov_b64 s[10:11], 0
	s_mov_b64 s[8:9], -1
	s_branch .LBB159_692
.LBB159_691:
	s_mov_b64 s[10:11], -1
	s_mov_b64 s[8:9], 0
                                        ; implicit-def: $sgpr12
.LBB159_692:
	s_andn2_b64 vcc, exec, s[10:11]
	v_mov_b32_e32 v5, s12
	s_cbranch_vccnz .LBB159_694
; %bb.693:
	v_add_f32_e32 v1, 0x42800000, v1
	v_and_b32_e32 v5, 0xff, v1
	v_cmp_ne_u32_e64 s[8:9], 0, v5
.LBB159_694:
	s_andn2_b64 vcc, exec, s[8:9]
	v_mov_b32_e32 v6, 0
	s_cbranch_vccnz .LBB159_696
; %bb.695:
	v_mov_b32_e32 v6, v5
.LBB159_696:
	s_mov_b64 s[8:9], 0
	global_store_byte v[3:4], v6, off
.LBB159_697:
	s_and_b64 vcc, exec, s[8:9]
	s_cbranch_vccz .LBB159_709
; %bb.698:
	s_and_b32 s8, 0xffff, s14
	v_cvt_f32_u32_e32 v1, s8
	s_mov_b32 s8, 0x43f00000
	v_cmp_gt_u32_e32 vcc, s8, v1
	v_readfirstlane_b32 s10, v1
	s_cbranch_vccz .LBB159_701
; %bb.699:
	s_cmp_gt_u32 s10, 0x3c7fffff
	s_cbranch_scc0 .LBB159_702
; %bb.700:
	s_bfe_u32 s8, s10, 0x10014
	s_add_i32 s8, s10, s8
	s_add_i32 s8, s8, 0x407ffff
	s_lshr_b32 s9, s8, 20
	s_and_b32 s8, s8, 0xff00000
	s_cmp_lg_u32 s8, 0x7f00000
	s_cselect_b32 s11, s9, 0x7e
	s_mov_b64 s[8:9], 0
	s_branch .LBB159_703
.LBB159_701:
	s_mov_b64 s[8:9], -1
                                        ; implicit-def: $vgpr5
	s_branch .LBB159_706
.LBB159_702:
	s_mov_b64 s[8:9], -1
                                        ; implicit-def: $sgpr11
.LBB159_703:
	s_andn2_b64 vcc, exec, s[8:9]
	v_mov_b32_e32 v5, s11
	s_cbranch_vccnz .LBB159_705
; %bb.704:
	v_add_f32_e32 v5, 0x46800000, v1
.LBB159_705:
	s_mov_b64 s[8:9], 0
.LBB159_706:
	s_andn2_b64 vcc, exec, s[8:9]
	s_cbranch_vccnz .LBB159_708
; %bb.707:
	s_cmp_gt_u32 s10, 0x7f800000
	s_movk_i32 s8, 0x7f
	s_cselect_b32 s8, s8, 0x7e
	v_mov_b32_e32 v5, s8
.LBB159_708:
	global_store_byte v[3:4], v5, off
.LBB159_709:
	s_mov_b64 s[8:9], 0
.LBB159_710:
	s_andn2_b64 vcc, exec, s[8:9]
	s_cbranch_vccnz .LBB159_722
; %bb.711:
	s_and_b32 s8, 0xffff, s14
	v_cvt_f32_u32_e32 v1, s8
	s_mov_b32 s8, 0x47800000
	v_cmp_gt_u32_e32 vcc, s8, v1
	v_readfirstlane_b32 s10, v1
	s_cbranch_vccz .LBB159_714
; %bb.712:
	s_cmp_gt_u32 s10, 0x387fffff
	s_cbranch_scc0 .LBB159_715
; %bb.713:
	s_bfe_u32 s8, s10, 0x10015
	s_add_i32 s8, s10, s8
	s_add_i32 s8, s8, 0x80fffff
	s_lshr_b32 s11, s8, 21
	s_mov_b64 s[8:9], 0
	s_branch .LBB159_716
.LBB159_714:
	s_mov_b64 s[8:9], -1
                                        ; implicit-def: $vgpr5
	s_branch .LBB159_719
.LBB159_715:
	s_mov_b64 s[8:9], -1
                                        ; implicit-def: $sgpr11
.LBB159_716:
	s_andn2_b64 vcc, exec, s[8:9]
	v_mov_b32_e32 v5, s11
	s_cbranch_vccnz .LBB159_718
; %bb.717:
	v_add_f32_e32 v5, 0x43000000, v1
.LBB159_718:
	s_mov_b64 s[8:9], 0
.LBB159_719:
	s_andn2_b64 vcc, exec, s[8:9]
	s_cbranch_vccnz .LBB159_721
; %bb.720:
	s_cmp_gt_u32 s10, 0x7f800000
	s_movk_i32 s8, 0x7f
	s_cselect_b32 s8, s8, 0x7c
	v_mov_b32_e32 v5, s8
.LBB159_721:
	global_store_byte v[3:4], v5, off
.LBB159_722:
	s_mov_b64 s[8:9], 0
	s_mov_b64 s[10:11], -1
.LBB159_723:
	s_andn2_b64 vcc, exec, s[8:9]
	s_mov_b64 s[8:9], 0
	s_cbranch_vccnz .LBB159_730
; %bb.724:
	s_cmp_gt_i32 s16, 14
	s_mov_b64 s[12:13], -1
	s_cbranch_scc0 .LBB159_728
; %bb.725:
	s_cmp_eq_u32 s16, 15
	s_mov_b64 s[4:5], -1
	s_cbranch_scc0 .LBB159_727
; %bb.726:
	s_and_b32 s4, 0xffff, s14
	v_cvt_f32_u32_e32 v1, s4
	s_mov_b64 s[4:5], 0
	s_mov_b64 s[10:11], -1
	v_bfe_u32 v5, v1, 16, 1
	v_add_u32_e32 v1, v1, v5
	v_add_u32_e32 v1, 0x7fff, v1
	global_store_short_d16_hi v[3:4], v1, off
.LBB159_727:
	s_mov_b64 s[12:13], 0
.LBB159_728:
	s_and_b64 vcc, exec, s[12:13]
	s_cbranch_vccz .LBB159_730
; %bb.729:
	s_cmp_lg_u32 s16, 11
	s_mov_b64 s[8:9], -1
	s_cselect_b64 s[4:5], -1, 0
.LBB159_730:
	s_and_b64 vcc, exec, s[4:5]
	s_cbranch_vccnz .LBB159_832
; %bb.731:
	s_andn2_b64 vcc, exec, s[8:9]
	s_cbranch_vccnz .LBB159_733
.LBB159_732:
	s_and_b32 s4, 0xffff, s14
	s_cmp_lg_u32 s4, 0
	s_cselect_b64 s[4:5], -1, 0
	v_cndmask_b32_e64 v1, 0, 1, s[4:5]
	s_mov_b64 s[10:11], -1
	global_store_byte v[3:4], v1, off
.LBB159_733:
	s_branch .LBB159_674
.LBB159_734:
	s_and_b32 s8, 0xffff, s15
	s_cmp_lt_i32 s8, 5
	s_mov_b64 s[4:5], -1
	s_cbranch_scc1 .LBB159_755
; %bb.735:
	s_cmp_lt_i32 s8, 8
	s_cbranch_scc1 .LBB159_745
; %bb.736:
	s_cmp_lt_i32 s8, 9
	s_cbranch_scc1 .LBB159_742
; %bb.737:
	s_cmp_gt_i32 s8, 9
	s_cbranch_scc0 .LBB159_739
; %bb.738:
	s_and_b32 s4, 0xffff, s14
	v_cvt_f64_u32_e32 v[5:6], s4
	v_mov_b32_e32 v7, 0
	v_mov_b32_e32 v8, v7
	s_mov_b64 s[4:5], 0
	global_store_dwordx4 v[3:4], v[5:8], off
.LBB159_739:
	s_andn2_b64 vcc, exec, s[4:5]
	s_cbranch_vccnz .LBB159_741
; %bb.740:
	s_and_b32 s4, 0xffff, s14
	v_cvt_f32_u32_e32 v5, s4
	v_mov_b32_e32 v6, 0
	global_store_dwordx2 v[3:4], v[5:6], off
.LBB159_741:
	s_mov_b64 s[4:5], 0
.LBB159_742:
	s_andn2_b64 vcc, exec, s[4:5]
	s_cbranch_vccnz .LBB159_744
; %bb.743:
	v_cvt_f16_u16_e32 v1, s14
	global_store_dword v[3:4], v1, off
.LBB159_744:
	s_mov_b64 s[4:5], 0
.LBB159_745:
	s_andn2_b64 vcc, exec, s[4:5]
	s_cbranch_vccnz .LBB159_754
; %bb.746:
	s_cmp_lt_i32 s8, 6
	s_mov_b64 s[4:5], -1
	s_cbranch_scc1 .LBB159_752
; %bb.747:
	s_cmp_gt_i32 s8, 6
	s_cbranch_scc0 .LBB159_749
; %bb.748:
	s_and_b32 s4, 0xffff, s14
	v_cvt_f64_u32_e32 v[5:6], s4
	s_mov_b64 s[4:5], 0
	global_store_dwordx2 v[3:4], v[5:6], off
.LBB159_749:
	s_andn2_b64 vcc, exec, s[4:5]
	s_cbranch_vccnz .LBB159_751
; %bb.750:
	s_and_b32 s4, 0xffff, s14
	v_cvt_f32_u32_e32 v1, s4
	global_store_dword v[3:4], v1, off
.LBB159_751:
	s_mov_b64 s[4:5], 0
.LBB159_752:
	s_andn2_b64 vcc, exec, s[4:5]
	s_cbranch_vccnz .LBB159_754
; %bb.753:
	v_cvt_f16_u16_e32 v1, s14
	global_store_short v[3:4], v1, off
.LBB159_754:
	s_mov_b64 s[4:5], 0
.LBB159_755:
	s_andn2_b64 vcc, exec, s[4:5]
	s_cbranch_vccnz .LBB159_771
; %bb.756:
	s_cmp_lt_i32 s8, 2
	s_mov_b64 s[4:5], -1
	s_cbranch_scc1 .LBB159_766
; %bb.757:
	s_cmp_lt_i32 s8, 3
	s_cbranch_scc1 .LBB159_763
; %bb.758:
	s_cmp_gt_i32 s8, 3
	s_cbranch_scc0 .LBB159_760
; %bb.759:
	s_and_b32 s4, s14, 0xffff
	v_mov_b32_e32 v5, s4
	v_mov_b32_e32 v6, 0
	global_store_dwordx2 v[3:4], v[5:6], off
	s_mov_b64 s[4:5], 0
.LBB159_760:
	s_andn2_b64 vcc, exec, s[4:5]
	s_cbranch_vccnz .LBB159_762
; %bb.761:
	s_and_b32 s4, 0xffff, s14
	v_mov_b32_e32 v1, s4
	global_store_dword v[3:4], v1, off
.LBB159_762:
	s_mov_b64 s[4:5], 0
.LBB159_763:
	s_andn2_b64 vcc, exec, s[4:5]
	s_cbranch_vccnz .LBB159_765
; %bb.764:
	v_mov_b32_e32 v1, s14
	global_store_short v[3:4], v1, off
.LBB159_765:
	s_mov_b64 s[4:5], 0
.LBB159_766:
	s_andn2_b64 vcc, exec, s[4:5]
	s_cbranch_vccnz .LBB159_771
; %bb.767:
	s_cmp_gt_i32 s8, 0
	s_mov_b64 s[4:5], -1
	s_cbranch_scc0 .LBB159_769
; %bb.768:
	v_mov_b32_e32 v1, s14
	global_store_byte v[3:4], v1, off
	s_mov_b64 s[4:5], 0
.LBB159_769:
	s_andn2_b64 vcc, exec, s[4:5]
	s_cbranch_vccnz .LBB159_771
; %bb.770:
	v_mov_b32_e32 v1, s14
	global_store_byte v[3:4], v1, off
.LBB159_771:
.LBB159_772:
	v_mov_b32_e32 v3, s3
	v_add_co_u32_e32 v1, vcc, s2, v2
	s_cmp_lt_i32 s15, 11
	v_addc_co_u32_e32 v2, vcc, 0, v3, vcc
	s_cbranch_scc1 .LBB159_800
; %bb.773:
	s_and_b32 s16, 0xffff, s15
	s_mov_b64 s[12:13], -1
	s_mov_b64 s[8:9], 0
	s_cmp_gt_i32 s16, 25
	s_mov_b64 s[10:11], 0
	s_mov_b64 s[4:5], 0
	s_cbranch_scc0 .LBB159_841
; %bb.774:
	s_cmp_gt_i32 s16, 28
	s_cbranch_scc0 .LBB159_789
; %bb.775:
	s_cmp_gt_i32 s16, 43
	;; [unrolled: 3-line block ×3, first 2 shown]
	s_cbranch_scc0 .LBB159_779
; %bb.777:
	s_mov_b64 s[4:5], -1
	s_mov_b64 s[12:13], 0
	s_cmp_eq_u32 s16, 46
	s_cbranch_scc0 .LBB159_779
; %bb.778:
	s_and_b32 s4, 0xffff, s14
	v_cvt_f32_u32_e32 v3, s4
	s_mov_b64 s[4:5], 0
	s_mov_b64 s[10:11], -1
	v_bfe_u32 v4, v3, 16, 1
	v_add_u32_e32 v3, v3, v4
	v_add_u32_e32 v3, 0x7fff, v3
	v_lshrrev_b32_e32 v3, 16, v3
	global_store_dword v[1:2], v3, off
.LBB159_779:
	s_and_b64 vcc, exec, s[12:13]
	s_cbranch_vccz .LBB159_784
; %bb.780:
	s_cmp_eq_u32 s16, 44
	s_mov_b64 s[4:5], -1
	s_cbranch_scc0 .LBB159_784
; %bb.781:
	s_and_b32 s4, 0xffff, s14
	v_cvt_f32_u32_e32 v3, s4
	v_readfirstlane_b32 s5, v3
	s_lshr_b32 s4, s5, 23
	s_cmpk_eq_i32 s4, 0xff
	v_mov_b32_e32 v3, 0xff
	s_cbranch_scc1 .LBB159_783
; %bb.782:
	s_bitcmp1_b32 s5, 22
	s_cselect_b64 s[10:11], -1, 0
	s_and_b32 s5, s5, 0x3fffff
	s_or_b32 s5, s4, s5
	s_cmp_lg_u32 s5, 0
	s_cselect_b64 s[12:13], -1, 0
	s_and_b64 s[10:11], s[10:11], s[12:13]
	v_cndmask_b32_e64 v3, 0, 1, s[10:11]
	v_add_u32_e32 v3, s4, v3
.LBB159_783:
	s_mov_b64 s[4:5], 0
	s_mov_b64 s[10:11], -1
	global_store_byte v[1:2], v3, off
.LBB159_784:
	s_mov_b64 s[12:13], 0
.LBB159_785:
	s_and_b64 vcc, exec, s[12:13]
	s_cbranch_vccz .LBB159_788
; %bb.786:
	s_cmp_eq_u32 s16, 29
	s_mov_b64 s[4:5], -1
	s_cbranch_scc0 .LBB159_788
; %bb.787:
	s_and_b32 s4, s14, 0xffff
	v_mov_b32_e32 v3, s4
	v_mov_b32_e32 v4, 0
	global_store_dwordx2 v[1:2], v[3:4], off
	s_mov_b64 s[4:5], 0
	s_mov_b64 s[10:11], -1
.LBB159_788:
	s_mov_b64 s[12:13], 0
.LBB159_789:
	s_and_b64 vcc, exec, s[12:13]
	s_cbranch_vccz .LBB159_840
; %bb.790:
	s_cmp_lt_i32 s16, 27
	s_mov_b64 s[10:11], -1
	s_cbranch_scc1 .LBB159_796
; %bb.791:
	s_cmp_gt_i32 s16, 27
	s_cbranch_scc0 .LBB159_793
; %bb.792:
	s_and_b32 s10, 0xffff, s14
	v_mov_b32_e32 v3, s10
	s_mov_b64 s[10:11], 0
	global_store_dword v[1:2], v3, off
.LBB159_793:
	s_andn2_b64 vcc, exec, s[10:11]
	s_cbranch_vccnz .LBB159_795
; %bb.794:
	v_mov_b32_e32 v3, s14
	global_store_short v[1:2], v3, off
.LBB159_795:
	s_mov_b64 s[10:11], 0
.LBB159_796:
	s_andn2_b64 vcc, exec, s[10:11]
	s_cbranch_vccnz .LBB159_839
; %bb.797:
	s_and_b32 s10, 0xffff, s14
	v_cvt_f32_u32_e32 v3, s10
	s_mov_b32 s11, 0x437fffff
	v_mov_b32_e32 v5, 0x80
	v_cmp_lt_u32_e32 vcc, s11, v3
	v_readfirstlane_b32 s10, v3
	s_cbranch_vccnz .LBB159_838
; %bb.798:
	s_cmp_gt_u32 s10, 0x3bffffff
	s_cbranch_scc0 .LBB159_833
; %bb.799:
	s_bfe_u32 s11, s10, 0x10014
	s_add_i32 s10, s10, s11
	s_add_i32 s10, s10, 0x487ffff
	s_lshr_b32 s17, s10, 20
	s_mov_b64 s[12:13], 0
	s_mov_b64 s[10:11], -1
	s_branch .LBB159_834
.LBB159_800:
	s_mov_b64 s[10:11], 0
	s_cbranch_execnz .LBB159_905
.LBB159_801:
	s_andn2_b64 vcc, exec, s[10:11]
	s_cbranch_vccnz .LBB159_943
.LBB159_802:
	v_mov_b32_e32 v1, s3
	v_add_co_u32_e32 v0, vcc, s2, v0
	s_cmp_lt_i32 s15, 11
	v_addc_co_u32_e32 v1, vcc, 0, v1, vcc
	s_cbranch_scc1 .LBB159_831
; %bb.803:
	s_and_b32 s12, 0xffff, s15
	s_mov_b64 s[8:9], -1
	s_mov_b64 s[4:5], 0
	s_cmp_gt_i32 s12, 25
	s_mov_b64 s[2:3], 0
	s_cbranch_scc0 .LBB159_855
; %bb.804:
	s_cmp_gt_i32 s12, 28
	s_cbranch_scc0 .LBB159_820
; %bb.805:
	s_cmp_gt_i32 s12, 43
	;; [unrolled: 3-line block ×3, first 2 shown]
	s_cbranch_scc0 .LBB159_810
; %bb.807:
	s_cmp_eq_u32 s12, 46
	s_mov_b64 s[2:3], -1
	s_cbranch_scc0 .LBB159_809
; %bb.808:
	s_and_b32 s2, 0xffff, s14
	v_cvt_f32_u32_e32 v2, s2
	s_mov_b64 s[2:3], 0
	v_bfe_u32 v3, v2, 16, 1
	v_add_u32_e32 v2, v2, v3
	v_add_u32_e32 v2, 0x7fff, v2
	v_lshrrev_b32_e32 v2, 16, v2
	global_store_dword v[0:1], v2, off
.LBB159_809:
	s_mov_b64 s[8:9], 0
.LBB159_810:
	s_and_b64 vcc, exec, s[8:9]
	s_cbranch_vccz .LBB159_815
; %bb.811:
	s_cmp_eq_u32 s12, 44
	s_mov_b64 s[2:3], -1
	s_cbranch_scc0 .LBB159_815
; %bb.812:
	s_and_b32 s2, 0xffff, s14
	v_cvt_f32_u32_e32 v2, s2
	v_readfirstlane_b32 s3, v2
	s_lshr_b32 s2, s3, 23
	s_cmpk_eq_i32 s2, 0xff
	v_mov_b32_e32 v2, 0xff
	s_cbranch_scc1 .LBB159_814
; %bb.813:
	s_bitcmp1_b32 s3, 22
	s_cselect_b64 s[8:9], -1, 0
	s_and_b32 s3, s3, 0x3fffff
	s_or_b32 s3, s2, s3
	s_cmp_lg_u32 s3, 0
	s_cselect_b64 s[10:11], -1, 0
	s_and_b64 s[8:9], s[8:9], s[10:11]
	v_cndmask_b32_e64 v2, 0, 1, s[8:9]
	v_add_u32_e32 v2, s2, v2
.LBB159_814:
	s_mov_b64 s[2:3], 0
	global_store_byte v[0:1], v2, off
.LBB159_815:
	s_mov_b64 s[8:9], 0
.LBB159_816:
	s_and_b64 vcc, exec, s[8:9]
	s_cbranch_vccz .LBB159_819
; %bb.817:
	s_cmp_eq_u32 s12, 29
	s_mov_b64 s[2:3], -1
	s_cbranch_scc0 .LBB159_819
; %bb.818:
	s_and_b32 s2, s14, 0xffff
	v_mov_b32_e32 v2, s2
	v_mov_b32_e32 v3, 0
	global_store_dwordx2 v[0:1], v[2:3], off
	s_mov_b64 s[2:3], 0
.LBB159_819:
	s_mov_b64 s[8:9], 0
.LBB159_820:
	s_and_b64 vcc, exec, s[8:9]
	s_cbranch_vccz .LBB159_854
; %bb.821:
	s_cmp_lt_i32 s12, 27
	s_mov_b64 s[8:9], -1
	s_cbranch_scc1 .LBB159_827
; %bb.822:
	s_cmp_gt_i32 s12, 27
	s_cbranch_scc0 .LBB159_824
; %bb.823:
	s_and_b32 s8, 0xffff, s14
	v_mov_b32_e32 v2, s8
	global_store_dword v[0:1], v2, off
	s_mov_b64 s[8:9], 0
.LBB159_824:
	s_andn2_b64 vcc, exec, s[8:9]
	s_cbranch_vccnz .LBB159_826
; %bb.825:
	v_mov_b32_e32 v2, s14
	global_store_short v[0:1], v2, off
.LBB159_826:
	s_mov_b64 s[8:9], 0
.LBB159_827:
	s_andn2_b64 vcc, exec, s[8:9]
	s_cbranch_vccnz .LBB159_854
; %bb.828:
	s_and_b32 s8, 0xffff, s14
	v_cvt_f32_u32_e32 v2, s8
	s_mov_b32 s9, 0x437fffff
	v_mov_b32_e32 v4, 0x80
	v_cmp_lt_u32_e32 vcc, s9, v2
	v_readfirstlane_b32 s8, v2
	s_cbranch_vccnz .LBB159_853
; %bb.829:
	s_cmp_gt_u32 s8, 0x3bffffff
	s_cbranch_scc0 .LBB159_848
; %bb.830:
	s_bfe_u32 s9, s8, 0x10014
	s_add_i32 s8, s8, s9
	s_add_i32 s8, s8, 0x487ffff
	s_lshr_b32 s13, s8, 20
	s_mov_b64 s[10:11], 0
	s_mov_b64 s[8:9], -1
	s_branch .LBB159_849
.LBB159_831:
	s_mov_b64 s[4:5], 0
	s_mov_b64 s[2:3], -1
	s_branch .LBB159_944
.LBB159_832:
	s_trap 2
	s_or_b64 s[0:1], s[0:1], exec
	s_cbranch_execz .LBB159_732
	s_branch .LBB159_733
.LBB159_833:
	s_mov_b64 s[12:13], -1
	s_mov_b64 s[10:11], 0
                                        ; implicit-def: $sgpr17
.LBB159_834:
	s_andn2_b64 vcc, exec, s[12:13]
	v_mov_b32_e32 v4, s17
	s_cbranch_vccnz .LBB159_836
; %bb.835:
	v_add_f32_e32 v3, 0x46000000, v3
	v_and_b32_e32 v4, 0xff, v3
	v_cmp_ne_u32_e64 s[10:11], 0, v4
.LBB159_836:
	s_andn2_b64 vcc, exec, s[10:11]
	v_mov_b32_e32 v5, 0
	s_cbranch_vccnz .LBB159_838
; %bb.837:
	v_mov_b32_e32 v5, v4
.LBB159_838:
	global_store_byte v[1:2], v5, off
.LBB159_839:
	s_mov_b64 s[10:11], -1
.LBB159_840:
	s_mov_b64 s[12:13], 0
.LBB159_841:
	s_and_b64 vcc, exec, s[12:13]
	s_cbranch_vccz .LBB159_901
; %bb.842:
	s_cmp_gt_i32 s16, 22
	s_mov_b64 s[8:9], -1
	s_cbranch_scc0 .LBB159_894
; %bb.843:
	s_cmp_lt_i32 s16, 24
	s_cbranch_scc1 .LBB159_881
; %bb.844:
	s_cmp_gt_i32 s16, 24
	s_cbranch_scc0 .LBB159_868
; %bb.845:
	s_and_b32 s8, 0xffff, s14
	v_cvt_f32_u32_e32 v3, s8
	s_mov_b32 s9, 0x477fffff
	v_mov_b32_e32 v5, 0x80
	v_cmp_lt_u32_e32 vcc, s9, v3
	v_readfirstlane_b32 s8, v3
	s_cbranch_vccnz .LBB159_867
; %bb.846:
	s_cmp_gt_u32 s8, 0x37ffffff
	s_cbranch_scc0 .LBB159_862
; %bb.847:
	s_bfe_u32 s9, s8, 0x10015
	s_add_i32 s8, s8, s9
	s_add_i32 s8, s8, 0x88fffff
	s_lshr_b32 s12, s8, 21
	s_mov_b64 s[10:11], 0
	s_mov_b64 s[8:9], -1
	s_branch .LBB159_863
.LBB159_848:
	s_mov_b64 s[10:11], -1
	s_mov_b64 s[8:9], 0
                                        ; implicit-def: $sgpr13
.LBB159_849:
	s_andn2_b64 vcc, exec, s[10:11]
	v_mov_b32_e32 v3, s13
	s_cbranch_vccnz .LBB159_851
; %bb.850:
	v_add_f32_e32 v2, 0x46000000, v2
	v_and_b32_e32 v3, 0xff, v2
	v_cmp_ne_u32_e64 s[8:9], 0, v3
.LBB159_851:
	s_andn2_b64 vcc, exec, s[8:9]
	v_mov_b32_e32 v4, 0
	s_cbranch_vccnz .LBB159_853
; %bb.852:
	v_mov_b32_e32 v4, v3
.LBB159_853:
	global_store_byte v[0:1], v4, off
.LBB159_854:
	s_mov_b64 s[8:9], 0
.LBB159_855:
	s_and_b64 vcc, exec, s[8:9]
	s_cbranch_vccz .LBB159_1028
; %bb.856:
	s_cmp_gt_i32 s12, 22
	s_mov_b64 s[4:5], -1
	s_cbranch_scc0 .LBB159_1021
; %bb.857:
	s_cmp_lt_i32 s12, 24
	s_cbranch_scc1 .LBB159_1008
; %bb.858:
	s_cmp_gt_i32 s12, 24
	s_cbranch_scc0 .LBB159_995
; %bb.859:
	s_and_b32 s4, 0xffff, s14
	v_cvt_f32_u32_e32 v2, s4
	s_mov_b32 s5, 0x477fffff
	v_mov_b32_e32 v4, 0x80
	v_cmp_lt_u32_e32 vcc, s5, v2
	v_readfirstlane_b32 s4, v2
	s_cbranch_vccnz .LBB159_994
; %bb.860:
	s_cmp_gt_u32 s4, 0x37ffffff
	s_cbranch_scc0 .LBB159_989
; %bb.861:
	s_bfe_u32 s5, s4, 0x10015
	s_add_i32 s4, s4, s5
	s_add_i32 s4, s4, 0x88fffff
	s_lshr_b32 s10, s4, 21
	s_mov_b64 s[8:9], 0
	s_mov_b64 s[4:5], -1
	s_branch .LBB159_990
.LBB159_862:
	s_mov_b64 s[10:11], -1
	s_mov_b64 s[8:9], 0
                                        ; implicit-def: $sgpr12
.LBB159_863:
	s_andn2_b64 vcc, exec, s[10:11]
	v_mov_b32_e32 v4, s12
	s_cbranch_vccnz .LBB159_865
; %bb.864:
	v_add_f32_e32 v3, 0x42800000, v3
	v_and_b32_e32 v4, 0xff, v3
	v_cmp_ne_u32_e64 s[8:9], 0, v4
.LBB159_865:
	s_andn2_b64 vcc, exec, s[8:9]
	v_mov_b32_e32 v5, 0
	s_cbranch_vccnz .LBB159_867
; %bb.866:
	v_mov_b32_e32 v5, v4
.LBB159_867:
	s_mov_b64 s[8:9], 0
	global_store_byte v[1:2], v5, off
.LBB159_868:
	s_and_b64 vcc, exec, s[8:9]
	s_cbranch_vccz .LBB159_880
; %bb.869:
	s_and_b32 s8, 0xffff, s14
	v_cvt_f32_u32_e32 v3, s8
	s_mov_b32 s8, 0x43f00000
	v_cmp_gt_u32_e32 vcc, s8, v3
	v_readfirstlane_b32 s10, v3
	s_cbranch_vccz .LBB159_872
; %bb.870:
	s_cmp_gt_u32 s10, 0x3c7fffff
	s_cbranch_scc0 .LBB159_873
; %bb.871:
	s_bfe_u32 s8, s10, 0x10014
	s_add_i32 s8, s10, s8
	s_add_i32 s8, s8, 0x407ffff
	s_lshr_b32 s9, s8, 20
	s_and_b32 s8, s8, 0xff00000
	s_cmp_lg_u32 s8, 0x7f00000
	s_cselect_b32 s11, s9, 0x7e
	s_mov_b64 s[8:9], 0
	s_branch .LBB159_874
.LBB159_872:
	s_mov_b64 s[8:9], -1
                                        ; implicit-def: $vgpr4
	s_branch .LBB159_877
.LBB159_873:
	s_mov_b64 s[8:9], -1
                                        ; implicit-def: $sgpr11
.LBB159_874:
	s_andn2_b64 vcc, exec, s[8:9]
	v_mov_b32_e32 v4, s11
	s_cbranch_vccnz .LBB159_876
; %bb.875:
	v_add_f32_e32 v4, 0x46800000, v3
.LBB159_876:
	s_mov_b64 s[8:9], 0
.LBB159_877:
	s_andn2_b64 vcc, exec, s[8:9]
	s_cbranch_vccnz .LBB159_879
; %bb.878:
	s_cmp_gt_u32 s10, 0x7f800000
	s_movk_i32 s8, 0x7f
	s_cselect_b32 s8, s8, 0x7e
	v_mov_b32_e32 v4, s8
.LBB159_879:
	global_store_byte v[1:2], v4, off
.LBB159_880:
	s_mov_b64 s[8:9], 0
.LBB159_881:
	s_andn2_b64 vcc, exec, s[8:9]
	s_cbranch_vccnz .LBB159_893
; %bb.882:
	s_and_b32 s8, 0xffff, s14
	v_cvt_f32_u32_e32 v3, s8
	s_mov_b32 s8, 0x47800000
	v_cmp_gt_u32_e32 vcc, s8, v3
	v_readfirstlane_b32 s10, v3
	s_cbranch_vccz .LBB159_885
; %bb.883:
	s_cmp_gt_u32 s10, 0x387fffff
	s_cbranch_scc0 .LBB159_886
; %bb.884:
	s_bfe_u32 s8, s10, 0x10015
	s_add_i32 s8, s10, s8
	s_add_i32 s8, s8, 0x80fffff
	s_lshr_b32 s11, s8, 21
	s_mov_b64 s[8:9], 0
	s_branch .LBB159_887
.LBB159_885:
	s_mov_b64 s[8:9], -1
                                        ; implicit-def: $vgpr4
	s_branch .LBB159_890
.LBB159_886:
	s_mov_b64 s[8:9], -1
                                        ; implicit-def: $sgpr11
.LBB159_887:
	s_andn2_b64 vcc, exec, s[8:9]
	v_mov_b32_e32 v4, s11
	s_cbranch_vccnz .LBB159_889
; %bb.888:
	v_add_f32_e32 v4, 0x43000000, v3
.LBB159_889:
	s_mov_b64 s[8:9], 0
.LBB159_890:
	s_andn2_b64 vcc, exec, s[8:9]
	s_cbranch_vccnz .LBB159_892
; %bb.891:
	s_cmp_gt_u32 s10, 0x7f800000
	s_movk_i32 s8, 0x7f
	s_cselect_b32 s8, s8, 0x7c
	v_mov_b32_e32 v4, s8
.LBB159_892:
	global_store_byte v[1:2], v4, off
.LBB159_893:
	s_mov_b64 s[8:9], 0
	s_mov_b64 s[10:11], -1
.LBB159_894:
	s_andn2_b64 vcc, exec, s[8:9]
	s_mov_b64 s[8:9], 0
	s_cbranch_vccnz .LBB159_901
; %bb.895:
	s_cmp_gt_i32 s16, 14
	s_mov_b64 s[12:13], -1
	s_cbranch_scc0 .LBB159_899
; %bb.896:
	s_cmp_eq_u32 s16, 15
	s_mov_b64 s[4:5], -1
	s_cbranch_scc0 .LBB159_898
; %bb.897:
	s_and_b32 s4, 0xffff, s14
	v_cvt_f32_u32_e32 v3, s4
	s_mov_b64 s[4:5], 0
	s_mov_b64 s[10:11], -1
	v_bfe_u32 v4, v3, 16, 1
	v_add_u32_e32 v3, v3, v4
	v_add_u32_e32 v3, 0x7fff, v3
	global_store_short_d16_hi v[1:2], v3, off
.LBB159_898:
	s_mov_b64 s[12:13], 0
.LBB159_899:
	s_and_b64 vcc, exec, s[12:13]
	s_cbranch_vccz .LBB159_901
; %bb.900:
	s_cmp_lg_u32 s16, 11
	s_mov_b64 s[8:9], -1
	s_cselect_b64 s[4:5], -1, 0
.LBB159_901:
	s_and_b64 vcc, exec, s[4:5]
	s_cbranch_vccnz .LBB159_988
; %bb.902:
	s_andn2_b64 vcc, exec, s[8:9]
	s_cbranch_vccnz .LBB159_904
.LBB159_903:
	s_and_b32 s4, 0xffff, s14
	s_cmp_lg_u32 s4, 0
	s_cselect_b64 s[4:5], -1, 0
	v_cndmask_b32_e64 v3, 0, 1, s[4:5]
	s_mov_b64 s[10:11], -1
	global_store_byte v[1:2], v3, off
.LBB159_904:
	s_branch .LBB159_801
.LBB159_905:
	s_and_b32 s8, 0xffff, s15
	s_cmp_lt_i32 s8, 5
	s_mov_b64 s[4:5], -1
	s_cbranch_scc1 .LBB159_926
; %bb.906:
	s_cmp_lt_i32 s8, 8
	s_cbranch_scc1 .LBB159_916
; %bb.907:
	s_cmp_lt_i32 s8, 9
	s_cbranch_scc1 .LBB159_913
; %bb.908:
	s_cmp_gt_i32 s8, 9
	s_cbranch_scc0 .LBB159_910
; %bb.909:
	s_and_b32 s4, 0xffff, s14
	v_cvt_f64_u32_e32 v[3:4], s4
	v_mov_b32_e32 v5, 0
	v_mov_b32_e32 v6, v5
	s_mov_b64 s[4:5], 0
	global_store_dwordx4 v[1:2], v[3:6], off
.LBB159_910:
	s_andn2_b64 vcc, exec, s[4:5]
	s_cbranch_vccnz .LBB159_912
; %bb.911:
	s_and_b32 s4, 0xffff, s14
	v_cvt_f32_u32_e32 v3, s4
	v_mov_b32_e32 v4, 0
	global_store_dwordx2 v[1:2], v[3:4], off
.LBB159_912:
	s_mov_b64 s[4:5], 0
.LBB159_913:
	s_andn2_b64 vcc, exec, s[4:5]
	s_cbranch_vccnz .LBB159_915
; %bb.914:
	v_cvt_f16_u16_e32 v3, s14
	global_store_dword v[1:2], v3, off
.LBB159_915:
	s_mov_b64 s[4:5], 0
.LBB159_916:
	s_andn2_b64 vcc, exec, s[4:5]
	s_cbranch_vccnz .LBB159_925
; %bb.917:
	s_cmp_lt_i32 s8, 6
	s_mov_b64 s[4:5], -1
	s_cbranch_scc1 .LBB159_923
; %bb.918:
	s_cmp_gt_i32 s8, 6
	s_cbranch_scc0 .LBB159_920
; %bb.919:
	s_and_b32 s4, 0xffff, s14
	v_cvt_f64_u32_e32 v[3:4], s4
	s_mov_b64 s[4:5], 0
	global_store_dwordx2 v[1:2], v[3:4], off
.LBB159_920:
	s_andn2_b64 vcc, exec, s[4:5]
	s_cbranch_vccnz .LBB159_922
; %bb.921:
	s_and_b32 s4, 0xffff, s14
	v_cvt_f32_u32_e32 v3, s4
	global_store_dword v[1:2], v3, off
.LBB159_922:
	s_mov_b64 s[4:5], 0
.LBB159_923:
	s_andn2_b64 vcc, exec, s[4:5]
	s_cbranch_vccnz .LBB159_925
; %bb.924:
	v_cvt_f16_u16_e32 v3, s14
	global_store_short v[1:2], v3, off
.LBB159_925:
	s_mov_b64 s[4:5], 0
.LBB159_926:
	s_andn2_b64 vcc, exec, s[4:5]
	s_cbranch_vccnz .LBB159_942
; %bb.927:
	s_cmp_lt_i32 s8, 2
	s_mov_b64 s[4:5], -1
	s_cbranch_scc1 .LBB159_937
; %bb.928:
	s_cmp_lt_i32 s8, 3
	s_cbranch_scc1 .LBB159_934
; %bb.929:
	s_cmp_gt_i32 s8, 3
	s_cbranch_scc0 .LBB159_931
; %bb.930:
	s_and_b32 s4, s14, 0xffff
	v_mov_b32_e32 v3, s4
	v_mov_b32_e32 v4, 0
	global_store_dwordx2 v[1:2], v[3:4], off
	s_mov_b64 s[4:5], 0
.LBB159_931:
	s_andn2_b64 vcc, exec, s[4:5]
	s_cbranch_vccnz .LBB159_933
; %bb.932:
	s_and_b32 s4, 0xffff, s14
	v_mov_b32_e32 v3, s4
	global_store_dword v[1:2], v3, off
.LBB159_933:
	s_mov_b64 s[4:5], 0
.LBB159_934:
	s_andn2_b64 vcc, exec, s[4:5]
	s_cbranch_vccnz .LBB159_936
; %bb.935:
	v_mov_b32_e32 v3, s14
	global_store_short v[1:2], v3, off
.LBB159_936:
	s_mov_b64 s[4:5], 0
.LBB159_937:
	s_andn2_b64 vcc, exec, s[4:5]
	s_cbranch_vccnz .LBB159_942
; %bb.938:
	s_cmp_gt_i32 s8, 0
	s_mov_b64 s[4:5], -1
	s_cbranch_scc0 .LBB159_940
; %bb.939:
	v_mov_b32_e32 v3, s14
	global_store_byte v[1:2], v3, off
	s_mov_b64 s[4:5], 0
.LBB159_940:
	s_andn2_b64 vcc, exec, s[4:5]
	s_cbranch_vccnz .LBB159_942
; %bb.941:
	v_mov_b32_e32 v3, s14
	global_store_byte v[1:2], v3, off
.LBB159_942:
	s_branch .LBB159_802
.LBB159_943:
	s_mov_b64 s[2:3], 0
	s_mov_b64 s[4:5], 0
                                        ; implicit-def: $sgpr15
                                        ; implicit-def: $vgpr0_vgpr1
.LBB159_944:
	s_and_b64 s[44:45], s[4:5], exec
	s_andn2_b64 s[4:5], s[6:7], exec
	s_and_b64 s[0:1], s[0:1], exec
	s_and_b64 s[2:3], s[2:3], exec
	s_or_b64 s[6:7], s[4:5], s[0:1]
.LBB159_945:
	s_or_b64 exec, exec, s[24:25]
	s_and_saveexec_b64 s[0:1], s[6:7]
	s_cbranch_execz .LBB159_948
; %bb.946:
	; divergent unreachable
	s_or_b64 exec, exec, s[0:1]
	s_and_saveexec_b64 s[0:1], s[44:45]
	s_xor_b64 s[0:1], exec, s[0:1]
	s_cbranch_execnz .LBB159_949
.LBB159_947:
	s_or_b64 exec, exec, s[0:1]
	s_and_saveexec_b64 s[0:1], s[2:3]
	s_cbranch_execnz .LBB159_950
	s_branch .LBB159_987
.LBB159_948:
	s_or_b64 exec, exec, s[0:1]
	s_and_saveexec_b64 s[0:1], s[44:45]
	s_xor_b64 s[0:1], exec, s[0:1]
	s_cbranch_execz .LBB159_947
.LBB159_949:
	s_and_b32 s4, 0xffff, s14
	s_cmp_lg_u32 s4, 0
	s_cselect_b64 s[4:5], -1, 0
	v_cndmask_b32_e64 v2, 0, 1, s[4:5]
	global_store_byte v[0:1], v2, off
	s_or_b64 exec, exec, s[0:1]
	s_and_saveexec_b64 s[0:1], s[2:3]
	s_cbranch_execz .LBB159_987
.LBB159_950:
	s_sext_i32_i16 s2, s15
	s_cmp_lt_i32 s2, 5
	s_mov_b64 s[0:1], -1
	s_cbranch_scc1 .LBB159_971
; %bb.951:
	s_cmp_lt_i32 s2, 8
	s_cbranch_scc1 .LBB159_961
; %bb.952:
	s_cmp_lt_i32 s2, 9
	s_cbranch_scc1 .LBB159_958
; %bb.953:
	s_cmp_gt_i32 s2, 9
	s_cbranch_scc0 .LBB159_955
; %bb.954:
	s_and_b32 s0, 0xffff, s14
	v_cvt_f64_u32_e32 v[2:3], s0
	v_mov_b32_e32 v4, 0
	v_mov_b32_e32 v5, v4
	s_mov_b64 s[0:1], 0
	global_store_dwordx4 v[0:1], v[2:5], off
.LBB159_955:
	s_andn2_b64 vcc, exec, s[0:1]
	s_cbranch_vccnz .LBB159_957
; %bb.956:
	s_and_b32 s0, 0xffff, s14
	v_cvt_f32_u32_e32 v2, s0
	v_mov_b32_e32 v3, 0
	global_store_dwordx2 v[0:1], v[2:3], off
.LBB159_957:
	s_mov_b64 s[0:1], 0
.LBB159_958:
	s_andn2_b64 vcc, exec, s[0:1]
	s_cbranch_vccnz .LBB159_960
; %bb.959:
	v_cvt_f16_u16_e32 v2, s14
	global_store_dword v[0:1], v2, off
.LBB159_960:
	s_mov_b64 s[0:1], 0
.LBB159_961:
	s_andn2_b64 vcc, exec, s[0:1]
	s_cbranch_vccnz .LBB159_970
; %bb.962:
	s_sext_i32_i16 s2, s15
	s_cmp_lt_i32 s2, 6
	s_mov_b64 s[0:1], -1
	s_cbranch_scc1 .LBB159_968
; %bb.963:
	s_cmp_gt_i32 s2, 6
	s_cbranch_scc0 .LBB159_965
; %bb.964:
	s_and_b32 s0, 0xffff, s14
	v_cvt_f64_u32_e32 v[2:3], s0
	s_mov_b64 s[0:1], 0
	global_store_dwordx2 v[0:1], v[2:3], off
.LBB159_965:
	s_andn2_b64 vcc, exec, s[0:1]
	s_cbranch_vccnz .LBB159_967
; %bb.966:
	s_and_b32 s0, 0xffff, s14
	v_cvt_f32_u32_e32 v2, s0
	global_store_dword v[0:1], v2, off
.LBB159_967:
	s_mov_b64 s[0:1], 0
.LBB159_968:
	s_andn2_b64 vcc, exec, s[0:1]
	s_cbranch_vccnz .LBB159_970
; %bb.969:
	v_cvt_f16_u16_e32 v2, s14
	global_store_short v[0:1], v2, off
.LBB159_970:
	s_mov_b64 s[0:1], 0
.LBB159_971:
	s_andn2_b64 vcc, exec, s[0:1]
	s_cbranch_vccnz .LBB159_987
; %bb.972:
	s_sext_i32_i16 s2, s15
	s_cmp_lt_i32 s2, 2
	s_mov_b64 s[0:1], -1
	s_cbranch_scc1 .LBB159_982
; %bb.973:
	s_cmp_lt_i32 s2, 3
	s_cbranch_scc1 .LBB159_979
; %bb.974:
	s_cmp_gt_i32 s2, 3
	s_cbranch_scc0 .LBB159_976
; %bb.975:
	s_and_b32 s0, s14, 0xffff
	v_mov_b32_e32 v2, s0
	v_mov_b32_e32 v3, 0
	global_store_dwordx2 v[0:1], v[2:3], off
	s_mov_b64 s[0:1], 0
.LBB159_976:
	s_andn2_b64 vcc, exec, s[0:1]
	s_cbranch_vccnz .LBB159_978
; %bb.977:
	s_and_b32 s0, 0xffff, s14
	v_mov_b32_e32 v2, s0
	global_store_dword v[0:1], v2, off
.LBB159_978:
	s_mov_b64 s[0:1], 0
.LBB159_979:
	s_andn2_b64 vcc, exec, s[0:1]
	s_cbranch_vccnz .LBB159_981
; %bb.980:
	v_mov_b32_e32 v2, s14
	global_store_short v[0:1], v2, off
.LBB159_981:
	s_mov_b64 s[0:1], 0
.LBB159_982:
	s_andn2_b64 vcc, exec, s[0:1]
	s_cbranch_vccnz .LBB159_987
; %bb.983:
	s_sext_i32_i16 s0, s15
	s_cmp_gt_i32 s0, 0
	s_mov_b64 s[0:1], -1
	s_cbranch_scc0 .LBB159_985
; %bb.984:
	v_mov_b32_e32 v2, s14
	global_store_byte v[0:1], v2, off
	s_mov_b64 s[0:1], 0
.LBB159_985:
	s_andn2_b64 vcc, exec, s[0:1]
	s_cbranch_vccnz .LBB159_987
; %bb.986:
	v_mov_b32_e32 v2, s14
	global_store_byte v[0:1], v2, off
	s_endpgm
.LBB159_987:
	s_endpgm
.LBB159_988:
	s_trap 2
	s_or_b64 s[0:1], s[0:1], exec
	s_cbranch_execz .LBB159_903
	s_branch .LBB159_904
.LBB159_989:
	s_mov_b64 s[8:9], -1
	s_mov_b64 s[4:5], 0
                                        ; implicit-def: $sgpr10
.LBB159_990:
	s_andn2_b64 vcc, exec, s[8:9]
	v_mov_b32_e32 v3, s10
	s_cbranch_vccnz .LBB159_992
; %bb.991:
	v_add_f32_e32 v2, 0x42800000, v2
	v_and_b32_e32 v3, 0xff, v2
	v_cmp_ne_u32_e64 s[4:5], 0, v3
.LBB159_992:
	s_andn2_b64 vcc, exec, s[4:5]
	v_mov_b32_e32 v4, 0
	s_cbranch_vccnz .LBB159_994
; %bb.993:
	v_mov_b32_e32 v4, v3
.LBB159_994:
	s_mov_b64 s[4:5], 0
	global_store_byte v[0:1], v4, off
.LBB159_995:
	s_and_b64 vcc, exec, s[4:5]
	s_cbranch_vccz .LBB159_1007
; %bb.996:
	s_and_b32 s4, 0xffff, s14
	v_cvt_f32_u32_e32 v2, s4
	s_mov_b32 s4, 0x43f00000
	v_cmp_gt_u32_e32 vcc, s4, v2
	v_readfirstlane_b32 s8, v2
	s_cbranch_vccz .LBB159_999
; %bb.997:
	s_cmp_gt_u32 s8, 0x3c7fffff
	s_cbranch_scc0 .LBB159_1000
; %bb.998:
	s_bfe_u32 s4, s8, 0x10014
	s_add_i32 s4, s8, s4
	s_add_i32 s4, s4, 0x407ffff
	s_lshr_b32 s5, s4, 20
	s_and_b32 s4, s4, 0xff00000
	s_cmp_lg_u32 s4, 0x7f00000
	s_cselect_b32 s9, s5, 0x7e
	s_mov_b64 s[4:5], 0
	s_branch .LBB159_1001
.LBB159_999:
	s_mov_b64 s[4:5], -1
                                        ; implicit-def: $vgpr3
	s_branch .LBB159_1004
.LBB159_1000:
	s_mov_b64 s[4:5], -1
                                        ; implicit-def: $sgpr9
.LBB159_1001:
	s_andn2_b64 vcc, exec, s[4:5]
	v_mov_b32_e32 v3, s9
	s_cbranch_vccnz .LBB159_1003
; %bb.1002:
	v_add_f32_e32 v3, 0x46800000, v2
.LBB159_1003:
	s_mov_b64 s[4:5], 0
.LBB159_1004:
	s_andn2_b64 vcc, exec, s[4:5]
	s_cbranch_vccnz .LBB159_1006
; %bb.1005:
	s_cmp_gt_u32 s8, 0x7f800000
	s_movk_i32 s4, 0x7f
	s_cselect_b32 s4, s4, 0x7e
	v_mov_b32_e32 v3, s4
.LBB159_1006:
	global_store_byte v[0:1], v3, off
.LBB159_1007:
	s_mov_b64 s[4:5], 0
.LBB159_1008:
	s_andn2_b64 vcc, exec, s[4:5]
	s_cbranch_vccnz .LBB159_1020
; %bb.1009:
	s_and_b32 s4, 0xffff, s14
	v_cvt_f32_u32_e32 v2, s4
	s_mov_b32 s4, 0x47800000
	v_cmp_gt_u32_e32 vcc, s4, v2
	v_readfirstlane_b32 s8, v2
	s_cbranch_vccz .LBB159_1012
; %bb.1010:
	s_cmp_gt_u32 s8, 0x387fffff
	s_cbranch_scc0 .LBB159_1013
; %bb.1011:
	s_bfe_u32 s4, s8, 0x10015
	s_add_i32 s4, s8, s4
	s_add_i32 s4, s4, 0x80fffff
	s_lshr_b32 s9, s4, 21
	s_mov_b64 s[4:5], 0
	s_branch .LBB159_1014
.LBB159_1012:
	s_mov_b64 s[4:5], -1
                                        ; implicit-def: $vgpr3
	s_branch .LBB159_1017
.LBB159_1013:
	s_mov_b64 s[4:5], -1
                                        ; implicit-def: $sgpr9
.LBB159_1014:
	s_andn2_b64 vcc, exec, s[4:5]
	v_mov_b32_e32 v3, s9
	s_cbranch_vccnz .LBB159_1016
; %bb.1015:
	v_add_f32_e32 v3, 0x43000000, v2
.LBB159_1016:
	s_mov_b64 s[4:5], 0
.LBB159_1017:
	s_andn2_b64 vcc, exec, s[4:5]
	s_cbranch_vccnz .LBB159_1019
; %bb.1018:
	s_cmp_gt_u32 s8, 0x7f800000
	s_movk_i32 s4, 0x7f
	s_cselect_b32 s4, s4, 0x7c
	v_mov_b32_e32 v3, s4
.LBB159_1019:
	global_store_byte v[0:1], v3, off
.LBB159_1020:
	s_mov_b64 s[4:5], 0
.LBB159_1021:
	s_andn2_b64 vcc, exec, s[4:5]
	s_mov_b64 s[4:5], 0
	s_cbranch_vccnz .LBB159_1028
; %bb.1022:
	s_cmp_gt_i32 s12, 14
	s_mov_b64 s[8:9], -1
	s_cbranch_scc0 .LBB159_1026
; %bb.1023:
	s_cmp_eq_u32 s12, 15
	s_mov_b64 s[2:3], -1
	s_cbranch_scc0 .LBB159_1025
; %bb.1024:
	s_and_b32 s2, 0xffff, s14
	v_cvt_f32_u32_e32 v2, s2
	s_mov_b64 s[2:3], 0
	v_bfe_u32 v3, v2, 16, 1
	v_add_u32_e32 v2, v2, v3
	v_add_u32_e32 v2, 0x7fff, v2
	global_store_short_d16_hi v[0:1], v2, off
.LBB159_1025:
	s_mov_b64 s[8:9], 0
.LBB159_1026:
	s_and_b64 vcc, exec, s[8:9]
	s_cbranch_vccz .LBB159_1028
; %bb.1027:
	s_cmp_lg_u32 s12, 11
	s_mov_b64 s[4:5], -1
	s_cselect_b64 s[2:3], -1, 0
.LBB159_1028:
	s_and_b64 vcc, exec, s[2:3]
	s_cbranch_vccnz .LBB159_1030
.LBB159_1029:
	s_mov_b64 s[2:3], 0
	s_branch .LBB159_944
.LBB159_1030:
	s_mov_b64 s[4:5], 0
	s_or_b64 s[0:1], s[0:1], exec
	s_trap 2
	s_branch .LBB159_1029
	.section	.rodata,"a",@progbits
	.p2align	6, 0x0
	.amdhsa_kernel _ZN2at6native32elementwise_kernel_manual_unrollILi128ELi4EZNS0_15gpu_kernel_implINS0_11FillFunctorItEEEEvRNS_18TensorIteratorBaseERKT_EUlibE0_EEviT1_
		.amdhsa_group_segment_fixed_size 0
		.amdhsa_private_segment_fixed_size 0
		.amdhsa_kernarg_size 288
		.amdhsa_user_sgpr_count 6
		.amdhsa_user_sgpr_private_segment_buffer 1
		.amdhsa_user_sgpr_dispatch_ptr 0
		.amdhsa_user_sgpr_queue_ptr 0
		.amdhsa_user_sgpr_kernarg_segment_ptr 1
		.amdhsa_user_sgpr_dispatch_id 0
		.amdhsa_user_sgpr_flat_scratch_init 0
		.amdhsa_user_sgpr_private_segment_size 0
		.amdhsa_uses_dynamic_stack 0
		.amdhsa_system_sgpr_private_segment_wavefront_offset 0
		.amdhsa_system_sgpr_workgroup_id_x 1
		.amdhsa_system_sgpr_workgroup_id_y 0
		.amdhsa_system_sgpr_workgroup_id_z 0
		.amdhsa_system_sgpr_workgroup_info 0
		.amdhsa_system_vgpr_workitem_id 0
		.amdhsa_next_free_vgpr 26
		.amdhsa_next_free_sgpr 90
		.amdhsa_reserve_vcc 1
		.amdhsa_reserve_flat_scratch 0
		.amdhsa_float_round_mode_32 0
		.amdhsa_float_round_mode_16_64 0
		.amdhsa_float_denorm_mode_32 3
		.amdhsa_float_denorm_mode_16_64 3
		.amdhsa_dx10_clamp 1
		.amdhsa_ieee_mode 1
		.amdhsa_fp16_overflow 0
		.amdhsa_exception_fp_ieee_invalid_op 0
		.amdhsa_exception_fp_denorm_src 0
		.amdhsa_exception_fp_ieee_div_zero 0
		.amdhsa_exception_fp_ieee_overflow 0
		.amdhsa_exception_fp_ieee_underflow 0
		.amdhsa_exception_fp_ieee_inexact 0
		.amdhsa_exception_int_div_zero 0
	.end_amdhsa_kernel
	.section	.text._ZN2at6native32elementwise_kernel_manual_unrollILi128ELi4EZNS0_15gpu_kernel_implINS0_11FillFunctorItEEEEvRNS_18TensorIteratorBaseERKT_EUlibE0_EEviT1_,"axG",@progbits,_ZN2at6native32elementwise_kernel_manual_unrollILi128ELi4EZNS0_15gpu_kernel_implINS0_11FillFunctorItEEEEvRNS_18TensorIteratorBaseERKT_EUlibE0_EEviT1_,comdat
.Lfunc_end159:
	.size	_ZN2at6native32elementwise_kernel_manual_unrollILi128ELi4EZNS0_15gpu_kernel_implINS0_11FillFunctorItEEEEvRNS_18TensorIteratorBaseERKT_EUlibE0_EEviT1_, .Lfunc_end159-_ZN2at6native32elementwise_kernel_manual_unrollILi128ELi4EZNS0_15gpu_kernel_implINS0_11FillFunctorItEEEEvRNS_18TensorIteratorBaseERKT_EUlibE0_EEviT1_
                                        ; -- End function
	.set _ZN2at6native32elementwise_kernel_manual_unrollILi128ELi4EZNS0_15gpu_kernel_implINS0_11FillFunctorItEEEEvRNS_18TensorIteratorBaseERKT_EUlibE0_EEviT1_.num_vgpr, 26
	.set _ZN2at6native32elementwise_kernel_manual_unrollILi128ELi4EZNS0_15gpu_kernel_implINS0_11FillFunctorItEEEEvRNS_18TensorIteratorBaseERKT_EUlibE0_EEviT1_.num_agpr, 0
	.set _ZN2at6native32elementwise_kernel_manual_unrollILi128ELi4EZNS0_15gpu_kernel_implINS0_11FillFunctorItEEEEvRNS_18TensorIteratorBaseERKT_EUlibE0_EEviT1_.numbered_sgpr, 90
	.set _ZN2at6native32elementwise_kernel_manual_unrollILi128ELi4EZNS0_15gpu_kernel_implINS0_11FillFunctorItEEEEvRNS_18TensorIteratorBaseERKT_EUlibE0_EEviT1_.num_named_barrier, 0
	.set _ZN2at6native32elementwise_kernel_manual_unrollILi128ELi4EZNS0_15gpu_kernel_implINS0_11FillFunctorItEEEEvRNS_18TensorIteratorBaseERKT_EUlibE0_EEviT1_.private_seg_size, 0
	.set _ZN2at6native32elementwise_kernel_manual_unrollILi128ELi4EZNS0_15gpu_kernel_implINS0_11FillFunctorItEEEEvRNS_18TensorIteratorBaseERKT_EUlibE0_EEviT1_.uses_vcc, 1
	.set _ZN2at6native32elementwise_kernel_manual_unrollILi128ELi4EZNS0_15gpu_kernel_implINS0_11FillFunctorItEEEEvRNS_18TensorIteratorBaseERKT_EUlibE0_EEviT1_.uses_flat_scratch, 0
	.set _ZN2at6native32elementwise_kernel_manual_unrollILi128ELi4EZNS0_15gpu_kernel_implINS0_11FillFunctorItEEEEvRNS_18TensorIteratorBaseERKT_EUlibE0_EEviT1_.has_dyn_sized_stack, 0
	.set _ZN2at6native32elementwise_kernel_manual_unrollILi128ELi4EZNS0_15gpu_kernel_implINS0_11FillFunctorItEEEEvRNS_18TensorIteratorBaseERKT_EUlibE0_EEviT1_.has_recursion, 0
	.set _ZN2at6native32elementwise_kernel_manual_unrollILi128ELi4EZNS0_15gpu_kernel_implINS0_11FillFunctorItEEEEvRNS_18TensorIteratorBaseERKT_EUlibE0_EEviT1_.has_indirect_call, 0
	.section	.AMDGPU.csdata,"",@progbits
; Kernel info:
; codeLenInByte = 16864
; TotalNumSgprs: 94
; NumVgprs: 26
; ScratchSize: 0
; MemoryBound: 0
; FloatMode: 240
; IeeeMode: 1
; LDSByteSize: 0 bytes/workgroup (compile time only)
; SGPRBlocks: 11
; VGPRBlocks: 6
; NumSGPRsForWavesPerEU: 94
; NumVGPRsForWavesPerEU: 26
; Occupancy: 8
; WaveLimiterHint : 1
; COMPUTE_PGM_RSRC2:SCRATCH_EN: 0
; COMPUTE_PGM_RSRC2:USER_SGPR: 6
; COMPUTE_PGM_RSRC2:TRAP_HANDLER: 0
; COMPUTE_PGM_RSRC2:TGID_X_EN: 1
; COMPUTE_PGM_RSRC2:TGID_Y_EN: 0
; COMPUTE_PGM_RSRC2:TGID_Z_EN: 0
; COMPUTE_PGM_RSRC2:TIDIG_COMP_CNT: 0
	.section	.text._ZN2at6native29vectorized_elementwise_kernelILi16ENS0_11FillFunctorIjEESt5arrayIPcLm1EEEEviT0_T1_,"axG",@progbits,_ZN2at6native29vectorized_elementwise_kernelILi16ENS0_11FillFunctorIjEESt5arrayIPcLm1EEEEviT0_T1_,comdat
	.protected	_ZN2at6native29vectorized_elementwise_kernelILi16ENS0_11FillFunctorIjEESt5arrayIPcLm1EEEEviT0_T1_ ; -- Begin function _ZN2at6native29vectorized_elementwise_kernelILi16ENS0_11FillFunctorIjEESt5arrayIPcLm1EEEEviT0_T1_
	.globl	_ZN2at6native29vectorized_elementwise_kernelILi16ENS0_11FillFunctorIjEESt5arrayIPcLm1EEEEviT0_T1_
	.p2align	8
	.type	_ZN2at6native29vectorized_elementwise_kernelILi16ENS0_11FillFunctorIjEESt5arrayIPcLm1EEEEviT0_T1_,@function
_ZN2at6native29vectorized_elementwise_kernelILi16ENS0_11FillFunctorIjEESt5arrayIPcLm1EEEEviT0_T1_: ; @_ZN2at6native29vectorized_elementwise_kernelILi16ENS0_11FillFunctorIjEESt5arrayIPcLm1EEEEviT0_T1_
; %bb.0:
	s_load_dwordx4 s[0:3], s[4:5], 0x0
	s_lshl_b32 s4, s6, 10
	s_mov_b64 s[6:7], -1
	s_waitcnt lgkmcnt(0)
	s_sub_i32 s8, s0, s4
	s_cmpk_gt_i32 s8, 0x3ff
	s_cbranch_scc0 .LBB160_2
; %bb.1:
	s_ashr_i32 s5, s4, 31
	s_lshl_b64 s[6:7], s[4:5], 2
	s_add_u32 s6, s2, s6
	s_addc_u32 s7, s3, s7
	v_lshlrev_b32_e32 v5, 4, v0
	v_mov_b32_e32 v1, s1
	v_mov_b32_e32 v2, s1
	;; [unrolled: 1-line block ×4, first 2 shown]
	global_store_dwordx4 v5, v[1:4], s[6:7]
	s_mov_b64 s[6:7], 0
.LBB160_2:
	s_andn2_b64 vcc, exec, s[6:7]
	s_cbranch_vccnz .LBB160_8
; %bb.3:
	v_or_b32_e32 v4, 0x100, v0
	v_mov_b32_e32 v1, s1
	v_cmp_gt_i32_e64 s[0:1], s8, v4
	v_or_b32_e32 v2, 0x200, v0
	v_cndmask_b32_e64 v3, 0, v1, s[0:1]
	v_cmp_gt_i32_e64 s[0:1], s8, v2
	v_or_b32_e32 v6, 0x300, v0
	v_cmp_gt_i32_e32 vcc, s8, v0
	v_cndmask_b32_e64 v2, 0, v1, s[0:1]
	v_cmp_gt_i32_e64 s[0:1], s8, v6
	v_cndmask_b32_e32 v5, 0, v1, vcc
	v_cndmask_b32_e64 v1, 0, v1, s[0:1]
	s_and_saveexec_b64 s[0:1], vcc
	s_cbranch_execnz .LBB160_9
; %bb.4:
	s_or_b64 exec, exec, s[0:1]
	v_cmp_gt_i32_e32 vcc, s8, v0
	s_and_saveexec_b64 s[0:1], vcc
	s_cbranch_execnz .LBB160_10
.LBB160_5:
	s_or_b64 exec, exec, s[0:1]
	v_cmp_gt_i32_e32 vcc, s8, v0
	s_and_saveexec_b64 s[0:1], vcc
	s_cbranch_execnz .LBB160_11
.LBB160_6:
	s_or_b64 exec, exec, s[0:1]
	v_cmp_gt_i32_e32 vcc, s8, v0
	s_and_saveexec_b64 s[0:1], vcc
	s_cbranch_execz .LBB160_8
.LBB160_7:
	v_add_u32_e32 v2, s4, v0
	v_mov_b32_e32 v3, 0
	v_lshlrev_b64 v[2:3], 2, v[2:3]
	v_mov_b32_e32 v0, s3
	v_add_co_u32_e32 v2, vcc, s2, v2
	v_addc_co_u32_e32 v3, vcc, v0, v3, vcc
	global_store_dword v[2:3], v1, off
.LBB160_8:
	s_endpgm
.LBB160_9:
	v_or_b32_e32 v6, s4, v0
	v_mov_b32_e32 v7, 0
	v_lshlrev_b64 v[6:7], 2, v[6:7]
	v_mov_b32_e32 v0, s3
	v_add_co_u32_e32 v6, vcc, s2, v6
	v_addc_co_u32_e32 v7, vcc, v0, v7, vcc
	v_mov_b32_e32 v0, v4
	global_store_dword v[6:7], v5, off
	s_or_b64 exec, exec, s[0:1]
	v_cmp_gt_i32_e32 vcc, s8, v0
	s_and_saveexec_b64 s[0:1], vcc
	s_cbranch_execz .LBB160_5
.LBB160_10:
	v_add_u32_e32 v4, s4, v0
	v_mov_b32_e32 v5, 0
	v_lshlrev_b64 v[4:5], 2, v[4:5]
	v_mov_b32_e32 v6, s3
	v_add_co_u32_e32 v4, vcc, s2, v4
	v_addc_co_u32_e32 v5, vcc, v6, v5, vcc
	v_add_u32_e32 v0, 0x100, v0
	global_store_dword v[4:5], v3, off
	s_or_b64 exec, exec, s[0:1]
	v_cmp_gt_i32_e32 vcc, s8, v0
	s_and_saveexec_b64 s[0:1], vcc
	s_cbranch_execz .LBB160_6
.LBB160_11:
	v_add_u32_e32 v3, s4, v0
	v_mov_b32_e32 v4, 0
	v_lshlrev_b64 v[3:4], 2, v[3:4]
	v_mov_b32_e32 v5, s3
	v_add_co_u32_e32 v3, vcc, s2, v3
	v_addc_co_u32_e32 v4, vcc, v5, v4, vcc
	v_add_u32_e32 v0, 0x100, v0
	global_store_dword v[3:4], v2, off
	s_or_b64 exec, exec, s[0:1]
	v_cmp_gt_i32_e32 vcc, s8, v0
	s_and_saveexec_b64 s[0:1], vcc
	s_cbranch_execnz .LBB160_7
	s_branch .LBB160_8
	.section	.rodata,"a",@progbits
	.p2align	6, 0x0
	.amdhsa_kernel _ZN2at6native29vectorized_elementwise_kernelILi16ENS0_11FillFunctorIjEESt5arrayIPcLm1EEEEviT0_T1_
		.amdhsa_group_segment_fixed_size 0
		.amdhsa_private_segment_fixed_size 0
		.amdhsa_kernarg_size 16
		.amdhsa_user_sgpr_count 6
		.amdhsa_user_sgpr_private_segment_buffer 1
		.amdhsa_user_sgpr_dispatch_ptr 0
		.amdhsa_user_sgpr_queue_ptr 0
		.amdhsa_user_sgpr_kernarg_segment_ptr 1
		.amdhsa_user_sgpr_dispatch_id 0
		.amdhsa_user_sgpr_flat_scratch_init 0
		.amdhsa_user_sgpr_private_segment_size 0
		.amdhsa_uses_dynamic_stack 0
		.amdhsa_system_sgpr_private_segment_wavefront_offset 0
		.amdhsa_system_sgpr_workgroup_id_x 1
		.amdhsa_system_sgpr_workgroup_id_y 0
		.amdhsa_system_sgpr_workgroup_id_z 0
		.amdhsa_system_sgpr_workgroup_info 0
		.amdhsa_system_vgpr_workitem_id 0
		.amdhsa_next_free_vgpr 8
		.amdhsa_next_free_sgpr 9
		.amdhsa_reserve_vcc 1
		.amdhsa_reserve_flat_scratch 0
		.amdhsa_float_round_mode_32 0
		.amdhsa_float_round_mode_16_64 0
		.amdhsa_float_denorm_mode_32 3
		.amdhsa_float_denorm_mode_16_64 3
		.amdhsa_dx10_clamp 1
		.amdhsa_ieee_mode 1
		.amdhsa_fp16_overflow 0
		.amdhsa_exception_fp_ieee_invalid_op 0
		.amdhsa_exception_fp_denorm_src 0
		.amdhsa_exception_fp_ieee_div_zero 0
		.amdhsa_exception_fp_ieee_overflow 0
		.amdhsa_exception_fp_ieee_underflow 0
		.amdhsa_exception_fp_ieee_inexact 0
		.amdhsa_exception_int_div_zero 0
	.end_amdhsa_kernel
	.section	.text._ZN2at6native29vectorized_elementwise_kernelILi16ENS0_11FillFunctorIjEESt5arrayIPcLm1EEEEviT0_T1_,"axG",@progbits,_ZN2at6native29vectorized_elementwise_kernelILi16ENS0_11FillFunctorIjEESt5arrayIPcLm1EEEEviT0_T1_,comdat
.Lfunc_end160:
	.size	_ZN2at6native29vectorized_elementwise_kernelILi16ENS0_11FillFunctorIjEESt5arrayIPcLm1EEEEviT0_T1_, .Lfunc_end160-_ZN2at6native29vectorized_elementwise_kernelILi16ENS0_11FillFunctorIjEESt5arrayIPcLm1EEEEviT0_T1_
                                        ; -- End function
	.set _ZN2at6native29vectorized_elementwise_kernelILi16ENS0_11FillFunctorIjEESt5arrayIPcLm1EEEEviT0_T1_.num_vgpr, 8
	.set _ZN2at6native29vectorized_elementwise_kernelILi16ENS0_11FillFunctorIjEESt5arrayIPcLm1EEEEviT0_T1_.num_agpr, 0
	.set _ZN2at6native29vectorized_elementwise_kernelILi16ENS0_11FillFunctorIjEESt5arrayIPcLm1EEEEviT0_T1_.numbered_sgpr, 9
	.set _ZN2at6native29vectorized_elementwise_kernelILi16ENS0_11FillFunctorIjEESt5arrayIPcLm1EEEEviT0_T1_.num_named_barrier, 0
	.set _ZN2at6native29vectorized_elementwise_kernelILi16ENS0_11FillFunctorIjEESt5arrayIPcLm1EEEEviT0_T1_.private_seg_size, 0
	.set _ZN2at6native29vectorized_elementwise_kernelILi16ENS0_11FillFunctorIjEESt5arrayIPcLm1EEEEviT0_T1_.uses_vcc, 1
	.set _ZN2at6native29vectorized_elementwise_kernelILi16ENS0_11FillFunctorIjEESt5arrayIPcLm1EEEEviT0_T1_.uses_flat_scratch, 0
	.set _ZN2at6native29vectorized_elementwise_kernelILi16ENS0_11FillFunctorIjEESt5arrayIPcLm1EEEEviT0_T1_.has_dyn_sized_stack, 0
	.set _ZN2at6native29vectorized_elementwise_kernelILi16ENS0_11FillFunctorIjEESt5arrayIPcLm1EEEEviT0_T1_.has_recursion, 0
	.set _ZN2at6native29vectorized_elementwise_kernelILi16ENS0_11FillFunctorIjEESt5arrayIPcLm1EEEEviT0_T1_.has_indirect_call, 0
	.section	.AMDGPU.csdata,"",@progbits
; Kernel info:
; codeLenInByte = 448
; TotalNumSgprs: 13
; NumVgprs: 8
; ScratchSize: 0
; MemoryBound: 0
; FloatMode: 240
; IeeeMode: 1
; LDSByteSize: 0 bytes/workgroup (compile time only)
; SGPRBlocks: 1
; VGPRBlocks: 1
; NumSGPRsForWavesPerEU: 13
; NumVGPRsForWavesPerEU: 8
; Occupancy: 10
; WaveLimiterHint : 0
; COMPUTE_PGM_RSRC2:SCRATCH_EN: 0
; COMPUTE_PGM_RSRC2:USER_SGPR: 6
; COMPUTE_PGM_RSRC2:TRAP_HANDLER: 0
; COMPUTE_PGM_RSRC2:TGID_X_EN: 1
; COMPUTE_PGM_RSRC2:TGID_Y_EN: 0
; COMPUTE_PGM_RSRC2:TGID_Z_EN: 0
; COMPUTE_PGM_RSRC2:TIDIG_COMP_CNT: 0
	.section	.text._ZN2at6native29vectorized_elementwise_kernelILi8ENS0_11FillFunctorIjEESt5arrayIPcLm1EEEEviT0_T1_,"axG",@progbits,_ZN2at6native29vectorized_elementwise_kernelILi8ENS0_11FillFunctorIjEESt5arrayIPcLm1EEEEviT0_T1_,comdat
	.protected	_ZN2at6native29vectorized_elementwise_kernelILi8ENS0_11FillFunctorIjEESt5arrayIPcLm1EEEEviT0_T1_ ; -- Begin function _ZN2at6native29vectorized_elementwise_kernelILi8ENS0_11FillFunctorIjEESt5arrayIPcLm1EEEEviT0_T1_
	.globl	_ZN2at6native29vectorized_elementwise_kernelILi8ENS0_11FillFunctorIjEESt5arrayIPcLm1EEEEviT0_T1_
	.p2align	8
	.type	_ZN2at6native29vectorized_elementwise_kernelILi8ENS0_11FillFunctorIjEESt5arrayIPcLm1EEEEviT0_T1_,@function
_ZN2at6native29vectorized_elementwise_kernelILi8ENS0_11FillFunctorIjEESt5arrayIPcLm1EEEEviT0_T1_: ; @_ZN2at6native29vectorized_elementwise_kernelILi8ENS0_11FillFunctorIjEESt5arrayIPcLm1EEEEviT0_T1_
; %bb.0:
	s_load_dwordx4 s[0:3], s[4:5], 0x0
	s_lshl_b32 s4, s6, 10
	s_mov_b64 s[6:7], -1
	s_waitcnt lgkmcnt(0)
	s_sub_i32 s8, s0, s4
	s_cmpk_gt_i32 s8, 0x3ff
	s_cbranch_scc0 .LBB161_2
; %bb.1:
	s_ashr_i32 s5, s4, 31
	s_lshl_b64 s[6:7], s[4:5], 2
	s_add_u32 s6, s2, s6
	s_addc_u32 s7, s3, s7
	v_lshlrev_b32_e32 v5, 4, v0
	v_mov_b32_e32 v1, s1
	v_mov_b32_e32 v2, s1
	;; [unrolled: 1-line block ×4, first 2 shown]
	global_store_dwordx4 v5, v[1:4], s[6:7]
	s_mov_b64 s[6:7], 0
.LBB161_2:
	s_andn2_b64 vcc, exec, s[6:7]
	s_cbranch_vccnz .LBB161_8
; %bb.3:
	v_or_b32_e32 v4, 0x100, v0
	v_mov_b32_e32 v1, s1
	v_cmp_gt_i32_e64 s[0:1], s8, v4
	v_or_b32_e32 v2, 0x200, v0
	v_cndmask_b32_e64 v3, 0, v1, s[0:1]
	v_cmp_gt_i32_e64 s[0:1], s8, v2
	v_or_b32_e32 v6, 0x300, v0
	v_cmp_gt_i32_e32 vcc, s8, v0
	v_cndmask_b32_e64 v2, 0, v1, s[0:1]
	v_cmp_gt_i32_e64 s[0:1], s8, v6
	v_cndmask_b32_e32 v5, 0, v1, vcc
	v_cndmask_b32_e64 v1, 0, v1, s[0:1]
	s_and_saveexec_b64 s[0:1], vcc
	s_cbranch_execnz .LBB161_9
; %bb.4:
	s_or_b64 exec, exec, s[0:1]
	v_cmp_gt_i32_e32 vcc, s8, v0
	s_and_saveexec_b64 s[0:1], vcc
	s_cbranch_execnz .LBB161_10
.LBB161_5:
	s_or_b64 exec, exec, s[0:1]
	v_cmp_gt_i32_e32 vcc, s8, v0
	s_and_saveexec_b64 s[0:1], vcc
	s_cbranch_execnz .LBB161_11
.LBB161_6:
	s_or_b64 exec, exec, s[0:1]
	v_cmp_gt_i32_e32 vcc, s8, v0
	s_and_saveexec_b64 s[0:1], vcc
	s_cbranch_execz .LBB161_8
.LBB161_7:
	v_add_u32_e32 v2, s4, v0
	v_mov_b32_e32 v3, 0
	v_lshlrev_b64 v[2:3], 2, v[2:3]
	v_mov_b32_e32 v0, s3
	v_add_co_u32_e32 v2, vcc, s2, v2
	v_addc_co_u32_e32 v3, vcc, v0, v3, vcc
	global_store_dword v[2:3], v1, off
.LBB161_8:
	s_endpgm
.LBB161_9:
	v_or_b32_e32 v6, s4, v0
	v_mov_b32_e32 v7, 0
	v_lshlrev_b64 v[6:7], 2, v[6:7]
	v_mov_b32_e32 v0, s3
	v_add_co_u32_e32 v6, vcc, s2, v6
	v_addc_co_u32_e32 v7, vcc, v0, v7, vcc
	v_mov_b32_e32 v0, v4
	global_store_dword v[6:7], v5, off
	s_or_b64 exec, exec, s[0:1]
	v_cmp_gt_i32_e32 vcc, s8, v0
	s_and_saveexec_b64 s[0:1], vcc
	s_cbranch_execz .LBB161_5
.LBB161_10:
	v_add_u32_e32 v4, s4, v0
	v_mov_b32_e32 v5, 0
	v_lshlrev_b64 v[4:5], 2, v[4:5]
	v_mov_b32_e32 v6, s3
	v_add_co_u32_e32 v4, vcc, s2, v4
	v_addc_co_u32_e32 v5, vcc, v6, v5, vcc
	v_add_u32_e32 v0, 0x100, v0
	global_store_dword v[4:5], v3, off
	s_or_b64 exec, exec, s[0:1]
	v_cmp_gt_i32_e32 vcc, s8, v0
	s_and_saveexec_b64 s[0:1], vcc
	s_cbranch_execz .LBB161_6
.LBB161_11:
	v_add_u32_e32 v3, s4, v0
	v_mov_b32_e32 v4, 0
	v_lshlrev_b64 v[3:4], 2, v[3:4]
	v_mov_b32_e32 v5, s3
	v_add_co_u32_e32 v3, vcc, s2, v3
	v_addc_co_u32_e32 v4, vcc, v5, v4, vcc
	v_add_u32_e32 v0, 0x100, v0
	global_store_dword v[3:4], v2, off
	s_or_b64 exec, exec, s[0:1]
	v_cmp_gt_i32_e32 vcc, s8, v0
	s_and_saveexec_b64 s[0:1], vcc
	s_cbranch_execnz .LBB161_7
	s_branch .LBB161_8
	.section	.rodata,"a",@progbits
	.p2align	6, 0x0
	.amdhsa_kernel _ZN2at6native29vectorized_elementwise_kernelILi8ENS0_11FillFunctorIjEESt5arrayIPcLm1EEEEviT0_T1_
		.amdhsa_group_segment_fixed_size 0
		.amdhsa_private_segment_fixed_size 0
		.amdhsa_kernarg_size 16
		.amdhsa_user_sgpr_count 6
		.amdhsa_user_sgpr_private_segment_buffer 1
		.amdhsa_user_sgpr_dispatch_ptr 0
		.amdhsa_user_sgpr_queue_ptr 0
		.amdhsa_user_sgpr_kernarg_segment_ptr 1
		.amdhsa_user_sgpr_dispatch_id 0
		.amdhsa_user_sgpr_flat_scratch_init 0
		.amdhsa_user_sgpr_private_segment_size 0
		.amdhsa_uses_dynamic_stack 0
		.amdhsa_system_sgpr_private_segment_wavefront_offset 0
		.amdhsa_system_sgpr_workgroup_id_x 1
		.amdhsa_system_sgpr_workgroup_id_y 0
		.amdhsa_system_sgpr_workgroup_id_z 0
		.amdhsa_system_sgpr_workgroup_info 0
		.amdhsa_system_vgpr_workitem_id 0
		.amdhsa_next_free_vgpr 8
		.amdhsa_next_free_sgpr 9
		.amdhsa_reserve_vcc 1
		.amdhsa_reserve_flat_scratch 0
		.amdhsa_float_round_mode_32 0
		.amdhsa_float_round_mode_16_64 0
		.amdhsa_float_denorm_mode_32 3
		.amdhsa_float_denorm_mode_16_64 3
		.amdhsa_dx10_clamp 1
		.amdhsa_ieee_mode 1
		.amdhsa_fp16_overflow 0
		.amdhsa_exception_fp_ieee_invalid_op 0
		.amdhsa_exception_fp_denorm_src 0
		.amdhsa_exception_fp_ieee_div_zero 0
		.amdhsa_exception_fp_ieee_overflow 0
		.amdhsa_exception_fp_ieee_underflow 0
		.amdhsa_exception_fp_ieee_inexact 0
		.amdhsa_exception_int_div_zero 0
	.end_amdhsa_kernel
	.section	.text._ZN2at6native29vectorized_elementwise_kernelILi8ENS0_11FillFunctorIjEESt5arrayIPcLm1EEEEviT0_T1_,"axG",@progbits,_ZN2at6native29vectorized_elementwise_kernelILi8ENS0_11FillFunctorIjEESt5arrayIPcLm1EEEEviT0_T1_,comdat
.Lfunc_end161:
	.size	_ZN2at6native29vectorized_elementwise_kernelILi8ENS0_11FillFunctorIjEESt5arrayIPcLm1EEEEviT0_T1_, .Lfunc_end161-_ZN2at6native29vectorized_elementwise_kernelILi8ENS0_11FillFunctorIjEESt5arrayIPcLm1EEEEviT0_T1_
                                        ; -- End function
	.set _ZN2at6native29vectorized_elementwise_kernelILi8ENS0_11FillFunctorIjEESt5arrayIPcLm1EEEEviT0_T1_.num_vgpr, 8
	.set _ZN2at6native29vectorized_elementwise_kernelILi8ENS0_11FillFunctorIjEESt5arrayIPcLm1EEEEviT0_T1_.num_agpr, 0
	.set _ZN2at6native29vectorized_elementwise_kernelILi8ENS0_11FillFunctorIjEESt5arrayIPcLm1EEEEviT0_T1_.numbered_sgpr, 9
	.set _ZN2at6native29vectorized_elementwise_kernelILi8ENS0_11FillFunctorIjEESt5arrayIPcLm1EEEEviT0_T1_.num_named_barrier, 0
	.set _ZN2at6native29vectorized_elementwise_kernelILi8ENS0_11FillFunctorIjEESt5arrayIPcLm1EEEEviT0_T1_.private_seg_size, 0
	.set _ZN2at6native29vectorized_elementwise_kernelILi8ENS0_11FillFunctorIjEESt5arrayIPcLm1EEEEviT0_T1_.uses_vcc, 1
	.set _ZN2at6native29vectorized_elementwise_kernelILi8ENS0_11FillFunctorIjEESt5arrayIPcLm1EEEEviT0_T1_.uses_flat_scratch, 0
	.set _ZN2at6native29vectorized_elementwise_kernelILi8ENS0_11FillFunctorIjEESt5arrayIPcLm1EEEEviT0_T1_.has_dyn_sized_stack, 0
	.set _ZN2at6native29vectorized_elementwise_kernelILi8ENS0_11FillFunctorIjEESt5arrayIPcLm1EEEEviT0_T1_.has_recursion, 0
	.set _ZN2at6native29vectorized_elementwise_kernelILi8ENS0_11FillFunctorIjEESt5arrayIPcLm1EEEEviT0_T1_.has_indirect_call, 0
	.section	.AMDGPU.csdata,"",@progbits
; Kernel info:
; codeLenInByte = 448
; TotalNumSgprs: 13
; NumVgprs: 8
; ScratchSize: 0
; MemoryBound: 0
; FloatMode: 240
; IeeeMode: 1
; LDSByteSize: 0 bytes/workgroup (compile time only)
; SGPRBlocks: 1
; VGPRBlocks: 1
; NumSGPRsForWavesPerEU: 13
; NumVGPRsForWavesPerEU: 8
; Occupancy: 10
; WaveLimiterHint : 0
; COMPUTE_PGM_RSRC2:SCRATCH_EN: 0
; COMPUTE_PGM_RSRC2:USER_SGPR: 6
; COMPUTE_PGM_RSRC2:TRAP_HANDLER: 0
; COMPUTE_PGM_RSRC2:TGID_X_EN: 1
; COMPUTE_PGM_RSRC2:TGID_Y_EN: 0
; COMPUTE_PGM_RSRC2:TGID_Z_EN: 0
; COMPUTE_PGM_RSRC2:TIDIG_COMP_CNT: 0
	.section	.text._ZN2at6native29vectorized_elementwise_kernelILi4ENS0_11FillFunctorIjEESt5arrayIPcLm1EEEEviT0_T1_,"axG",@progbits,_ZN2at6native29vectorized_elementwise_kernelILi4ENS0_11FillFunctorIjEESt5arrayIPcLm1EEEEviT0_T1_,comdat
	.protected	_ZN2at6native29vectorized_elementwise_kernelILi4ENS0_11FillFunctorIjEESt5arrayIPcLm1EEEEviT0_T1_ ; -- Begin function _ZN2at6native29vectorized_elementwise_kernelILi4ENS0_11FillFunctorIjEESt5arrayIPcLm1EEEEviT0_T1_
	.globl	_ZN2at6native29vectorized_elementwise_kernelILi4ENS0_11FillFunctorIjEESt5arrayIPcLm1EEEEviT0_T1_
	.p2align	8
	.type	_ZN2at6native29vectorized_elementwise_kernelILi4ENS0_11FillFunctorIjEESt5arrayIPcLm1EEEEviT0_T1_,@function
_ZN2at6native29vectorized_elementwise_kernelILi4ENS0_11FillFunctorIjEESt5arrayIPcLm1EEEEviT0_T1_: ; @_ZN2at6native29vectorized_elementwise_kernelILi4ENS0_11FillFunctorIjEESt5arrayIPcLm1EEEEviT0_T1_
; %bb.0:
	s_load_dwordx4 s[0:3], s[4:5], 0x0
	s_lshl_b32 s4, s6, 10
	s_mov_b64 s[6:7], -1
	s_waitcnt lgkmcnt(0)
	s_sub_i32 s8, s0, s4
	s_cmpk_gt_i32 s8, 0x3ff
	s_cbranch_scc0 .LBB162_2
; %bb.1:
	s_ashr_i32 s5, s4, 31
	s_lshl_b64 s[6:7], s[4:5], 2
	s_add_u32 s6, s2, s6
	s_addc_u32 s7, s3, s7
	v_lshlrev_b32_e32 v5, 4, v0
	v_mov_b32_e32 v1, s1
	v_mov_b32_e32 v2, s1
	;; [unrolled: 1-line block ×4, first 2 shown]
	global_store_dwordx4 v5, v[1:4], s[6:7]
	s_mov_b64 s[6:7], 0
.LBB162_2:
	s_andn2_b64 vcc, exec, s[6:7]
	s_cbranch_vccnz .LBB162_8
; %bb.3:
	v_or_b32_e32 v4, 0x100, v0
	v_mov_b32_e32 v1, s1
	v_cmp_gt_i32_e64 s[0:1], s8, v4
	v_or_b32_e32 v2, 0x200, v0
	v_cndmask_b32_e64 v3, 0, v1, s[0:1]
	v_cmp_gt_i32_e64 s[0:1], s8, v2
	v_or_b32_e32 v6, 0x300, v0
	v_cmp_gt_i32_e32 vcc, s8, v0
	v_cndmask_b32_e64 v2, 0, v1, s[0:1]
	v_cmp_gt_i32_e64 s[0:1], s8, v6
	v_cndmask_b32_e32 v5, 0, v1, vcc
	v_cndmask_b32_e64 v1, 0, v1, s[0:1]
	s_and_saveexec_b64 s[0:1], vcc
	s_cbranch_execnz .LBB162_9
; %bb.4:
	s_or_b64 exec, exec, s[0:1]
	v_cmp_gt_i32_e32 vcc, s8, v0
	s_and_saveexec_b64 s[0:1], vcc
	s_cbranch_execnz .LBB162_10
.LBB162_5:
	s_or_b64 exec, exec, s[0:1]
	v_cmp_gt_i32_e32 vcc, s8, v0
	s_and_saveexec_b64 s[0:1], vcc
	s_cbranch_execnz .LBB162_11
.LBB162_6:
	s_or_b64 exec, exec, s[0:1]
	v_cmp_gt_i32_e32 vcc, s8, v0
	s_and_saveexec_b64 s[0:1], vcc
	s_cbranch_execz .LBB162_8
.LBB162_7:
	v_add_u32_e32 v2, s4, v0
	v_mov_b32_e32 v3, 0
	v_lshlrev_b64 v[2:3], 2, v[2:3]
	v_mov_b32_e32 v0, s3
	v_add_co_u32_e32 v2, vcc, s2, v2
	v_addc_co_u32_e32 v3, vcc, v0, v3, vcc
	global_store_dword v[2:3], v1, off
.LBB162_8:
	s_endpgm
.LBB162_9:
	v_or_b32_e32 v6, s4, v0
	v_mov_b32_e32 v7, 0
	v_lshlrev_b64 v[6:7], 2, v[6:7]
	v_mov_b32_e32 v0, s3
	v_add_co_u32_e32 v6, vcc, s2, v6
	v_addc_co_u32_e32 v7, vcc, v0, v7, vcc
	v_mov_b32_e32 v0, v4
	global_store_dword v[6:7], v5, off
	s_or_b64 exec, exec, s[0:1]
	v_cmp_gt_i32_e32 vcc, s8, v0
	s_and_saveexec_b64 s[0:1], vcc
	s_cbranch_execz .LBB162_5
.LBB162_10:
	v_add_u32_e32 v4, s4, v0
	v_mov_b32_e32 v5, 0
	v_lshlrev_b64 v[4:5], 2, v[4:5]
	v_mov_b32_e32 v6, s3
	v_add_co_u32_e32 v4, vcc, s2, v4
	v_addc_co_u32_e32 v5, vcc, v6, v5, vcc
	v_add_u32_e32 v0, 0x100, v0
	global_store_dword v[4:5], v3, off
	s_or_b64 exec, exec, s[0:1]
	v_cmp_gt_i32_e32 vcc, s8, v0
	s_and_saveexec_b64 s[0:1], vcc
	s_cbranch_execz .LBB162_6
.LBB162_11:
	v_add_u32_e32 v3, s4, v0
	v_mov_b32_e32 v4, 0
	v_lshlrev_b64 v[3:4], 2, v[3:4]
	v_mov_b32_e32 v5, s3
	v_add_co_u32_e32 v3, vcc, s2, v3
	v_addc_co_u32_e32 v4, vcc, v5, v4, vcc
	v_add_u32_e32 v0, 0x100, v0
	global_store_dword v[3:4], v2, off
	s_or_b64 exec, exec, s[0:1]
	v_cmp_gt_i32_e32 vcc, s8, v0
	s_and_saveexec_b64 s[0:1], vcc
	s_cbranch_execnz .LBB162_7
	s_branch .LBB162_8
	.section	.rodata,"a",@progbits
	.p2align	6, 0x0
	.amdhsa_kernel _ZN2at6native29vectorized_elementwise_kernelILi4ENS0_11FillFunctorIjEESt5arrayIPcLm1EEEEviT0_T1_
		.amdhsa_group_segment_fixed_size 0
		.amdhsa_private_segment_fixed_size 0
		.amdhsa_kernarg_size 16
		.amdhsa_user_sgpr_count 6
		.amdhsa_user_sgpr_private_segment_buffer 1
		.amdhsa_user_sgpr_dispatch_ptr 0
		.amdhsa_user_sgpr_queue_ptr 0
		.amdhsa_user_sgpr_kernarg_segment_ptr 1
		.amdhsa_user_sgpr_dispatch_id 0
		.amdhsa_user_sgpr_flat_scratch_init 0
		.amdhsa_user_sgpr_private_segment_size 0
		.amdhsa_uses_dynamic_stack 0
		.amdhsa_system_sgpr_private_segment_wavefront_offset 0
		.amdhsa_system_sgpr_workgroup_id_x 1
		.amdhsa_system_sgpr_workgroup_id_y 0
		.amdhsa_system_sgpr_workgroup_id_z 0
		.amdhsa_system_sgpr_workgroup_info 0
		.amdhsa_system_vgpr_workitem_id 0
		.amdhsa_next_free_vgpr 8
		.amdhsa_next_free_sgpr 9
		.amdhsa_reserve_vcc 1
		.amdhsa_reserve_flat_scratch 0
		.amdhsa_float_round_mode_32 0
		.amdhsa_float_round_mode_16_64 0
		.amdhsa_float_denorm_mode_32 3
		.amdhsa_float_denorm_mode_16_64 3
		.amdhsa_dx10_clamp 1
		.amdhsa_ieee_mode 1
		.amdhsa_fp16_overflow 0
		.amdhsa_exception_fp_ieee_invalid_op 0
		.amdhsa_exception_fp_denorm_src 0
		.amdhsa_exception_fp_ieee_div_zero 0
		.amdhsa_exception_fp_ieee_overflow 0
		.amdhsa_exception_fp_ieee_underflow 0
		.amdhsa_exception_fp_ieee_inexact 0
		.amdhsa_exception_int_div_zero 0
	.end_amdhsa_kernel
	.section	.text._ZN2at6native29vectorized_elementwise_kernelILi4ENS0_11FillFunctorIjEESt5arrayIPcLm1EEEEviT0_T1_,"axG",@progbits,_ZN2at6native29vectorized_elementwise_kernelILi4ENS0_11FillFunctorIjEESt5arrayIPcLm1EEEEviT0_T1_,comdat
.Lfunc_end162:
	.size	_ZN2at6native29vectorized_elementwise_kernelILi4ENS0_11FillFunctorIjEESt5arrayIPcLm1EEEEviT0_T1_, .Lfunc_end162-_ZN2at6native29vectorized_elementwise_kernelILi4ENS0_11FillFunctorIjEESt5arrayIPcLm1EEEEviT0_T1_
                                        ; -- End function
	.set _ZN2at6native29vectorized_elementwise_kernelILi4ENS0_11FillFunctorIjEESt5arrayIPcLm1EEEEviT0_T1_.num_vgpr, 8
	.set _ZN2at6native29vectorized_elementwise_kernelILi4ENS0_11FillFunctorIjEESt5arrayIPcLm1EEEEviT0_T1_.num_agpr, 0
	.set _ZN2at6native29vectorized_elementwise_kernelILi4ENS0_11FillFunctorIjEESt5arrayIPcLm1EEEEviT0_T1_.numbered_sgpr, 9
	.set _ZN2at6native29vectorized_elementwise_kernelILi4ENS0_11FillFunctorIjEESt5arrayIPcLm1EEEEviT0_T1_.num_named_barrier, 0
	.set _ZN2at6native29vectorized_elementwise_kernelILi4ENS0_11FillFunctorIjEESt5arrayIPcLm1EEEEviT0_T1_.private_seg_size, 0
	.set _ZN2at6native29vectorized_elementwise_kernelILi4ENS0_11FillFunctorIjEESt5arrayIPcLm1EEEEviT0_T1_.uses_vcc, 1
	.set _ZN2at6native29vectorized_elementwise_kernelILi4ENS0_11FillFunctorIjEESt5arrayIPcLm1EEEEviT0_T1_.uses_flat_scratch, 0
	.set _ZN2at6native29vectorized_elementwise_kernelILi4ENS0_11FillFunctorIjEESt5arrayIPcLm1EEEEviT0_T1_.has_dyn_sized_stack, 0
	.set _ZN2at6native29vectorized_elementwise_kernelILi4ENS0_11FillFunctorIjEESt5arrayIPcLm1EEEEviT0_T1_.has_recursion, 0
	.set _ZN2at6native29vectorized_elementwise_kernelILi4ENS0_11FillFunctorIjEESt5arrayIPcLm1EEEEviT0_T1_.has_indirect_call, 0
	.section	.AMDGPU.csdata,"",@progbits
; Kernel info:
; codeLenInByte = 448
; TotalNumSgprs: 13
; NumVgprs: 8
; ScratchSize: 0
; MemoryBound: 0
; FloatMode: 240
; IeeeMode: 1
; LDSByteSize: 0 bytes/workgroup (compile time only)
; SGPRBlocks: 1
; VGPRBlocks: 1
; NumSGPRsForWavesPerEU: 13
; NumVGPRsForWavesPerEU: 8
; Occupancy: 10
; WaveLimiterHint : 0
; COMPUTE_PGM_RSRC2:SCRATCH_EN: 0
; COMPUTE_PGM_RSRC2:USER_SGPR: 6
; COMPUTE_PGM_RSRC2:TRAP_HANDLER: 0
; COMPUTE_PGM_RSRC2:TGID_X_EN: 1
; COMPUTE_PGM_RSRC2:TGID_Y_EN: 0
; COMPUTE_PGM_RSRC2:TGID_Z_EN: 0
; COMPUTE_PGM_RSRC2:TIDIG_COMP_CNT: 0
	.section	.text._ZN2at6native29vectorized_elementwise_kernelILi2ENS0_11FillFunctorIjEESt5arrayIPcLm1EEEEviT0_T1_,"axG",@progbits,_ZN2at6native29vectorized_elementwise_kernelILi2ENS0_11FillFunctorIjEESt5arrayIPcLm1EEEEviT0_T1_,comdat
	.protected	_ZN2at6native29vectorized_elementwise_kernelILi2ENS0_11FillFunctorIjEESt5arrayIPcLm1EEEEviT0_T1_ ; -- Begin function _ZN2at6native29vectorized_elementwise_kernelILi2ENS0_11FillFunctorIjEESt5arrayIPcLm1EEEEviT0_T1_
	.globl	_ZN2at6native29vectorized_elementwise_kernelILi2ENS0_11FillFunctorIjEESt5arrayIPcLm1EEEEviT0_T1_
	.p2align	8
	.type	_ZN2at6native29vectorized_elementwise_kernelILi2ENS0_11FillFunctorIjEESt5arrayIPcLm1EEEEviT0_T1_,@function
_ZN2at6native29vectorized_elementwise_kernelILi2ENS0_11FillFunctorIjEESt5arrayIPcLm1EEEEviT0_T1_: ; @_ZN2at6native29vectorized_elementwise_kernelILi2ENS0_11FillFunctorIjEESt5arrayIPcLm1EEEEviT0_T1_
; %bb.0:
	s_load_dwordx4 s[0:3], s[4:5], 0x0
	s_lshl_b32 s4, s6, 10
	s_mov_b64 s[6:7], -1
	s_waitcnt lgkmcnt(0)
	s_sub_i32 s8, s0, s4
	s_cmpk_gt_i32 s8, 0x3ff
	s_cbranch_scc0 .LBB163_2
; %bb.1:
	s_ashr_i32 s5, s4, 31
	s_lshl_b64 s[6:7], s[4:5], 2
	s_add_u32 s6, s2, s6
	s_mov_b32 s0, s1
	v_mov_b32_e32 v2, s1
	s_addc_u32 s7, s3, s7
	v_lshlrev_b32_e32 v3, 3, v0
	v_mov_b32_e32 v1, s0
	global_store_dwordx2 v3, v[1:2], s[6:7]
	global_store_dwordx2 v3, v[1:2], s[6:7] offset:2048
	s_mov_b64 s[6:7], 0
.LBB163_2:
	s_andn2_b64 vcc, exec, s[6:7]
	s_cbranch_vccnz .LBB163_8
; %bb.3:
	v_or_b32_e32 v4, 0x100, v0
	v_mov_b32_e32 v1, s1
	v_cmp_gt_i32_e64 s[0:1], s8, v4
	v_or_b32_e32 v2, 0x200, v0
	v_cndmask_b32_e64 v3, 0, v1, s[0:1]
	v_cmp_gt_i32_e64 s[0:1], s8, v2
	v_or_b32_e32 v6, 0x300, v0
	v_cmp_gt_i32_e32 vcc, s8, v0
	v_cndmask_b32_e64 v2, 0, v1, s[0:1]
	v_cmp_gt_i32_e64 s[0:1], s8, v6
	v_cndmask_b32_e32 v5, 0, v1, vcc
	v_cndmask_b32_e64 v1, 0, v1, s[0:1]
	s_and_saveexec_b64 s[0:1], vcc
	s_cbranch_execnz .LBB163_9
; %bb.4:
	s_or_b64 exec, exec, s[0:1]
	v_cmp_gt_i32_e32 vcc, s8, v0
	s_and_saveexec_b64 s[0:1], vcc
	s_cbranch_execnz .LBB163_10
.LBB163_5:
	s_or_b64 exec, exec, s[0:1]
	v_cmp_gt_i32_e32 vcc, s8, v0
	s_and_saveexec_b64 s[0:1], vcc
	s_cbranch_execnz .LBB163_11
.LBB163_6:
	s_or_b64 exec, exec, s[0:1]
	v_cmp_gt_i32_e32 vcc, s8, v0
	s_and_saveexec_b64 s[0:1], vcc
	s_cbranch_execz .LBB163_8
.LBB163_7:
	v_add_u32_e32 v2, s4, v0
	v_mov_b32_e32 v3, 0
	v_lshlrev_b64 v[2:3], 2, v[2:3]
	v_mov_b32_e32 v0, s3
	v_add_co_u32_e32 v2, vcc, s2, v2
	v_addc_co_u32_e32 v3, vcc, v0, v3, vcc
	global_store_dword v[2:3], v1, off
.LBB163_8:
	s_endpgm
.LBB163_9:
	v_or_b32_e32 v6, s4, v0
	v_mov_b32_e32 v7, 0
	v_lshlrev_b64 v[6:7], 2, v[6:7]
	v_mov_b32_e32 v0, s3
	v_add_co_u32_e32 v6, vcc, s2, v6
	v_addc_co_u32_e32 v7, vcc, v0, v7, vcc
	v_mov_b32_e32 v0, v4
	global_store_dword v[6:7], v5, off
	s_or_b64 exec, exec, s[0:1]
	v_cmp_gt_i32_e32 vcc, s8, v0
	s_and_saveexec_b64 s[0:1], vcc
	s_cbranch_execz .LBB163_5
.LBB163_10:
	v_add_u32_e32 v4, s4, v0
	v_mov_b32_e32 v5, 0
	v_lshlrev_b64 v[4:5], 2, v[4:5]
	v_mov_b32_e32 v6, s3
	v_add_co_u32_e32 v4, vcc, s2, v4
	v_addc_co_u32_e32 v5, vcc, v6, v5, vcc
	v_add_u32_e32 v0, 0x100, v0
	global_store_dword v[4:5], v3, off
	s_or_b64 exec, exec, s[0:1]
	v_cmp_gt_i32_e32 vcc, s8, v0
	s_and_saveexec_b64 s[0:1], vcc
	s_cbranch_execz .LBB163_6
.LBB163_11:
	v_add_u32_e32 v3, s4, v0
	v_mov_b32_e32 v4, 0
	v_lshlrev_b64 v[3:4], 2, v[3:4]
	v_mov_b32_e32 v5, s3
	v_add_co_u32_e32 v3, vcc, s2, v3
	v_addc_co_u32_e32 v4, vcc, v5, v4, vcc
	v_add_u32_e32 v0, 0x100, v0
	global_store_dword v[3:4], v2, off
	s_or_b64 exec, exec, s[0:1]
	v_cmp_gt_i32_e32 vcc, s8, v0
	s_and_saveexec_b64 s[0:1], vcc
	s_cbranch_execnz .LBB163_7
	s_branch .LBB163_8
	.section	.rodata,"a",@progbits
	.p2align	6, 0x0
	.amdhsa_kernel _ZN2at6native29vectorized_elementwise_kernelILi2ENS0_11FillFunctorIjEESt5arrayIPcLm1EEEEviT0_T1_
		.amdhsa_group_segment_fixed_size 0
		.amdhsa_private_segment_fixed_size 0
		.amdhsa_kernarg_size 16
		.amdhsa_user_sgpr_count 6
		.amdhsa_user_sgpr_private_segment_buffer 1
		.amdhsa_user_sgpr_dispatch_ptr 0
		.amdhsa_user_sgpr_queue_ptr 0
		.amdhsa_user_sgpr_kernarg_segment_ptr 1
		.amdhsa_user_sgpr_dispatch_id 0
		.amdhsa_user_sgpr_flat_scratch_init 0
		.amdhsa_user_sgpr_private_segment_size 0
		.amdhsa_uses_dynamic_stack 0
		.amdhsa_system_sgpr_private_segment_wavefront_offset 0
		.amdhsa_system_sgpr_workgroup_id_x 1
		.amdhsa_system_sgpr_workgroup_id_y 0
		.amdhsa_system_sgpr_workgroup_id_z 0
		.amdhsa_system_sgpr_workgroup_info 0
		.amdhsa_system_vgpr_workitem_id 0
		.amdhsa_next_free_vgpr 8
		.amdhsa_next_free_sgpr 9
		.amdhsa_reserve_vcc 1
		.amdhsa_reserve_flat_scratch 0
		.amdhsa_float_round_mode_32 0
		.amdhsa_float_round_mode_16_64 0
		.amdhsa_float_denorm_mode_32 3
		.amdhsa_float_denorm_mode_16_64 3
		.amdhsa_dx10_clamp 1
		.amdhsa_ieee_mode 1
		.amdhsa_fp16_overflow 0
		.amdhsa_exception_fp_ieee_invalid_op 0
		.amdhsa_exception_fp_denorm_src 0
		.amdhsa_exception_fp_ieee_div_zero 0
		.amdhsa_exception_fp_ieee_overflow 0
		.amdhsa_exception_fp_ieee_underflow 0
		.amdhsa_exception_fp_ieee_inexact 0
		.amdhsa_exception_int_div_zero 0
	.end_amdhsa_kernel
	.section	.text._ZN2at6native29vectorized_elementwise_kernelILi2ENS0_11FillFunctorIjEESt5arrayIPcLm1EEEEviT0_T1_,"axG",@progbits,_ZN2at6native29vectorized_elementwise_kernelILi2ENS0_11FillFunctorIjEESt5arrayIPcLm1EEEEviT0_T1_,comdat
.Lfunc_end163:
	.size	_ZN2at6native29vectorized_elementwise_kernelILi2ENS0_11FillFunctorIjEESt5arrayIPcLm1EEEEviT0_T1_, .Lfunc_end163-_ZN2at6native29vectorized_elementwise_kernelILi2ENS0_11FillFunctorIjEESt5arrayIPcLm1EEEEviT0_T1_
                                        ; -- End function
	.set _ZN2at6native29vectorized_elementwise_kernelILi2ENS0_11FillFunctorIjEESt5arrayIPcLm1EEEEviT0_T1_.num_vgpr, 8
	.set _ZN2at6native29vectorized_elementwise_kernelILi2ENS0_11FillFunctorIjEESt5arrayIPcLm1EEEEviT0_T1_.num_agpr, 0
	.set _ZN2at6native29vectorized_elementwise_kernelILi2ENS0_11FillFunctorIjEESt5arrayIPcLm1EEEEviT0_T1_.numbered_sgpr, 9
	.set _ZN2at6native29vectorized_elementwise_kernelILi2ENS0_11FillFunctorIjEESt5arrayIPcLm1EEEEviT0_T1_.num_named_barrier, 0
	.set _ZN2at6native29vectorized_elementwise_kernelILi2ENS0_11FillFunctorIjEESt5arrayIPcLm1EEEEviT0_T1_.private_seg_size, 0
	.set _ZN2at6native29vectorized_elementwise_kernelILi2ENS0_11FillFunctorIjEESt5arrayIPcLm1EEEEviT0_T1_.uses_vcc, 1
	.set _ZN2at6native29vectorized_elementwise_kernelILi2ENS0_11FillFunctorIjEESt5arrayIPcLm1EEEEviT0_T1_.uses_flat_scratch, 0
	.set _ZN2at6native29vectorized_elementwise_kernelILi2ENS0_11FillFunctorIjEESt5arrayIPcLm1EEEEviT0_T1_.has_dyn_sized_stack, 0
	.set _ZN2at6native29vectorized_elementwise_kernelILi2ENS0_11FillFunctorIjEESt5arrayIPcLm1EEEEviT0_T1_.has_recursion, 0
	.set _ZN2at6native29vectorized_elementwise_kernelILi2ENS0_11FillFunctorIjEESt5arrayIPcLm1EEEEviT0_T1_.has_indirect_call, 0
	.section	.AMDGPU.csdata,"",@progbits
; Kernel info:
; codeLenInByte = 452
; TotalNumSgprs: 13
; NumVgprs: 8
; ScratchSize: 0
; MemoryBound: 0
; FloatMode: 240
; IeeeMode: 1
; LDSByteSize: 0 bytes/workgroup (compile time only)
; SGPRBlocks: 1
; VGPRBlocks: 1
; NumSGPRsForWavesPerEU: 13
; NumVGPRsForWavesPerEU: 8
; Occupancy: 10
; WaveLimiterHint : 1
; COMPUTE_PGM_RSRC2:SCRATCH_EN: 0
; COMPUTE_PGM_RSRC2:USER_SGPR: 6
; COMPUTE_PGM_RSRC2:TRAP_HANDLER: 0
; COMPUTE_PGM_RSRC2:TGID_X_EN: 1
; COMPUTE_PGM_RSRC2:TGID_Y_EN: 0
; COMPUTE_PGM_RSRC2:TGID_Z_EN: 0
; COMPUTE_PGM_RSRC2:TIDIG_COMP_CNT: 0
	.section	.text._ZN2at6native27unrolled_elementwise_kernelINS0_11FillFunctorIjEESt5arrayIPcLm1EELi4E23TrivialOffsetCalculatorILi0EjES7_ILi1EjENS0_6memory15LoadWithoutCastENSA_16StoreWithoutCastEEEviT_T0_T2_T3_T4_T5_,"axG",@progbits,_ZN2at6native27unrolled_elementwise_kernelINS0_11FillFunctorIjEESt5arrayIPcLm1EELi4E23TrivialOffsetCalculatorILi0EjES7_ILi1EjENS0_6memory15LoadWithoutCastENSA_16StoreWithoutCastEEEviT_T0_T2_T3_T4_T5_,comdat
	.protected	_ZN2at6native27unrolled_elementwise_kernelINS0_11FillFunctorIjEESt5arrayIPcLm1EELi4E23TrivialOffsetCalculatorILi0EjES7_ILi1EjENS0_6memory15LoadWithoutCastENSA_16StoreWithoutCastEEEviT_T0_T2_T3_T4_T5_ ; -- Begin function _ZN2at6native27unrolled_elementwise_kernelINS0_11FillFunctorIjEESt5arrayIPcLm1EELi4E23TrivialOffsetCalculatorILi0EjES7_ILi1EjENS0_6memory15LoadWithoutCastENSA_16StoreWithoutCastEEEviT_T0_T2_T3_T4_T5_
	.globl	_ZN2at6native27unrolled_elementwise_kernelINS0_11FillFunctorIjEESt5arrayIPcLm1EELi4E23TrivialOffsetCalculatorILi0EjES7_ILi1EjENS0_6memory15LoadWithoutCastENSA_16StoreWithoutCastEEEviT_T0_T2_T3_T4_T5_
	.p2align	8
	.type	_ZN2at6native27unrolled_elementwise_kernelINS0_11FillFunctorIjEESt5arrayIPcLm1EELi4E23TrivialOffsetCalculatorILi0EjES7_ILi1EjENS0_6memory15LoadWithoutCastENSA_16StoreWithoutCastEEEviT_T0_T2_T3_T4_T5_,@function
_ZN2at6native27unrolled_elementwise_kernelINS0_11FillFunctorIjEESt5arrayIPcLm1EELi4E23TrivialOffsetCalculatorILi0EjES7_ILi1EjENS0_6memory15LoadWithoutCastENSA_16StoreWithoutCastEEEviT_T0_T2_T3_T4_T5_: ; @_ZN2at6native27unrolled_elementwise_kernelINS0_11FillFunctorIjEESt5arrayIPcLm1EELi4E23TrivialOffsetCalculatorILi0EjES7_ILi1EjENS0_6memory15LoadWithoutCastENSA_16StoreWithoutCastEEEviT_T0_T2_T3_T4_T5_
; %bb.0:
	s_load_dwordx4 s[0:3], s[4:5], 0x0
	s_lshl_b32 s4, s6, 10
	v_or_b32_e32 v4, 0x100, v0
	v_or_b32_e32 v2, 0x200, v0
	;; [unrolled: 1-line block ×3, first 2 shown]
	s_waitcnt lgkmcnt(0)
	s_sub_i32 s5, s0, s4
	v_mov_b32_e32 v1, s1
	v_cmp_gt_i32_e64 s[0:1], s5, v4
	v_cndmask_b32_e64 v3, 0, v1, s[0:1]
	v_cmp_gt_i32_e64 s[0:1], s5, v2
	v_cmp_gt_i32_e32 vcc, s5, v0
	v_cndmask_b32_e64 v2, 0, v1, s[0:1]
	v_cmp_gt_i32_e64 s[0:1], s5, v6
	v_cndmask_b32_e32 v5, 0, v1, vcc
	v_cndmask_b32_e64 v1, 0, v1, s[0:1]
	s_and_saveexec_b64 s[0:1], vcc
	s_cbranch_execnz .LBB164_5
; %bb.1:
	s_or_b64 exec, exec, s[0:1]
	v_cmp_gt_i32_e32 vcc, s5, v0
	s_and_saveexec_b64 s[0:1], vcc
	s_cbranch_execnz .LBB164_6
.LBB164_2:
	s_or_b64 exec, exec, s[0:1]
	v_cmp_gt_i32_e32 vcc, s5, v0
	s_and_saveexec_b64 s[0:1], vcc
	s_cbranch_execnz .LBB164_7
.LBB164_3:
	s_or_b64 exec, exec, s[0:1]
	v_cmp_gt_i32_e32 vcc, s5, v0
	s_and_saveexec_b64 s[0:1], vcc
	s_cbranch_execnz .LBB164_8
.LBB164_4:
	s_endpgm
.LBB164_5:
	v_or_b32_e32 v6, s4, v0
	v_mov_b32_e32 v7, 0
	v_lshlrev_b64 v[6:7], 2, v[6:7]
	v_mov_b32_e32 v0, s3
	v_add_co_u32_e32 v6, vcc, s2, v6
	v_addc_co_u32_e32 v7, vcc, v0, v7, vcc
	v_mov_b32_e32 v0, v4
	global_store_dword v[6:7], v5, off
	s_or_b64 exec, exec, s[0:1]
	v_cmp_gt_i32_e32 vcc, s5, v0
	s_and_saveexec_b64 s[0:1], vcc
	s_cbranch_execz .LBB164_2
.LBB164_6:
	v_add_u32_e32 v4, s4, v0
	v_mov_b32_e32 v5, 0
	v_lshlrev_b64 v[4:5], 2, v[4:5]
	v_add_u32_e32 v6, 0x100, v0
	v_mov_b32_e32 v0, s3
	v_add_co_u32_e32 v4, vcc, s2, v4
	v_addc_co_u32_e32 v5, vcc, v0, v5, vcc
	v_mov_b32_e32 v0, v6
	global_store_dword v[4:5], v3, off
	s_or_b64 exec, exec, s[0:1]
	v_cmp_gt_i32_e32 vcc, s5, v0
	s_and_saveexec_b64 s[0:1], vcc
	s_cbranch_execz .LBB164_3
.LBB164_7:
	v_add_u32_e32 v3, s4, v0
	v_mov_b32_e32 v4, 0
	v_lshlrev_b64 v[3:4], 2, v[3:4]
	v_add_u32_e32 v5, 0x100, v0
	v_mov_b32_e32 v0, s3
	v_add_co_u32_e32 v3, vcc, s2, v3
	v_addc_co_u32_e32 v4, vcc, v0, v4, vcc
	v_mov_b32_e32 v0, v5
	global_store_dword v[3:4], v2, off
	s_or_b64 exec, exec, s[0:1]
	v_cmp_gt_i32_e32 vcc, s5, v0
	s_and_saveexec_b64 s[0:1], vcc
	s_cbranch_execz .LBB164_4
.LBB164_8:
	v_add_u32_e32 v2, s4, v0
	v_mov_b32_e32 v3, 0
	v_lshlrev_b64 v[2:3], 2, v[2:3]
	v_mov_b32_e32 v0, s3
	v_add_co_u32_e32 v2, vcc, s2, v2
	v_addc_co_u32_e32 v3, vcc, v0, v3, vcc
	global_store_dword v[2:3], v1, off
	s_endpgm
	.section	.rodata,"a",@progbits
	.p2align	6, 0x0
	.amdhsa_kernel _ZN2at6native27unrolled_elementwise_kernelINS0_11FillFunctorIjEESt5arrayIPcLm1EELi4E23TrivialOffsetCalculatorILi0EjES7_ILi1EjENS0_6memory15LoadWithoutCastENSA_16StoreWithoutCastEEEviT_T0_T2_T3_T4_T5_
		.amdhsa_group_segment_fixed_size 0
		.amdhsa_private_segment_fixed_size 0
		.amdhsa_kernarg_size 20
		.amdhsa_user_sgpr_count 6
		.amdhsa_user_sgpr_private_segment_buffer 1
		.amdhsa_user_sgpr_dispatch_ptr 0
		.amdhsa_user_sgpr_queue_ptr 0
		.amdhsa_user_sgpr_kernarg_segment_ptr 1
		.amdhsa_user_sgpr_dispatch_id 0
		.amdhsa_user_sgpr_flat_scratch_init 0
		.amdhsa_user_sgpr_private_segment_size 0
		.amdhsa_uses_dynamic_stack 0
		.amdhsa_system_sgpr_private_segment_wavefront_offset 0
		.amdhsa_system_sgpr_workgroup_id_x 1
		.amdhsa_system_sgpr_workgroup_id_y 0
		.amdhsa_system_sgpr_workgroup_id_z 0
		.amdhsa_system_sgpr_workgroup_info 0
		.amdhsa_system_vgpr_workitem_id 0
		.amdhsa_next_free_vgpr 8
		.amdhsa_next_free_sgpr 7
		.amdhsa_reserve_vcc 1
		.amdhsa_reserve_flat_scratch 0
		.amdhsa_float_round_mode_32 0
		.amdhsa_float_round_mode_16_64 0
		.amdhsa_float_denorm_mode_32 3
		.amdhsa_float_denorm_mode_16_64 3
		.amdhsa_dx10_clamp 1
		.amdhsa_ieee_mode 1
		.amdhsa_fp16_overflow 0
		.amdhsa_exception_fp_ieee_invalid_op 0
		.amdhsa_exception_fp_denorm_src 0
		.amdhsa_exception_fp_ieee_div_zero 0
		.amdhsa_exception_fp_ieee_overflow 0
		.amdhsa_exception_fp_ieee_underflow 0
		.amdhsa_exception_fp_ieee_inexact 0
		.amdhsa_exception_int_div_zero 0
	.end_amdhsa_kernel
	.section	.text._ZN2at6native27unrolled_elementwise_kernelINS0_11FillFunctorIjEESt5arrayIPcLm1EELi4E23TrivialOffsetCalculatorILi0EjES7_ILi1EjENS0_6memory15LoadWithoutCastENSA_16StoreWithoutCastEEEviT_T0_T2_T3_T4_T5_,"axG",@progbits,_ZN2at6native27unrolled_elementwise_kernelINS0_11FillFunctorIjEESt5arrayIPcLm1EELi4E23TrivialOffsetCalculatorILi0EjES7_ILi1EjENS0_6memory15LoadWithoutCastENSA_16StoreWithoutCastEEEviT_T0_T2_T3_T4_T5_,comdat
.Lfunc_end164:
	.size	_ZN2at6native27unrolled_elementwise_kernelINS0_11FillFunctorIjEESt5arrayIPcLm1EELi4E23TrivialOffsetCalculatorILi0EjES7_ILi1EjENS0_6memory15LoadWithoutCastENSA_16StoreWithoutCastEEEviT_T0_T2_T3_T4_T5_, .Lfunc_end164-_ZN2at6native27unrolled_elementwise_kernelINS0_11FillFunctorIjEESt5arrayIPcLm1EELi4E23TrivialOffsetCalculatorILi0EjES7_ILi1EjENS0_6memory15LoadWithoutCastENSA_16StoreWithoutCastEEEviT_T0_T2_T3_T4_T5_
                                        ; -- End function
	.set _ZN2at6native27unrolled_elementwise_kernelINS0_11FillFunctorIjEESt5arrayIPcLm1EELi4E23TrivialOffsetCalculatorILi0EjES7_ILi1EjENS0_6memory15LoadWithoutCastENSA_16StoreWithoutCastEEEviT_T0_T2_T3_T4_T5_.num_vgpr, 8
	.set _ZN2at6native27unrolled_elementwise_kernelINS0_11FillFunctorIjEESt5arrayIPcLm1EELi4E23TrivialOffsetCalculatorILi0EjES7_ILi1EjENS0_6memory15LoadWithoutCastENSA_16StoreWithoutCastEEEviT_T0_T2_T3_T4_T5_.num_agpr, 0
	.set _ZN2at6native27unrolled_elementwise_kernelINS0_11FillFunctorIjEESt5arrayIPcLm1EELi4E23TrivialOffsetCalculatorILi0EjES7_ILi1EjENS0_6memory15LoadWithoutCastENSA_16StoreWithoutCastEEEviT_T0_T2_T3_T4_T5_.numbered_sgpr, 7
	.set _ZN2at6native27unrolled_elementwise_kernelINS0_11FillFunctorIjEESt5arrayIPcLm1EELi4E23TrivialOffsetCalculatorILi0EjES7_ILi1EjENS0_6memory15LoadWithoutCastENSA_16StoreWithoutCastEEEviT_T0_T2_T3_T4_T5_.num_named_barrier, 0
	.set _ZN2at6native27unrolled_elementwise_kernelINS0_11FillFunctorIjEESt5arrayIPcLm1EELi4E23TrivialOffsetCalculatorILi0EjES7_ILi1EjENS0_6memory15LoadWithoutCastENSA_16StoreWithoutCastEEEviT_T0_T2_T3_T4_T5_.private_seg_size, 0
	.set _ZN2at6native27unrolled_elementwise_kernelINS0_11FillFunctorIjEESt5arrayIPcLm1EELi4E23TrivialOffsetCalculatorILi0EjES7_ILi1EjENS0_6memory15LoadWithoutCastENSA_16StoreWithoutCastEEEviT_T0_T2_T3_T4_T5_.uses_vcc, 1
	.set _ZN2at6native27unrolled_elementwise_kernelINS0_11FillFunctorIjEESt5arrayIPcLm1EELi4E23TrivialOffsetCalculatorILi0EjES7_ILi1EjENS0_6memory15LoadWithoutCastENSA_16StoreWithoutCastEEEviT_T0_T2_T3_T4_T5_.uses_flat_scratch, 0
	.set _ZN2at6native27unrolled_elementwise_kernelINS0_11FillFunctorIjEESt5arrayIPcLm1EELi4E23TrivialOffsetCalculatorILi0EjES7_ILi1EjENS0_6memory15LoadWithoutCastENSA_16StoreWithoutCastEEEviT_T0_T2_T3_T4_T5_.has_dyn_sized_stack, 0
	.set _ZN2at6native27unrolled_elementwise_kernelINS0_11FillFunctorIjEESt5arrayIPcLm1EELi4E23TrivialOffsetCalculatorILi0EjES7_ILi1EjENS0_6memory15LoadWithoutCastENSA_16StoreWithoutCastEEEviT_T0_T2_T3_T4_T5_.has_recursion, 0
	.set _ZN2at6native27unrolled_elementwise_kernelINS0_11FillFunctorIjEESt5arrayIPcLm1EELi4E23TrivialOffsetCalculatorILi0EjES7_ILi1EjENS0_6memory15LoadWithoutCastENSA_16StoreWithoutCastEEEviT_T0_T2_T3_T4_T5_.has_indirect_call, 0
	.section	.AMDGPU.csdata,"",@progbits
; Kernel info:
; codeLenInByte = 388
; TotalNumSgprs: 11
; NumVgprs: 8
; ScratchSize: 0
; MemoryBound: 0
; FloatMode: 240
; IeeeMode: 1
; LDSByteSize: 0 bytes/workgroup (compile time only)
; SGPRBlocks: 1
; VGPRBlocks: 1
; NumSGPRsForWavesPerEU: 11
; NumVGPRsForWavesPerEU: 8
; Occupancy: 10
; WaveLimiterHint : 0
; COMPUTE_PGM_RSRC2:SCRATCH_EN: 0
; COMPUTE_PGM_RSRC2:USER_SGPR: 6
; COMPUTE_PGM_RSRC2:TRAP_HANDLER: 0
; COMPUTE_PGM_RSRC2:TGID_X_EN: 1
; COMPUTE_PGM_RSRC2:TGID_Y_EN: 0
; COMPUTE_PGM_RSRC2:TGID_Z_EN: 0
; COMPUTE_PGM_RSRC2:TIDIG_COMP_CNT: 0
	.section	.text._ZN2at6native32elementwise_kernel_manual_unrollILi128ELi4EZNS0_22gpu_kernel_impl_nocastINS0_11FillFunctorIjEEEEvRNS_18TensorIteratorBaseERKT_EUlibE_EEviT1_,"axG",@progbits,_ZN2at6native32elementwise_kernel_manual_unrollILi128ELi4EZNS0_22gpu_kernel_impl_nocastINS0_11FillFunctorIjEEEEvRNS_18TensorIteratorBaseERKT_EUlibE_EEviT1_,comdat
	.protected	_ZN2at6native32elementwise_kernel_manual_unrollILi128ELi4EZNS0_22gpu_kernel_impl_nocastINS0_11FillFunctorIjEEEEvRNS_18TensorIteratorBaseERKT_EUlibE_EEviT1_ ; -- Begin function _ZN2at6native32elementwise_kernel_manual_unrollILi128ELi4EZNS0_22gpu_kernel_impl_nocastINS0_11FillFunctorIjEEEEvRNS_18TensorIteratorBaseERKT_EUlibE_EEviT1_
	.globl	_ZN2at6native32elementwise_kernel_manual_unrollILi128ELi4EZNS0_22gpu_kernel_impl_nocastINS0_11FillFunctorIjEEEEvRNS_18TensorIteratorBaseERKT_EUlibE_EEviT1_
	.p2align	8
	.type	_ZN2at6native32elementwise_kernel_manual_unrollILi128ELi4EZNS0_22gpu_kernel_impl_nocastINS0_11FillFunctorIjEEEEvRNS_18TensorIteratorBaseERKT_EUlibE_EEviT1_,@function
_ZN2at6native32elementwise_kernel_manual_unrollILi128ELi4EZNS0_22gpu_kernel_impl_nocastINS0_11FillFunctorIjEEEEvRNS_18TensorIteratorBaseERKT_EUlibE_EEviT1_: ; @_ZN2at6native32elementwise_kernel_manual_unrollILi128ELi4EZNS0_22gpu_kernel_impl_nocastINS0_11FillFunctorIjEEEEvRNS_18TensorIteratorBaseERKT_EUlibE_EEviT1_
; %bb.0:
	s_load_dword s48, s[4:5], 0x0
	s_load_dword s33, s[4:5], 0x8
	s_add_u32 s20, s4, 8
	s_addc_u32 s21, s5, 0
	v_lshl_or_b32 v3, s6, 9, v0
	v_or_b32_e32 v5, 0x180, v3
	s_waitcnt lgkmcnt(0)
	s_add_i32 s46, s33, -1
	s_cmp_gt_u32 s46, 1
	v_cmp_le_i32_e32 vcc, s48, v5
	s_cselect_b64 s[22:23], -1, 0
	s_and_saveexec_b64 s[0:1], vcc
	s_xor_b64 s[24:25], exec, s[0:1]
	s_cbranch_execz .LBB165_7
; %bb.1:
	s_load_dwordx4 s[8:11], s[20:21], 0x4
	s_load_dwordx2 s[30:31], s[20:21], 0x14
	s_load_dwordx2 s[28:29], s[20:21], 0xc4
	;; [unrolled: 1-line block ×3, first 2 shown]
	s_load_dword s47, s[20:21], 0x110
	s_cmp_lg_u32 s33, 0
	s_cselect_b64 s[38:39], -1, 0
	s_add_u32 s36, s20, 0xc4
	s_addc_u32 s37, s21, 0
	s_min_u32 s49, s46, 15
	s_cmp_gt_u32 s33, 1
	s_cselect_b64 s[34:35], -1, 0
	v_cmp_gt_i32_e32 vcc, s48, v3
	s_and_saveexec_b64 s[40:41], vcc
	s_cbranch_execz .LBB165_14
; %bb.2:
	s_andn2_b64 vcc, exec, s[22:23]
	s_cbranch_vccnz .LBB165_21
; %bb.3:
	s_andn2_b64 vcc, exec, s[38:39]
	s_cbranch_vccnz .LBB165_73
; %bb.4:
	s_add_i32 s51, s49, 1
	s_cmp_eq_u32 s46, 2
	s_cbranch_scc1 .LBB165_75
; %bb.5:
	s_and_b32 s50, s51, 28
	s_mov_b32 s52, 0
	v_mov_b32_e32 v0, 0
	s_mov_b64 s[42:43], s[20:21]
	s_mov_b64 s[44:45], s[36:37]
	v_mov_b32_e32 v1, v3
.LBB165_6:                              ; =>This Inner Loop Header: Depth=1
	s_load_dwordx8 s[0:7], s[42:43], 0x4
	s_load_dwordx4 s[12:15], s[42:43], 0x24
	s_load_dwordx4 s[16:19], s[44:45], 0x0
	s_add_u32 s42, s42, 48
	s_addc_u32 s43, s43, 0
	s_waitcnt lgkmcnt(0)
	v_mul_hi_u32 v2, s1, v1
	s_add_i32 s52, s52, 4
	s_add_u32 s44, s44, 16
	s_addc_u32 s45, s45, 0
	v_add_u32_e32 v2, v1, v2
	v_lshrrev_b32_e32 v2, s2, v2
	v_mul_lo_u32 v4, v2, s0
	v_mul_hi_u32 v5, s4, v2
	s_cmp_lg_u32 s50, s52
	v_sub_u32_e32 v1, v1, v4
	v_add_u32_e32 v4, v2, v5
	v_lshrrev_b32_e32 v4, s5, v4
	v_mul_lo_u32 v5, v1, s16
	v_mul_hi_u32 v1, s7, v4
	v_mul_lo_u32 v7, v4, s3
	v_add_u32_e32 v1, v4, v1
	v_lshrrev_b32_e32 v6, s12, v1
	v_mul_hi_u32 v1, s14, v6
	v_sub_u32_e32 v2, v2, v7
	v_mul_lo_u32 v7, v6, s6
	v_mul_lo_u32 v2, v2, s17
	v_add_u32_e32 v1, v6, v1
	v_lshrrev_b32_e32 v1, s15, v1
	v_mul_lo_u32 v8, v1, s13
	v_sub_u32_e32 v4, v4, v7
	v_mul_lo_u32 v4, v4, s18
	v_add3_u32 v0, v5, v0, v2
	v_sub_u32_e32 v6, v6, v8
	v_mul_lo_u32 v6, v6, s19
	v_add3_u32 v0, v4, v0, v6
	s_cbranch_scc1 .LBB165_6
	s_branch .LBB165_76
.LBB165_7:
	s_andn2_saveexec_b64 s[0:1], s[24:25]
	s_cbranch_execz .LBB165_101
.LBB165_8:
	v_cndmask_b32_e64 v0, 0, 1, s[22:23]
	v_cmp_ne_u32_e64 s[0:1], 1, v0
	s_andn2_b64 vcc, exec, s[22:23]
	s_cbranch_vccnz .LBB165_20
; %bb.9:
	s_cmp_lg_u32 s33, 0
	s_mov_b32 s24, 0
	s_cbranch_scc0 .LBB165_23
; %bb.10:
	s_min_u32 s25, s46, 15
	s_add_i32 s25, s25, 1
	s_cmp_eq_u32 s46, 2
	s_cbranch_scc1 .LBB165_24
; %bb.11:
	s_and_b32 s24, s25, 28
	s_add_u32 s2, s20, 0xc4
	s_addc_u32 s3, s21, 0
	s_waitcnt lgkmcnt(0)
	s_mov_b32 s26, 0
	v_mov_b32_e32 v0, 0
	s_mov_b64 s[22:23], s[20:21]
	v_mov_b32_e32 v1, v3
.LBB165_12:                             ; =>This Inner Loop Header: Depth=1
	s_load_dwordx8 s[4:11], s[22:23], 0x4
	s_load_dwordx4 s[12:15], s[22:23], 0x24
	s_load_dwordx4 s[16:19], s[2:3], 0x0
	s_add_u32 s22, s22, 48
	s_addc_u32 s23, s23, 0
	s_waitcnt lgkmcnt(0)
	v_mul_hi_u32 v2, s5, v1
	s_add_i32 s26, s26, 4
	s_add_u32 s2, s2, 16
	s_addc_u32 s3, s3, 0
	v_add_u32_e32 v2, v1, v2
	v_lshrrev_b32_e32 v2, s6, v2
	v_mul_lo_u32 v4, v2, s4
	v_mul_hi_u32 v6, s8, v2
	s_cmp_lg_u32 s24, s26
	v_sub_u32_e32 v1, v1, v4
	v_add_u32_e32 v4, v2, v6
	v_lshrrev_b32_e32 v4, s9, v4
	v_mul_lo_u32 v6, v1, s16
	v_mul_hi_u32 v1, s11, v4
	v_mul_lo_u32 v8, v4, s7
	v_add_u32_e32 v1, v4, v1
	v_lshrrev_b32_e32 v7, s12, v1
	v_mul_hi_u32 v1, s14, v7
	v_sub_u32_e32 v2, v2, v8
	v_mul_lo_u32 v8, v7, s10
	v_mul_lo_u32 v2, v2, s17
	v_add_u32_e32 v1, v7, v1
	v_lshrrev_b32_e32 v1, s15, v1
	v_mul_lo_u32 v9, v1, s13
	v_sub_u32_e32 v4, v4, v8
	v_mul_lo_u32 v4, v4, s18
	v_add3_u32 v0, v6, v0, v2
	v_sub_u32_e32 v7, v7, v9
	v_mul_lo_u32 v7, v7, s19
	v_add3_u32 v0, v4, v0, v7
	s_cbranch_scc1 .LBB165_12
; %bb.13:
	s_and_b32 s6, s25, 3
	s_cmp_eq_u32 s6, 0
	s_cbranch_scc0 .LBB165_25
	s_branch .LBB165_27
.LBB165_14:
	s_or_b64 exec, exec, s[40:41]
	v_cmp_gt_i32_e32 vcc, s48, v3
	s_and_saveexec_b64 s[40:41], vcc
	s_cbranch_execz .LBB165_83
.LBB165_15:
	s_andn2_b64 vcc, exec, s[22:23]
	s_cbranch_vccnz .LBB165_22
; %bb.16:
	s_andn2_b64 vcc, exec, s[38:39]
	s_cbranch_vccnz .LBB165_74
; %bb.17:
	s_add_i32 s51, s49, 1
	s_cmp_eq_u32 s46, 2
	s_cbranch_scc1 .LBB165_91
; %bb.18:
	s_and_b32 s50, s51, 28
	s_mov_b32 s52, 0
	v_mov_b32_e32 v0, 0
	s_mov_b64 s[42:43], s[20:21]
	s_mov_b64 s[44:45], s[36:37]
	v_mov_b32_e32 v1, v3
.LBB165_19:                             ; =>This Inner Loop Header: Depth=1
	s_load_dwordx8 s[0:7], s[42:43], 0x4
	s_load_dwordx4 s[12:15], s[42:43], 0x24
	s_load_dwordx4 s[16:19], s[44:45], 0x0
	s_add_u32 s42, s42, 48
	s_addc_u32 s43, s43, 0
	s_waitcnt lgkmcnt(0)
	v_mul_hi_u32 v2, s1, v1
	s_add_i32 s52, s52, 4
	s_add_u32 s44, s44, 16
	s_addc_u32 s45, s45, 0
	v_add_u32_e32 v2, v1, v2
	v_lshrrev_b32_e32 v2, s2, v2
	v_mul_lo_u32 v4, v2, s0
	v_mul_hi_u32 v5, s4, v2
	s_cmp_eq_u32 s50, s52
	v_sub_u32_e32 v1, v1, v4
	v_add_u32_e32 v4, v2, v5
	v_lshrrev_b32_e32 v4, s5, v4
	v_mul_lo_u32 v5, v1, s16
	v_mul_hi_u32 v1, s7, v4
	v_mul_lo_u32 v7, v4, s3
	v_add_u32_e32 v1, v4, v1
	v_lshrrev_b32_e32 v6, s12, v1
	v_mul_hi_u32 v1, s14, v6
	v_sub_u32_e32 v2, v2, v7
	v_mul_lo_u32 v7, v6, s6
	v_mul_lo_u32 v2, v2, s17
	v_add_u32_e32 v1, v6, v1
	v_lshrrev_b32_e32 v1, s15, v1
	v_mul_lo_u32 v8, v1, s13
	v_sub_u32_e32 v4, v4, v7
	v_mul_lo_u32 v4, v4, s18
	v_add3_u32 v0, v5, v0, v2
	v_sub_u32_e32 v6, v6, v8
	v_mul_lo_u32 v6, v6, s19
	v_add3_u32 v0, v4, v0, v6
	s_cbranch_scc0 .LBB165_19
	s_branch .LBB165_92
.LBB165_20:
                                        ; implicit-def: $vgpr0
	s_branch .LBB165_28
.LBB165_21:
                                        ; implicit-def: $vgpr0
	s_branch .LBB165_80
.LBB165_22:
                                        ; implicit-def: $vgpr0
	s_branch .LBB165_96
.LBB165_23:
	v_mov_b32_e32 v0, 0
	s_branch .LBB165_27
.LBB165_24:
	v_mov_b32_e32 v0, 0
	v_mov_b32_e32 v1, v3
	s_and_b32 s6, s25, 3
	s_cmp_eq_u32 s6, 0
	s_cbranch_scc1 .LBB165_27
.LBB165_25:
	s_lshl_b32 s2, s24, 2
	s_add_u32 s2, s20, s2
	s_addc_u32 s3, s21, 0
	s_add_u32 s2, s2, 0xc4
	s_addc_u32 s3, s3, 0
	s_mul_i32 s4, s24, 12
	s_add_u32 s4, s20, s4
	s_addc_u32 s5, s21, 0
.LBB165_26:                             ; =>This Inner Loop Header: Depth=1
	s_waitcnt lgkmcnt(0)
	s_load_dwordx2 s[8:9], s[4:5], 0x4
	s_load_dword s7, s[4:5], 0xc
	s_add_u32 s4, s4, 12
	s_addc_u32 s5, s5, 0
	s_waitcnt lgkmcnt(0)
	v_mul_hi_u32 v2, s9, v1
	s_load_dword s9, s[2:3], 0x0
	s_add_u32 s2, s2, 4
	s_addc_u32 s3, s3, 0
	v_add_u32_e32 v2, v1, v2
	v_lshrrev_b32_e32 v2, s7, v2
	v_mul_lo_u32 v4, v2, s8
	s_add_i32 s6, s6, -1
	s_cmp_lg_u32 s6, 0
	v_sub_u32_e32 v1, v1, v4
	s_waitcnt lgkmcnt(0)
	v_mad_u64_u32 v[0:1], s[8:9], v1, s9, v[0:1]
	v_mov_b32_e32 v1, v2
	s_cbranch_scc1 .LBB165_26
.LBB165_27:
	s_cbranch_execnz .LBB165_30
.LBB165_28:
	s_load_dwordx4 s[4:7], s[20:21], 0x4
	s_load_dword s2, s[20:21], 0xc4
	s_cmp_lt_u32 s33, 2
	s_waitcnt lgkmcnt(0)
	v_mul_hi_u32 v0, s5, v3
	v_add_u32_e32 v0, v3, v0
	v_lshrrev_b32_e32 v1, s6, v0
	v_mul_lo_u32 v0, v1, s4
	v_sub_u32_e32 v0, v3, v0
	v_mul_lo_u32 v0, v0, s2
	s_cbranch_scc1 .LBB165_30
; %bb.29:
	s_load_dwordx4 s[4:7], s[20:21], 0x10
	s_load_dword s2, s[20:21], 0xc8
	s_waitcnt lgkmcnt(0)
	v_mul_hi_u32 v2, s5, v1
	v_add_u32_e32 v2, v1, v2
	v_lshrrev_b32_e32 v2, s6, v2
	v_mul_lo_u32 v2, v2, s4
	v_sub_u32_e32 v1, v1, v2
	v_mad_u64_u32 v[0:1], s[2:3], v1, s2, v[0:1]
.LBB165_30:
	s_and_b64 vcc, exec, s[0:1]
	v_add_u32_e32 v4, 0x80, v3
	s_cbranch_vccnz .LBB165_36
; %bb.31:
	s_cmp_lg_u32 s33, 0
	s_mov_b32 s24, 0
	s_cbranch_scc0 .LBB165_37
; %bb.32:
	s_min_u32 s25, s46, 15
	s_add_i32 s25, s25, 1
	s_cmp_eq_u32 s46, 2
	s_cbranch_scc1 .LBB165_38
; %bb.33:
	s_and_b32 s24, s25, 28
	s_add_u32 s2, s20, 0xc4
	s_addc_u32 s3, s21, 0
	s_waitcnt lgkmcnt(0)
	s_mov_b32 s26, 0
	v_mov_b32_e32 v1, 0
	s_mov_b64 s[22:23], s[20:21]
	v_mov_b32_e32 v2, v4
.LBB165_34:                             ; =>This Inner Loop Header: Depth=1
	s_load_dwordx8 s[4:11], s[22:23], 0x4
	s_load_dwordx4 s[12:15], s[22:23], 0x24
	s_load_dwordx4 s[16:19], s[2:3], 0x0
	s_add_u32 s22, s22, 48
	s_addc_u32 s23, s23, 0
	s_waitcnt lgkmcnt(0)
	v_mul_hi_u32 v6, s5, v2
	s_add_i32 s26, s26, 4
	s_add_u32 s2, s2, 16
	s_addc_u32 s3, s3, 0
	v_add_u32_e32 v6, v2, v6
	v_lshrrev_b32_e32 v6, s6, v6
	v_mul_lo_u32 v7, v6, s4
	v_mul_hi_u32 v8, s8, v6
	s_cmp_lg_u32 s24, s26
	v_sub_u32_e32 v2, v2, v7
	v_add_u32_e32 v7, v6, v8
	v_lshrrev_b32_e32 v7, s9, v7
	v_mul_lo_u32 v8, v2, s16
	v_mul_hi_u32 v2, s11, v7
	v_mul_lo_u32 v10, v7, s7
	v_add_u32_e32 v2, v7, v2
	v_lshrrev_b32_e32 v9, s12, v2
	v_mul_hi_u32 v2, s14, v9
	v_sub_u32_e32 v6, v6, v10
	v_mul_lo_u32 v10, v9, s10
	v_mul_lo_u32 v6, v6, s17
	v_add_u32_e32 v2, v9, v2
	v_lshrrev_b32_e32 v2, s15, v2
	v_mul_lo_u32 v11, v2, s13
	v_sub_u32_e32 v7, v7, v10
	v_mul_lo_u32 v7, v7, s18
	v_add3_u32 v1, v8, v1, v6
	v_sub_u32_e32 v9, v9, v11
	v_mul_lo_u32 v9, v9, s19
	v_add3_u32 v1, v7, v1, v9
	s_cbranch_scc1 .LBB165_34
; %bb.35:
	s_and_b32 s6, s25, 3
	s_cmp_eq_u32 s6, 0
	s_cbranch_scc0 .LBB165_39
	s_branch .LBB165_41
.LBB165_36:
                                        ; implicit-def: $vgpr1
	s_branch .LBB165_42
.LBB165_37:
	v_mov_b32_e32 v1, 0
	s_branch .LBB165_41
.LBB165_38:
	v_mov_b32_e32 v1, 0
	v_mov_b32_e32 v2, v4
	s_and_b32 s6, s25, 3
	s_cmp_eq_u32 s6, 0
	s_cbranch_scc1 .LBB165_41
.LBB165_39:
	s_lshl_b32 s2, s24, 2
	s_add_u32 s2, s20, s2
	s_addc_u32 s3, s21, 0
	s_add_u32 s2, s2, 0xc4
	s_addc_u32 s3, s3, 0
	s_mul_i32 s4, s24, 12
	s_add_u32 s4, s20, s4
	s_addc_u32 s5, s21, 0
.LBB165_40:                             ; =>This Inner Loop Header: Depth=1
	s_waitcnt lgkmcnt(0)
	s_load_dwordx2 s[8:9], s[4:5], 0x4
	s_load_dword s7, s[4:5], 0xc
	s_add_u32 s4, s4, 12
	s_addc_u32 s5, s5, 0
	s_waitcnt lgkmcnt(0)
	v_mul_hi_u32 v6, s9, v2
	s_load_dword s9, s[2:3], 0x0
	s_add_u32 s2, s2, 4
	s_addc_u32 s3, s3, 0
	v_add_u32_e32 v6, v2, v6
	v_lshrrev_b32_e32 v6, s7, v6
	v_mul_lo_u32 v7, v6, s8
	s_add_i32 s6, s6, -1
	s_cmp_lg_u32 s6, 0
	v_sub_u32_e32 v2, v2, v7
	s_waitcnt lgkmcnt(0)
	v_mad_u64_u32 v[1:2], s[8:9], v2, s9, v[1:2]
	v_mov_b32_e32 v2, v6
	s_cbranch_scc1 .LBB165_40
.LBB165_41:
	s_cbranch_execnz .LBB165_44
.LBB165_42:
	s_load_dwordx4 s[4:7], s[20:21], 0x4
	s_load_dword s2, s[20:21], 0xc4
	s_cmp_lt_u32 s33, 2
	s_waitcnt lgkmcnt(0)
	v_mul_hi_u32 v1, s5, v4
	v_add_u32_e32 v1, v4, v1
	v_lshrrev_b32_e32 v2, s6, v1
	v_mul_lo_u32 v1, v2, s4
	v_sub_u32_e32 v1, v4, v1
	v_mul_lo_u32 v1, v1, s2
	s_cbranch_scc1 .LBB165_44
; %bb.43:
	s_load_dwordx4 s[4:7], s[20:21], 0x10
	s_load_dword s2, s[20:21], 0xc8
	s_waitcnt lgkmcnt(0)
	v_mul_hi_u32 v4, s5, v2
	v_add_u32_e32 v4, v2, v4
	v_lshrrev_b32_e32 v4, s6, v4
	v_mul_lo_u32 v4, v4, s4
	v_sub_u32_e32 v2, v2, v4
	v_mad_u64_u32 v[1:2], s[2:3], v2, s2, v[1:2]
.LBB165_44:
	s_and_b64 vcc, exec, s[0:1]
	v_add_u32_e32 v4, 0x100, v3
	s_cbranch_vccnz .LBB165_50
; %bb.45:
	s_cmp_lg_u32 s33, 0
	s_mov_b32 s24, 0
	s_cbranch_scc0 .LBB165_51
; %bb.46:
	s_min_u32 s25, s46, 15
	s_add_i32 s25, s25, 1
	s_cmp_eq_u32 s46, 2
	s_cbranch_scc1 .LBB165_52
; %bb.47:
	s_and_b32 s24, s25, 28
	s_add_u32 s2, s20, 0xc4
	s_addc_u32 s3, s21, 0
	s_waitcnt lgkmcnt(0)
	s_mov_b32 s26, 0
	v_mov_b32_e32 v2, 0
	s_mov_b64 s[22:23], s[20:21]
	v_mov_b32_e32 v3, v4
.LBB165_48:                             ; =>This Inner Loop Header: Depth=1
	s_load_dwordx8 s[4:11], s[22:23], 0x4
	s_load_dwordx4 s[12:15], s[22:23], 0x24
	s_load_dwordx4 s[16:19], s[2:3], 0x0
	s_add_u32 s22, s22, 48
	s_addc_u32 s23, s23, 0
	s_waitcnt lgkmcnt(0)
	v_mul_hi_u32 v6, s5, v3
	s_add_i32 s26, s26, 4
	s_add_u32 s2, s2, 16
	s_addc_u32 s3, s3, 0
	v_add_u32_e32 v6, v3, v6
	v_lshrrev_b32_e32 v6, s6, v6
	v_mul_lo_u32 v7, v6, s4
	v_mul_hi_u32 v8, s8, v6
	s_cmp_lg_u32 s24, s26
	v_sub_u32_e32 v3, v3, v7
	v_add_u32_e32 v7, v6, v8
	v_lshrrev_b32_e32 v7, s9, v7
	v_mul_lo_u32 v8, v3, s16
	v_mul_hi_u32 v3, s11, v7
	v_mul_lo_u32 v10, v7, s7
	v_add_u32_e32 v3, v7, v3
	v_lshrrev_b32_e32 v9, s12, v3
	v_mul_hi_u32 v3, s14, v9
	v_sub_u32_e32 v6, v6, v10
	v_mul_lo_u32 v10, v9, s10
	v_mul_lo_u32 v6, v6, s17
	v_add_u32_e32 v3, v9, v3
	v_lshrrev_b32_e32 v3, s15, v3
	v_mul_lo_u32 v11, v3, s13
	v_sub_u32_e32 v7, v7, v10
	v_mul_lo_u32 v7, v7, s18
	v_add3_u32 v2, v8, v2, v6
	v_sub_u32_e32 v9, v9, v11
	v_mul_lo_u32 v9, v9, s19
	v_add3_u32 v2, v7, v2, v9
	s_cbranch_scc1 .LBB165_48
; %bb.49:
	s_and_b32 s6, s25, 3
	s_cmp_eq_u32 s6, 0
	s_cbranch_scc0 .LBB165_53
	s_branch .LBB165_55
.LBB165_50:
                                        ; implicit-def: $vgpr2
	s_branch .LBB165_56
.LBB165_51:
	v_mov_b32_e32 v2, 0
	s_branch .LBB165_55
.LBB165_52:
	v_mov_b32_e32 v2, 0
	v_mov_b32_e32 v3, v4
	s_and_b32 s6, s25, 3
	s_cmp_eq_u32 s6, 0
	s_cbranch_scc1 .LBB165_55
.LBB165_53:
	s_lshl_b32 s2, s24, 2
	s_add_u32 s2, s20, s2
	s_addc_u32 s3, s21, 0
	s_add_u32 s2, s2, 0xc4
	s_addc_u32 s3, s3, 0
	s_mul_i32 s4, s24, 12
	s_add_u32 s4, s20, s4
	s_addc_u32 s5, s21, 0
.LBB165_54:                             ; =>This Inner Loop Header: Depth=1
	s_waitcnt lgkmcnt(0)
	s_load_dwordx2 s[8:9], s[4:5], 0x4
	s_load_dword s7, s[4:5], 0xc
	s_add_u32 s4, s4, 12
	s_addc_u32 s5, s5, 0
	s_waitcnt lgkmcnt(0)
	v_mul_hi_u32 v6, s9, v3
	s_load_dword s9, s[2:3], 0x0
	s_add_u32 s2, s2, 4
	s_addc_u32 s3, s3, 0
	v_add_u32_e32 v6, v3, v6
	v_lshrrev_b32_e32 v6, s7, v6
	v_mul_lo_u32 v7, v6, s8
	s_add_i32 s6, s6, -1
	s_cmp_lg_u32 s6, 0
	v_sub_u32_e32 v3, v3, v7
	s_waitcnt lgkmcnt(0)
	v_mad_u64_u32 v[2:3], s[8:9], v3, s9, v[2:3]
	v_mov_b32_e32 v3, v6
	s_cbranch_scc1 .LBB165_54
.LBB165_55:
	s_cbranch_execnz .LBB165_58
.LBB165_56:
	s_load_dwordx4 s[4:7], s[20:21], 0x4
	s_load_dword s2, s[20:21], 0xc4
	s_cmp_lt_u32 s33, 2
	s_waitcnt lgkmcnt(0)
	v_mul_hi_u32 v2, s5, v4
	v_add_u32_e32 v2, v4, v2
	v_lshrrev_b32_e32 v3, s6, v2
	v_mul_lo_u32 v2, v3, s4
	v_sub_u32_e32 v2, v4, v2
	v_mul_lo_u32 v2, v2, s2
	s_cbranch_scc1 .LBB165_58
; %bb.57:
	s_load_dwordx4 s[4:7], s[20:21], 0x10
	s_load_dword s2, s[20:21], 0xc8
	s_waitcnt lgkmcnt(0)
	v_mul_hi_u32 v4, s5, v3
	v_add_u32_e32 v4, v3, v4
	v_lshrrev_b32_e32 v4, s6, v4
	v_mul_lo_u32 v4, v4, s4
	v_sub_u32_e32 v3, v3, v4
	v_mad_u64_u32 v[2:3], s[2:3], v3, s2, v[2:3]
.LBB165_58:
	s_and_b64 vcc, exec, s[0:1]
	s_cbranch_vccnz .LBB165_64
; %bb.59:
	s_cmp_lg_u32 s33, 0
	s_mov_b32 s22, 0
	s_cbranch_scc0 .LBB165_65
; %bb.60:
	s_min_u32 s23, s46, 15
	s_add_i32 s23, s23, 1
	s_cmp_eq_u32 s46, 2
	s_cbranch_scc1 .LBB165_66
; %bb.61:
	s_and_b32 s22, s23, 28
	s_add_u32 s16, s20, 0xc4
	s_addc_u32 s17, s21, 0
	s_mov_b32 s24, 0
	v_mov_b32_e32 v3, 0
	s_mov_b64 s[18:19], s[20:21]
	v_mov_b32_e32 v4, v5
.LBB165_62:                             ; =>This Inner Loop Header: Depth=1
	s_load_dwordx8 s[0:7], s[18:19], 0x4
	s_waitcnt lgkmcnt(0)
	s_load_dwordx4 s[8:11], s[18:19], 0x24
	s_load_dwordx4 s[12:15], s[16:17], 0x0
	s_add_u32 s18, s18, 48
	s_addc_u32 s19, s19, 0
	v_mul_hi_u32 v6, s1, v4
	s_add_i32 s24, s24, 4
	s_add_u32 s16, s16, 16
	s_addc_u32 s17, s17, 0
	v_add_u32_e32 v6, v4, v6
	v_lshrrev_b32_e32 v6, s2, v6
	v_mul_lo_u32 v7, v6, s0
	v_mul_hi_u32 v8, s4, v6
	s_cmp_lg_u32 s22, s24
	v_sub_u32_e32 v4, v4, v7
	v_add_u32_e32 v7, v6, v8
	v_lshrrev_b32_e32 v7, s5, v7
	s_waitcnt lgkmcnt(0)
	v_mul_lo_u32 v8, v4, s12
	v_mul_hi_u32 v4, s7, v7
	v_mul_lo_u32 v10, v7, s3
	v_add_u32_e32 v4, v7, v4
	v_lshrrev_b32_e32 v9, s8, v4
	v_mul_hi_u32 v4, s10, v9
	v_sub_u32_e32 v6, v6, v10
	v_mul_lo_u32 v10, v9, s6
	v_mul_lo_u32 v6, v6, s13
	v_add_u32_e32 v4, v9, v4
	v_lshrrev_b32_e32 v4, s11, v4
	v_mul_lo_u32 v11, v4, s9
	v_sub_u32_e32 v7, v7, v10
	v_mul_lo_u32 v7, v7, s14
	v_add3_u32 v3, v8, v3, v6
	v_sub_u32_e32 v9, v9, v11
	v_mul_lo_u32 v9, v9, s15
	v_add3_u32 v3, v7, v3, v9
	s_cbranch_scc1 .LBB165_62
; %bb.63:
	s_and_b32 s4, s23, 3
	s_cmp_eq_u32 s4, 0
	s_cbranch_scc0 .LBB165_67
	s_branch .LBB165_69
.LBB165_64:
                                        ; implicit-def: $vgpr3
	s_branch .LBB165_70
.LBB165_65:
	v_mov_b32_e32 v3, 0
	s_branch .LBB165_69
.LBB165_66:
	v_mov_b32_e32 v3, 0
	v_mov_b32_e32 v4, v5
	s_and_b32 s4, s23, 3
	s_cmp_eq_u32 s4, 0
	s_cbranch_scc1 .LBB165_69
.LBB165_67:
	s_lshl_b32 s0, s22, 2
	s_add_u32 s0, s20, s0
	s_addc_u32 s1, s21, 0
	s_add_u32 s0, s0, 0xc4
	s_addc_u32 s1, s1, 0
	s_mul_i32 s2, s22, 12
	s_add_u32 s2, s20, s2
	s_addc_u32 s3, s21, 0
.LBB165_68:                             ; =>This Inner Loop Header: Depth=1
	s_load_dwordx2 s[6:7], s[2:3], 0x4
	s_load_dword s5, s[2:3], 0xc
	s_add_u32 s2, s2, 12
	s_addc_u32 s3, s3, 0
	s_waitcnt lgkmcnt(0)
	v_mul_hi_u32 v6, s7, v4
	s_load_dword s7, s[0:1], 0x0
	s_add_u32 s0, s0, 4
	s_addc_u32 s1, s1, 0
	v_add_u32_e32 v6, v4, v6
	v_lshrrev_b32_e32 v6, s5, v6
	v_mul_lo_u32 v7, v6, s6
	s_add_i32 s4, s4, -1
	s_cmp_lg_u32 s4, 0
	v_sub_u32_e32 v4, v4, v7
	s_waitcnt lgkmcnt(0)
	v_mad_u64_u32 v[3:4], s[6:7], v4, s7, v[3:4]
	v_mov_b32_e32 v4, v6
	s_cbranch_scc1 .LBB165_68
.LBB165_69:
	s_cbranch_execnz .LBB165_72
.LBB165_70:
	s_load_dwordx4 s[0:3], s[20:21], 0x4
	s_waitcnt lgkmcnt(0)
	s_load_dword s3, s[20:21], 0xc4
	s_cmp_lt_u32 s33, 2
	v_mul_hi_u32 v3, s1, v5
	v_add_u32_e32 v3, v5, v3
	v_lshrrev_b32_e32 v4, s2, v3
	v_mul_lo_u32 v3, v4, s0
	v_sub_u32_e32 v3, v5, v3
	s_waitcnt lgkmcnt(0)
	v_mul_lo_u32 v3, v3, s3
	s_cbranch_scc1 .LBB165_72
; %bb.71:
	s_load_dwordx4 s[0:3], s[20:21], 0x10
	s_waitcnt lgkmcnt(0)
	s_load_dword s3, s[20:21], 0xc8
	v_mul_hi_u32 v5, s1, v4
	v_add_u32_e32 v5, v4, v5
	v_lshrrev_b32_e32 v5, s2, v5
	v_mul_lo_u32 v5, v5, s0
	v_sub_u32_e32 v4, v4, v5
	s_waitcnt lgkmcnt(0)
	v_mad_u64_u32 v[3:4], s[0:1], v4, s3, v[3:4]
.LBB165_72:
	s_load_dword s2, s[20:21], 0x110
	s_load_dwordx2 s[0:1], s[20:21], 0x108
	s_waitcnt lgkmcnt(0)
	v_mov_b32_e32 v4, s2
	s_nop 0
	global_store_dword v0, v4, s[0:1]
	global_store_dword v1, v4, s[0:1]
	;; [unrolled: 1-line block ×4, first 2 shown]
	s_endpgm
.LBB165_73:
	v_mov_b32_e32 v0, 0
	s_branch .LBB165_79
.LBB165_74:
	v_mov_b32_e32 v0, 0
	s_branch .LBB165_95
.LBB165_75:
	v_mov_b32_e32 v0, 0
	s_mov_b32 s50, 0
	v_mov_b32_e32 v1, v3
.LBB165_76:
	s_and_b32 s4, s51, 3
	s_cmp_eq_u32 s4, 0
	s_cbranch_scc1 .LBB165_79
; %bb.77:
	s_lshl_b32 s0, s50, 2
	s_add_u32 s0, s20, s0
	s_addc_u32 s1, s21, 0
	s_add_u32 s0, s0, 0xc4
	s_addc_u32 s1, s1, 0
	s_mul_i32 s2, s50, 12
	s_add_u32 s2, s20, s2
	s_addc_u32 s3, s21, 0
.LBB165_78:                             ; =>This Inner Loop Header: Depth=1
	s_load_dwordx2 s[6:7], s[2:3], 0x4
	s_load_dword s5, s[2:3], 0xc
	s_add_u32 s2, s2, 12
	s_addc_u32 s3, s3, 0
	s_waitcnt lgkmcnt(0)
	v_mul_hi_u32 v2, s7, v1
	s_load_dword s7, s[0:1], 0x0
	s_add_u32 s0, s0, 4
	s_addc_u32 s1, s1, 0
	v_add_u32_e32 v2, v1, v2
	v_lshrrev_b32_e32 v2, s5, v2
	v_mul_lo_u32 v4, v2, s6
	s_add_i32 s4, s4, -1
	s_cmp_lg_u32 s4, 0
	v_sub_u32_e32 v1, v1, v4
	s_waitcnt lgkmcnt(0)
	v_mad_u64_u32 v[0:1], s[6:7], v1, s7, v[0:1]
	v_mov_b32_e32 v1, v2
	s_cbranch_scc1 .LBB165_78
.LBB165_79:
	s_cbranch_execnz .LBB165_82
.LBB165_80:
	s_waitcnt lgkmcnt(0)
	v_mul_hi_u32 v0, s9, v3
	s_andn2_b64 vcc, exec, s[34:35]
	v_add_u32_e32 v0, v3, v0
	v_lshrrev_b32_e32 v1, s10, v0
	v_mul_lo_u32 v0, v1, s8
	v_sub_u32_e32 v0, v3, v0
	v_mul_lo_u32 v0, v0, s28
	s_cbranch_vccnz .LBB165_82
; %bb.81:
	v_mul_hi_u32 v2, s30, v1
	v_add_u32_e32 v2, v1, v2
	v_lshrrev_b32_e32 v2, s31, v2
	v_mul_lo_u32 v2, v2, s11
	v_sub_u32_e32 v1, v1, v2
	v_mad_u64_u32 v[0:1], s[0:1], v1, s29, v[0:1]
.LBB165_82:
	s_waitcnt lgkmcnt(0)
	v_mov_b32_e32 v1, s47
	v_add_u32_e32 v3, 0x80, v3
	global_store_dword v0, v1, s[26:27]
	s_or_b64 exec, exec, s[40:41]
	v_cmp_gt_i32_e32 vcc, s48, v3
	s_and_saveexec_b64 s[40:41], vcc
	s_cbranch_execnz .LBB165_15
.LBB165_83:
	s_or_b64 exec, exec, s[40:41]
	v_cmp_gt_i32_e32 vcc, s48, v3
	s_and_saveexec_b64 s[40:41], vcc
	s_cbranch_execz .LBB165_99
.LBB165_84:
	s_andn2_b64 vcc, exec, s[22:23]
	s_cbranch_vccnz .LBB165_89
; %bb.85:
	s_andn2_b64 vcc, exec, s[38:39]
	s_cbranch_vccnz .LBB165_90
; %bb.86:
	s_add_i32 s51, s49, 1
	s_cmp_eq_u32 s46, 2
	s_cbranch_scc1 .LBB165_102
; %bb.87:
	s_and_b32 s50, s51, 28
	s_mov_b32 s52, 0
	v_mov_b32_e32 v0, 0
	s_mov_b64 s[42:43], s[20:21]
	s_mov_b64 s[44:45], s[36:37]
	v_mov_b32_e32 v1, v3
.LBB165_88:                             ; =>This Inner Loop Header: Depth=1
	s_load_dwordx8 s[0:7], s[42:43], 0x4
	s_load_dwordx4 s[12:15], s[42:43], 0x24
	s_load_dwordx4 s[16:19], s[44:45], 0x0
	s_add_u32 s42, s42, 48
	s_addc_u32 s43, s43, 0
	s_waitcnt lgkmcnt(0)
	v_mul_hi_u32 v2, s1, v1
	s_add_i32 s52, s52, 4
	s_add_u32 s44, s44, 16
	s_addc_u32 s45, s45, 0
	v_add_u32_e32 v2, v1, v2
	v_lshrrev_b32_e32 v2, s2, v2
	v_mul_lo_u32 v4, v2, s0
	v_mul_hi_u32 v5, s4, v2
	s_cmp_eq_u32 s50, s52
	v_sub_u32_e32 v1, v1, v4
	v_add_u32_e32 v4, v2, v5
	v_lshrrev_b32_e32 v4, s5, v4
	v_mul_lo_u32 v5, v1, s16
	v_mul_hi_u32 v1, s7, v4
	v_mul_lo_u32 v7, v4, s3
	v_add_u32_e32 v1, v4, v1
	v_lshrrev_b32_e32 v6, s12, v1
	v_mul_hi_u32 v1, s14, v6
	v_sub_u32_e32 v2, v2, v7
	v_mul_lo_u32 v7, v6, s6
	v_mul_lo_u32 v2, v2, s17
	v_add_u32_e32 v1, v6, v1
	v_lshrrev_b32_e32 v1, s15, v1
	v_mul_lo_u32 v8, v1, s13
	v_sub_u32_e32 v4, v4, v7
	v_mul_lo_u32 v4, v4, s18
	v_add3_u32 v0, v5, v0, v2
	v_sub_u32_e32 v6, v6, v8
	v_mul_lo_u32 v6, v6, s19
	v_add3_u32 v0, v4, v0, v6
	s_cbranch_scc0 .LBB165_88
	s_branch .LBB165_103
.LBB165_89:
                                        ; implicit-def: $vgpr0
	s_branch .LBB165_107
.LBB165_90:
	v_mov_b32_e32 v0, 0
	s_branch .LBB165_106
.LBB165_91:
	v_mov_b32_e32 v0, 0
	s_mov_b32 s50, 0
	v_mov_b32_e32 v1, v3
.LBB165_92:
	s_and_b32 s4, s51, 3
	s_cmp_eq_u32 s4, 0
	s_cbranch_scc1 .LBB165_95
; %bb.93:
	s_lshl_b32 s0, s50, 2
	s_add_u32 s0, s20, s0
	s_addc_u32 s1, s21, 0
	s_add_u32 s0, s0, 0xc4
	s_addc_u32 s1, s1, 0
	s_mul_i32 s2, s50, 12
	s_add_u32 s2, s20, s2
	s_addc_u32 s3, s21, 0
.LBB165_94:                             ; =>This Inner Loop Header: Depth=1
	s_load_dwordx2 s[6:7], s[2:3], 0x4
	s_load_dword s5, s[2:3], 0xc
	s_add_u32 s2, s2, 12
	s_addc_u32 s3, s3, 0
	s_waitcnt lgkmcnt(0)
	v_mul_hi_u32 v2, s7, v1
	s_load_dword s7, s[0:1], 0x0
	s_add_u32 s0, s0, 4
	s_addc_u32 s1, s1, 0
	v_add_u32_e32 v2, v1, v2
	v_lshrrev_b32_e32 v2, s5, v2
	v_mul_lo_u32 v4, v2, s6
	s_add_i32 s4, s4, -1
	s_cmp_lg_u32 s4, 0
	v_sub_u32_e32 v1, v1, v4
	s_waitcnt lgkmcnt(0)
	v_mad_u64_u32 v[0:1], s[6:7], v1, s7, v[0:1]
	v_mov_b32_e32 v1, v2
	s_cbranch_scc1 .LBB165_94
.LBB165_95:
	s_cbranch_execnz .LBB165_98
.LBB165_96:
	s_waitcnt lgkmcnt(0)
	v_mul_hi_u32 v0, s9, v3
	s_andn2_b64 vcc, exec, s[34:35]
	v_add_u32_e32 v0, v3, v0
	v_lshrrev_b32_e32 v1, s10, v0
	v_mul_lo_u32 v0, v1, s8
	v_sub_u32_e32 v0, v3, v0
	v_mul_lo_u32 v0, v0, s28
	s_cbranch_vccnz .LBB165_98
; %bb.97:
	v_mul_hi_u32 v2, s30, v1
	v_add_u32_e32 v2, v1, v2
	v_lshrrev_b32_e32 v2, s31, v2
	v_mul_lo_u32 v2, v2, s11
	v_sub_u32_e32 v1, v1, v2
	v_mad_u64_u32 v[0:1], s[0:1], v1, s29, v[0:1]
.LBB165_98:
	s_waitcnt lgkmcnt(0)
	v_mov_b32_e32 v1, s47
	v_add_u32_e32 v3, 0x80, v3
	global_store_dword v0, v1, s[26:27]
	s_or_b64 exec, exec, s[40:41]
	v_cmp_gt_i32_e32 vcc, s48, v3
	s_and_saveexec_b64 s[40:41], vcc
	s_cbranch_execnz .LBB165_84
.LBB165_99:
	s_or_b64 exec, exec, s[40:41]
	v_cmp_gt_i32_e32 vcc, s48, v3
	s_and_saveexec_b64 s[40:41], vcc
	s_cbranch_execnz .LBB165_110
.LBB165_100:
	s_or_b64 exec, exec, s[40:41]
                                        ; implicit-def: $vgpr5
                                        ; implicit-def: $vgpr3
	s_andn2_saveexec_b64 s[0:1], s[24:25]
	s_cbranch_execnz .LBB165_8
.LBB165_101:
	s_endpgm
.LBB165_102:
	v_mov_b32_e32 v0, 0
	s_mov_b32 s50, 0
	v_mov_b32_e32 v1, v3
.LBB165_103:
	s_and_b32 s4, s51, 3
	s_cmp_eq_u32 s4, 0
	s_cbranch_scc1 .LBB165_106
; %bb.104:
	s_lshl_b32 s0, s50, 2
	s_add_u32 s0, s20, s0
	s_addc_u32 s1, s21, 0
	s_add_u32 s0, s0, 0xc4
	s_addc_u32 s1, s1, 0
	s_mul_i32 s2, s50, 12
	s_add_u32 s2, s20, s2
	s_addc_u32 s3, s21, 0
.LBB165_105:                            ; =>This Inner Loop Header: Depth=1
	s_load_dwordx2 s[6:7], s[2:3], 0x4
	s_load_dword s5, s[2:3], 0xc
	s_add_u32 s2, s2, 12
	s_addc_u32 s3, s3, 0
	s_waitcnt lgkmcnt(0)
	v_mul_hi_u32 v2, s7, v1
	s_load_dword s7, s[0:1], 0x0
	s_add_u32 s0, s0, 4
	s_addc_u32 s1, s1, 0
	v_add_u32_e32 v2, v1, v2
	v_lshrrev_b32_e32 v2, s5, v2
	v_mul_lo_u32 v4, v2, s6
	s_add_i32 s4, s4, -1
	s_cmp_lg_u32 s4, 0
	v_sub_u32_e32 v1, v1, v4
	s_waitcnt lgkmcnt(0)
	v_mad_u64_u32 v[0:1], s[6:7], v1, s7, v[0:1]
	v_mov_b32_e32 v1, v2
	s_cbranch_scc1 .LBB165_105
.LBB165_106:
	s_cbranch_execnz .LBB165_109
.LBB165_107:
	s_waitcnt lgkmcnt(0)
	v_mul_hi_u32 v0, s9, v3
	s_andn2_b64 vcc, exec, s[34:35]
	v_add_u32_e32 v0, v3, v0
	v_lshrrev_b32_e32 v1, s10, v0
	v_mul_lo_u32 v0, v1, s8
	v_sub_u32_e32 v0, v3, v0
	v_mul_lo_u32 v0, v0, s28
	s_cbranch_vccnz .LBB165_109
; %bb.108:
	v_mul_hi_u32 v2, s30, v1
	v_add_u32_e32 v2, v1, v2
	v_lshrrev_b32_e32 v2, s31, v2
	v_mul_lo_u32 v2, v2, s11
	v_sub_u32_e32 v1, v1, v2
	v_mad_u64_u32 v[0:1], s[0:1], v1, s29, v[0:1]
.LBB165_109:
	s_waitcnt lgkmcnt(0)
	v_mov_b32_e32 v1, s47
	v_add_u32_e32 v3, 0x80, v3
	global_store_dword v0, v1, s[26:27]
	s_or_b64 exec, exec, s[40:41]
	v_cmp_gt_i32_e32 vcc, s48, v3
	s_and_saveexec_b64 s[40:41], vcc
	s_cbranch_execz .LBB165_100
.LBB165_110:
	s_andn2_b64 vcc, exec, s[22:23]
	s_cbranch_vccnz .LBB165_115
; %bb.111:
	s_andn2_b64 vcc, exec, s[38:39]
	s_cbranch_vccnz .LBB165_116
; %bb.112:
	s_add_i32 s49, s49, 1
	s_cmp_eq_u32 s46, 2
	s_cbranch_scc1 .LBB165_117
; %bb.113:
	s_and_b32 s42, s49, 28
	s_mov_b32 s43, 0
	v_mov_b32_e32 v0, 0
	s_mov_b64 s[38:39], s[20:21]
	v_mov_b32_e32 v1, v3
.LBB165_114:                            ; =>This Inner Loop Header: Depth=1
	s_load_dwordx8 s[0:7], s[38:39], 0x4
	s_load_dwordx4 s[12:15], s[38:39], 0x24
	s_load_dwordx4 s[16:19], s[36:37], 0x0
	s_add_u32 s38, s38, 48
	s_addc_u32 s39, s39, 0
	s_waitcnt lgkmcnt(0)
	v_mul_hi_u32 v2, s1, v1
	s_add_i32 s43, s43, 4
	s_add_u32 s36, s36, 16
	s_addc_u32 s37, s37, 0
	v_add_u32_e32 v2, v1, v2
	v_lshrrev_b32_e32 v2, s2, v2
	v_mul_lo_u32 v4, v2, s0
	v_mul_hi_u32 v5, s4, v2
	s_cmp_eq_u32 s42, s43
	v_sub_u32_e32 v1, v1, v4
	v_add_u32_e32 v4, v2, v5
	v_lshrrev_b32_e32 v4, s5, v4
	v_mul_lo_u32 v5, v1, s16
	v_mul_hi_u32 v1, s7, v4
	v_mul_lo_u32 v7, v4, s3
	v_add_u32_e32 v1, v4, v1
	v_lshrrev_b32_e32 v6, s12, v1
	v_mul_hi_u32 v1, s14, v6
	v_sub_u32_e32 v2, v2, v7
	v_mul_lo_u32 v7, v6, s6
	v_mul_lo_u32 v2, v2, s17
	v_add_u32_e32 v1, v6, v1
	v_lshrrev_b32_e32 v1, s15, v1
	v_mul_lo_u32 v8, v1, s13
	v_sub_u32_e32 v4, v4, v7
	v_mul_lo_u32 v4, v4, s18
	v_add3_u32 v0, v5, v0, v2
	v_sub_u32_e32 v6, v6, v8
	v_mul_lo_u32 v6, v6, s19
	v_add3_u32 v0, v4, v0, v6
	s_cbranch_scc0 .LBB165_114
	s_branch .LBB165_118
.LBB165_115:
                                        ; implicit-def: $vgpr0
	s_branch .LBB165_122
.LBB165_116:
	v_mov_b32_e32 v0, 0
	s_branch .LBB165_121
.LBB165_117:
	v_mov_b32_e32 v0, 0
	s_mov_b32 s42, 0
	v_mov_b32_e32 v1, v3
.LBB165_118:
	s_and_b32 s4, s49, 3
	s_cmp_eq_u32 s4, 0
	s_cbranch_scc1 .LBB165_121
; %bb.119:
	s_lshl_b32 s0, s42, 2
	s_add_u32 s0, s20, s0
	s_addc_u32 s1, s21, 0
	s_add_u32 s0, s0, 0xc4
	s_addc_u32 s1, s1, 0
	s_mul_i32 s2, s42, 12
	s_add_u32 s2, s20, s2
	s_addc_u32 s3, s21, 0
.LBB165_120:                            ; =>This Inner Loop Header: Depth=1
	s_load_dwordx2 s[6:7], s[2:3], 0x4
	s_load_dword s5, s[2:3], 0xc
	s_add_u32 s2, s2, 12
	s_addc_u32 s3, s3, 0
	s_waitcnt lgkmcnt(0)
	v_mul_hi_u32 v2, s7, v1
	s_load_dword s7, s[0:1], 0x0
	s_add_u32 s0, s0, 4
	s_addc_u32 s1, s1, 0
	v_add_u32_e32 v2, v1, v2
	v_lshrrev_b32_e32 v2, s5, v2
	v_mul_lo_u32 v4, v2, s6
	s_add_i32 s4, s4, -1
	s_cmp_lg_u32 s4, 0
	v_sub_u32_e32 v1, v1, v4
	s_waitcnt lgkmcnt(0)
	v_mad_u64_u32 v[0:1], s[6:7], v1, s7, v[0:1]
	v_mov_b32_e32 v1, v2
	s_cbranch_scc1 .LBB165_120
.LBB165_121:
	s_cbranch_execnz .LBB165_124
.LBB165_122:
	s_waitcnt lgkmcnt(0)
	v_mul_hi_u32 v0, s9, v3
	s_andn2_b64 vcc, exec, s[34:35]
	v_add_u32_e32 v0, v3, v0
	v_lshrrev_b32_e32 v1, s10, v0
	v_mul_lo_u32 v0, v1, s8
	v_sub_u32_e32 v0, v3, v0
	v_mul_lo_u32 v0, v0, s28
	s_cbranch_vccnz .LBB165_124
; %bb.123:
	v_mul_hi_u32 v2, s30, v1
	v_add_u32_e32 v2, v1, v2
	v_lshrrev_b32_e32 v2, s31, v2
	v_mul_lo_u32 v2, v2, s11
	v_sub_u32_e32 v1, v1, v2
	v_mad_u64_u32 v[0:1], s[0:1], v1, s29, v[0:1]
.LBB165_124:
	s_waitcnt lgkmcnt(0)
	v_mov_b32_e32 v1, s47
	global_store_dword v0, v1, s[26:27]
	s_or_b64 exec, exec, s[40:41]
                                        ; implicit-def: $vgpr5
                                        ; implicit-def: $vgpr3
	s_andn2_saveexec_b64 s[0:1], s[24:25]
	s_cbranch_execz .LBB165_101
	s_branch .LBB165_8
	.section	.rodata,"a",@progbits
	.p2align	6, 0x0
	.amdhsa_kernel _ZN2at6native32elementwise_kernel_manual_unrollILi128ELi4EZNS0_22gpu_kernel_impl_nocastINS0_11FillFunctorIjEEEEvRNS_18TensorIteratorBaseERKT_EUlibE_EEviT1_
		.amdhsa_group_segment_fixed_size 0
		.amdhsa_private_segment_fixed_size 0
		.amdhsa_kernarg_size 288
		.amdhsa_user_sgpr_count 6
		.amdhsa_user_sgpr_private_segment_buffer 1
		.amdhsa_user_sgpr_dispatch_ptr 0
		.amdhsa_user_sgpr_queue_ptr 0
		.amdhsa_user_sgpr_kernarg_segment_ptr 1
		.amdhsa_user_sgpr_dispatch_id 0
		.amdhsa_user_sgpr_flat_scratch_init 0
		.amdhsa_user_sgpr_private_segment_size 0
		.amdhsa_uses_dynamic_stack 0
		.amdhsa_system_sgpr_private_segment_wavefront_offset 0
		.amdhsa_system_sgpr_workgroup_id_x 1
		.amdhsa_system_sgpr_workgroup_id_y 0
		.amdhsa_system_sgpr_workgroup_id_z 0
		.amdhsa_system_sgpr_workgroup_info 0
		.amdhsa_system_vgpr_workitem_id 0
		.amdhsa_next_free_vgpr 12
		.amdhsa_next_free_sgpr 53
		.amdhsa_reserve_vcc 1
		.amdhsa_reserve_flat_scratch 0
		.amdhsa_float_round_mode_32 0
		.amdhsa_float_round_mode_16_64 0
		.amdhsa_float_denorm_mode_32 3
		.amdhsa_float_denorm_mode_16_64 3
		.amdhsa_dx10_clamp 1
		.amdhsa_ieee_mode 1
		.amdhsa_fp16_overflow 0
		.amdhsa_exception_fp_ieee_invalid_op 0
		.amdhsa_exception_fp_denorm_src 0
		.amdhsa_exception_fp_ieee_div_zero 0
		.amdhsa_exception_fp_ieee_overflow 0
		.amdhsa_exception_fp_ieee_underflow 0
		.amdhsa_exception_fp_ieee_inexact 0
		.amdhsa_exception_int_div_zero 0
	.end_amdhsa_kernel
	.section	.text._ZN2at6native32elementwise_kernel_manual_unrollILi128ELi4EZNS0_22gpu_kernel_impl_nocastINS0_11FillFunctorIjEEEEvRNS_18TensorIteratorBaseERKT_EUlibE_EEviT1_,"axG",@progbits,_ZN2at6native32elementwise_kernel_manual_unrollILi128ELi4EZNS0_22gpu_kernel_impl_nocastINS0_11FillFunctorIjEEEEvRNS_18TensorIteratorBaseERKT_EUlibE_EEviT1_,comdat
.Lfunc_end165:
	.size	_ZN2at6native32elementwise_kernel_manual_unrollILi128ELi4EZNS0_22gpu_kernel_impl_nocastINS0_11FillFunctorIjEEEEvRNS_18TensorIteratorBaseERKT_EUlibE_EEviT1_, .Lfunc_end165-_ZN2at6native32elementwise_kernel_manual_unrollILi128ELi4EZNS0_22gpu_kernel_impl_nocastINS0_11FillFunctorIjEEEEvRNS_18TensorIteratorBaseERKT_EUlibE_EEviT1_
                                        ; -- End function
	.set _ZN2at6native32elementwise_kernel_manual_unrollILi128ELi4EZNS0_22gpu_kernel_impl_nocastINS0_11FillFunctorIjEEEEvRNS_18TensorIteratorBaseERKT_EUlibE_EEviT1_.num_vgpr, 12
	.set _ZN2at6native32elementwise_kernel_manual_unrollILi128ELi4EZNS0_22gpu_kernel_impl_nocastINS0_11FillFunctorIjEEEEvRNS_18TensorIteratorBaseERKT_EUlibE_EEviT1_.num_agpr, 0
	.set _ZN2at6native32elementwise_kernel_manual_unrollILi128ELi4EZNS0_22gpu_kernel_impl_nocastINS0_11FillFunctorIjEEEEvRNS_18TensorIteratorBaseERKT_EUlibE_EEviT1_.numbered_sgpr, 53
	.set _ZN2at6native32elementwise_kernel_manual_unrollILi128ELi4EZNS0_22gpu_kernel_impl_nocastINS0_11FillFunctorIjEEEEvRNS_18TensorIteratorBaseERKT_EUlibE_EEviT1_.num_named_barrier, 0
	.set _ZN2at6native32elementwise_kernel_manual_unrollILi128ELi4EZNS0_22gpu_kernel_impl_nocastINS0_11FillFunctorIjEEEEvRNS_18TensorIteratorBaseERKT_EUlibE_EEviT1_.private_seg_size, 0
	.set _ZN2at6native32elementwise_kernel_manual_unrollILi128ELi4EZNS0_22gpu_kernel_impl_nocastINS0_11FillFunctorIjEEEEvRNS_18TensorIteratorBaseERKT_EUlibE_EEviT1_.uses_vcc, 1
	.set _ZN2at6native32elementwise_kernel_manual_unrollILi128ELi4EZNS0_22gpu_kernel_impl_nocastINS0_11FillFunctorIjEEEEvRNS_18TensorIteratorBaseERKT_EUlibE_EEviT1_.uses_flat_scratch, 0
	.set _ZN2at6native32elementwise_kernel_manual_unrollILi128ELi4EZNS0_22gpu_kernel_impl_nocastINS0_11FillFunctorIjEEEEvRNS_18TensorIteratorBaseERKT_EUlibE_EEviT1_.has_dyn_sized_stack, 0
	.set _ZN2at6native32elementwise_kernel_manual_unrollILi128ELi4EZNS0_22gpu_kernel_impl_nocastINS0_11FillFunctorIjEEEEvRNS_18TensorIteratorBaseERKT_EUlibE_EEviT1_.has_recursion, 0
	.set _ZN2at6native32elementwise_kernel_manual_unrollILi128ELi4EZNS0_22gpu_kernel_impl_nocastINS0_11FillFunctorIjEEEEvRNS_18TensorIteratorBaseERKT_EUlibE_EEviT1_.has_indirect_call, 0
	.section	.AMDGPU.csdata,"",@progbits
; Kernel info:
; codeLenInByte = 5004
; TotalNumSgprs: 57
; NumVgprs: 12
; ScratchSize: 0
; MemoryBound: 0
; FloatMode: 240
; IeeeMode: 1
; LDSByteSize: 0 bytes/workgroup (compile time only)
; SGPRBlocks: 7
; VGPRBlocks: 2
; NumSGPRsForWavesPerEU: 57
; NumVGPRsForWavesPerEU: 12
; Occupancy: 10
; WaveLimiterHint : 1
; COMPUTE_PGM_RSRC2:SCRATCH_EN: 0
; COMPUTE_PGM_RSRC2:USER_SGPR: 6
; COMPUTE_PGM_RSRC2:TRAP_HANDLER: 0
; COMPUTE_PGM_RSRC2:TGID_X_EN: 1
; COMPUTE_PGM_RSRC2:TGID_Y_EN: 0
; COMPUTE_PGM_RSRC2:TGID_Z_EN: 0
; COMPUTE_PGM_RSRC2:TIDIG_COMP_CNT: 0
	.section	.text._ZN2at6native32elementwise_kernel_manual_unrollILi128ELi4EZNS0_15gpu_kernel_implINS0_11FillFunctorIjEEEEvRNS_18TensorIteratorBaseERKT_EUlibE_EEviT1_,"axG",@progbits,_ZN2at6native32elementwise_kernel_manual_unrollILi128ELi4EZNS0_15gpu_kernel_implINS0_11FillFunctorIjEEEEvRNS_18TensorIteratorBaseERKT_EUlibE_EEviT1_,comdat
	.protected	_ZN2at6native32elementwise_kernel_manual_unrollILi128ELi4EZNS0_15gpu_kernel_implINS0_11FillFunctorIjEEEEvRNS_18TensorIteratorBaseERKT_EUlibE_EEviT1_ ; -- Begin function _ZN2at6native32elementwise_kernel_manual_unrollILi128ELi4EZNS0_15gpu_kernel_implINS0_11FillFunctorIjEEEEvRNS_18TensorIteratorBaseERKT_EUlibE_EEviT1_
	.globl	_ZN2at6native32elementwise_kernel_manual_unrollILi128ELi4EZNS0_15gpu_kernel_implINS0_11FillFunctorIjEEEEvRNS_18TensorIteratorBaseERKT_EUlibE_EEviT1_
	.p2align	8
	.type	_ZN2at6native32elementwise_kernel_manual_unrollILi128ELi4EZNS0_15gpu_kernel_implINS0_11FillFunctorIjEEEEvRNS_18TensorIteratorBaseERKT_EUlibE_EEviT1_,@function
_ZN2at6native32elementwise_kernel_manual_unrollILi128ELi4EZNS0_15gpu_kernel_implINS0_11FillFunctorIjEEEEvRNS_18TensorIteratorBaseERKT_EUlibE_EEviT1_: ; @_ZN2at6native32elementwise_kernel_manual_unrollILi128ELi4EZNS0_15gpu_kernel_implINS0_11FillFunctorIjEEEEvRNS_18TensorIteratorBaseERKT_EUlibE_EEviT1_
; %bb.0:
	s_load_dwordx4 s[20:23], s[4:5], 0x8
	s_load_dword s50, s[4:5], 0x0
	s_load_dword s33, s[4:5], 0x18
	v_lshl_or_b32 v22, s6, 9, v0
	v_or_b32_e32 v0, 0x180, v22
	s_mov_b64 s[18:19], 0
	s_waitcnt lgkmcnt(0)
	v_cmp_le_i32_e32 vcc, s50, v0
	s_mov_b64 s[0:1], 0
	s_and_saveexec_b64 s[2:3], vcc
	s_xor_b64 s[24:25], exec, s[2:3]
	s_cbranch_execz .LBB166_404
; %bb.1:
	v_cvt_f32_u32_e32 v4, s23
	s_movk_i32 s0, 0xff
	s_mov_b32 s2, 0x47800000
	v_mov_b32_e32 v3, 0x7e
	v_and_b32_e32 v1, 0x400000, v4
	v_lshrrev_b32_e32 v0, 23, v4
	v_cmp_ne_u32_e32 vcc, 0, v1
	v_and_b32_e32 v1, 0x3fffff, v4
	v_or_b32_e32 v1, v0, v1
	v_cmp_eq_u32_e64 s[16:17], s0, v0
	v_cmp_ne_u32_e64 s[0:1], 0, v1
	s_and_b64 s[0:1], vcc, s[0:1]
	v_cndmask_b32_e64 v1, 0, 1, s[0:1]
	s_mov_b32 s0, 0x43800000
	v_cmp_gt_u32_e64 s[14:15], s0, v4
	s_mov_b32 s0, 0x3bffffff
	v_add_f32_e32 v20, 0x46000000, v4
	v_add_u32_e32 v21, v0, v1
	v_cmp_lt_u32_e64 s[12:13], s0, v4
	v_bfe_u32 v0, v4, 20, 1
	v_readfirstlane_b32 s0, v20
	v_add_u32_e32 v0, v4, v0
	s_and_b32 s0, s0, 0xff
	v_cmp_gt_u32_e64 s[10:11], s2, v4
	s_mov_b32 s2, 0x37ffffff
	v_add_f32_e32 v17, 0x42800000, v4
	v_add_u32_e32 v1, 0x487ffff, v0
	s_cmp_lg_u32 s0, 0
	v_cmp_lt_u32_e64 s[8:9], s2, v4
	v_readfirstlane_b32 s2, v17
	v_lshrrev_b32_e32 v19, 20, v1
	s_cselect_b64 s[30:31], -1, 0
	v_bfe_u32 v1, v4, 21, 1
	s_and_b32 s2, s2, 0xff
	v_add_u32_e32 v1, v4, v1
	s_cmp_lg_u32 s2, 0
	s_mov_b32 s2, 0x43efffff
	v_add_u32_e32 v2, 0x88fffff, v1
	v_cmp_lt_u32_e64 s[4:5], s2, v4
	s_mov_b32 s2, 0x3c800000
	v_add_u32_e32 v0, 0x407ffff, v0
	v_lshrrev_b32_e32 v16, 21, v2
	v_cmp_gt_u32_e64 s[6:7], s2, v4
	v_lshrrev_b32_e32 v2, 20, v0
	v_and_b32_e32 v0, 0xff00000, v0
	s_mov_b32 s2, 0x7f00000
	v_cmp_ne_u32_e32 vcc, s2, v0
	v_add_u32_e32 v0, 0x80fffff, v1
	s_mov_b32 s34, 0x7f800000
	v_cndmask_b32_e32 v14, v3, v2, vcc
	v_lshrrev_b32_e32 v11, 21, v0
	v_mov_b32_e32 v0, 0x7f
	v_cmp_lt_u32_e32 vcc, s34, v4
	v_mov_b32_e32 v1, 0x7c
	v_cndmask_b32_e32 v18, v3, v0, vcc
	v_cndmask_b32_e32 v13, v1, v0, vcc
	v_bfe_u32 v0, v4, 16, 1
	v_add_u32_e32 v0, v4, v0
	v_add_u32_e32 v0, 0x7fff, v0
	v_lshrrev_b32_e32 v10, 16, v0
	v_cvt_f64_u32_e32 v[0:1], s23
	v_cvt_f16_f32_e32 v8, v4
	s_cselect_b64 s[28:29], -1, 0
	s_cmp_lg_u32 s23, 0
	s_mov_b32 s0, 0x477fffff
	s_mov_b32 s2, 0x38800000
	s_cselect_b64 s[36:37], -1, 0
	s_mov_b32 s26, s23
	s_mov_b32 s27, 0
	v_cmp_lt_u32_e64 s[0:1], s0, v4
	v_add_f32_e32 v15, 0x46800000, v4
	v_cmp_gt_u32_e64 s[2:3], s2, v4
	v_add_f32_e32 v12, 0x43000000, v4
	v_cmp_gt_i32_e32 vcc, s50, v22
	s_mov_b64 s[38:39], -1
	s_mov_b64 s[40:41], 0
	s_mov_b64 s[34:35], 0
	v_cndmask_b32_e64 v9, 0, 1, s[36:37]
	s_and_saveexec_b64 s[36:37], vcc
	s_cbranch_execz .LBB166_100
; %bb.2:
	v_mul_lo_u32 v2, v22, s22
	v_mov_b32_e32 v3, s21
	s_and_b32 s44, s33, 0xff
	s_cmp_lt_i32 s44, 11
	v_ashrrev_i32_e32 v5, 31, v2
	v_add_co_u32_e32 v6, vcc, s20, v2
	v_addc_co_u32_e32 v7, vcc, v3, v5, vcc
	s_cbranch_scc1 .LBB166_9
; %bb.3:
	s_and_b32 s45, 0xffff, s44
	s_cmp_gt_i32 s45, 25
	s_cbranch_scc0 .LBB166_12
; %bb.4:
	s_cmp_gt_i32 s45, 28
	s_cbranch_scc0 .LBB166_13
; %bb.5:
	;; [unrolled: 3-line block ×4, first 2 shown]
	s_mov_b64 s[42:43], 0
	s_mov_b64 s[34:35], -1
	s_cmp_eq_u32 s45, 46
	s_mov_b64 s[38:39], 0
	s_cbranch_scc0 .LBB166_16
; %bb.8:
	global_store_dword v[6:7], v10, off
	s_mov_b64 s[38:39], -1
	s_mov_b64 s[34:35], 0
	s_branch .LBB166_16
.LBB166_9:
	s_mov_b64 s[38:39], 0
	s_cbranch_execnz .LBB166_60
.LBB166_10:
	s_andn2_b64 vcc, exec, s[38:39]
	s_cbranch_vccnz .LBB166_98
.LBB166_11:
	v_add_u32_e32 v22, 0x80, v22
	s_mov_b64 s[38:39], -1
	s_branch .LBB166_99
.LBB166_12:
	s_mov_b64 s[38:39], 0
	s_cbranch_execnz .LBB166_38
	s_branch .LBB166_59
.LBB166_13:
	s_mov_b64 s[42:43], -1
	s_mov_b64 s[38:39], 0
	s_branch .LBB166_24
.LBB166_14:
	s_mov_b64 s[42:43], -1
	s_mov_b64 s[38:39], 0
	s_branch .LBB166_20
.LBB166_15:
	s_mov_b64 s[42:43], -1
	s_mov_b64 s[38:39], 0
.LBB166_16:
	s_and_b64 vcc, exec, s[42:43]
	s_cbranch_vccz .LBB166_19
; %bb.17:
	s_cmp_eq_u32 s45, 44
	s_mov_b64 s[34:35], -1
	s_cbranch_scc0 .LBB166_19
; %bb.18:
	v_mov_b32_e32 v2, 0xffff
	v_cndmask_b32_e64 v2, v21, v2, s[16:17]
	global_store_byte v[6:7], v2, off
	s_mov_b64 s[38:39], -1
	s_mov_b64 s[34:35], 0
.LBB166_19:
	s_mov_b64 s[42:43], 0
.LBB166_20:
	s_and_b64 vcc, exec, s[42:43]
	s_cbranch_vccz .LBB166_23
; %bb.21:
	s_cmp_eq_u32 s45, 29
	s_mov_b64 s[34:35], -1
	s_cbranch_scc0 .LBB166_23
; %bb.22:
	v_mov_b32_e32 v2, s26
	v_mov_b32_e32 v3, s27
	global_store_dwordx2 v[6:7], v[2:3], off
	s_mov_b64 s[38:39], -1
	s_mov_b64 s[34:35], 0
.LBB166_23:
	s_mov_b64 s[42:43], 0
.LBB166_24:
	s_and_b64 vcc, exec, s[42:43]
	s_cbranch_vccz .LBB166_37
; %bb.25:
	s_cmp_lt_i32 s45, 27
	s_mov_b64 s[38:39], -1
	s_cbranch_scc1 .LBB166_31
; %bb.26:
	s_cmp_gt_i32 s45, 27
	s_cbranch_scc0 .LBB166_28
; %bb.27:
	v_mov_b32_e32 v2, s23
	s_mov_b64 s[38:39], 0
	global_store_dword v[6:7], v2, off
.LBB166_28:
	s_andn2_b64 vcc, exec, s[38:39]
	s_cbranch_vccnz .LBB166_30
; %bb.29:
	v_mov_b32_e32 v2, s23
	global_store_short v[6:7], v2, off
.LBB166_30:
	s_mov_b64 s[38:39], 0
.LBB166_31:
	s_andn2_b64 vcc, exec, s[38:39]
	s_cbranch_vccnz .LBB166_36
; %bb.32:
	s_andn2_b64 vcc, exec, s[14:15]
	v_mov_b32_e32 v2, 0x80
	s_cbranch_vccnz .LBB166_35
; %bb.33:
	s_or_b64 s[38:39], s[12:13], s[30:31]
	s_andn2_b64 vcc, exec, s[38:39]
	v_mov_b32_e32 v2, 0
	s_cbranch_vccnz .LBB166_35
; %bb.34:
	v_cndmask_b32_e64 v2, v20, v19, s[12:13]
.LBB166_35:
	global_store_byte v[6:7], v2, off
.LBB166_36:
	s_mov_b64 s[38:39], -1
.LBB166_37:
	s_branch .LBB166_59
.LBB166_38:
	s_cmp_gt_i32 s45, 22
	s_mov_b64 s[42:43], -1
	s_cbranch_scc0 .LBB166_51
; %bb.39:
	s_cmp_lt_i32 s45, 24
	s_mov_b64 s[38:39], -1
	s_cbranch_scc1 .LBB166_48
; %bb.40:
	s_cmp_gt_i32 s45, 24
	s_cbranch_scc0 .LBB166_45
; %bb.41:
	s_andn2_b64 vcc, exec, s[10:11]
	v_mov_b32_e32 v2, 0x80
	s_cbranch_vccnz .LBB166_44
; %bb.42:
	s_or_b64 s[38:39], s[8:9], s[28:29]
	s_andn2_b64 vcc, exec, s[38:39]
	v_mov_b32_e32 v2, 0
	s_cbranch_vccnz .LBB166_44
; %bb.43:
	v_cndmask_b32_e64 v2, v17, v16, s[8:9]
.LBB166_44:
	s_mov_b64 s[38:39], 0
	global_store_byte v[6:7], v2, off
.LBB166_45:
	s_and_b64 vcc, exec, s[38:39]
	s_cbranch_vccz .LBB166_47
; %bb.46:
	v_cndmask_b32_e64 v2, v14, v15, s[6:7]
	v_cndmask_b32_e64 v2, v2, v18, s[4:5]
	global_store_byte v[6:7], v2, off
.LBB166_47:
	s_mov_b64 s[38:39], 0
.LBB166_48:
	s_andn2_b64 vcc, exec, s[38:39]
	s_cbranch_vccnz .LBB166_50
; %bb.49:
	v_cndmask_b32_e64 v2, v11, v12, s[2:3]
	v_cndmask_b32_e64 v2, v2, v13, s[0:1]
	global_store_byte v[6:7], v2, off
.LBB166_50:
	s_mov_b64 s[42:43], 0
	s_mov_b64 s[38:39], -1
.LBB166_51:
	s_andn2_b64 vcc, exec, s[42:43]
	s_cbranch_vccnz .LBB166_59
; %bb.52:
	s_cmp_gt_i32 s45, 14
	s_mov_b64 s[42:43], -1
	s_cbranch_scc0 .LBB166_56
; %bb.53:
	s_cmp_eq_u32 s45, 15
	s_mov_b64 s[34:35], -1
	s_cbranch_scc0 .LBB166_55
; %bb.54:
	global_store_short v[6:7], v10, off
	s_mov_b64 s[38:39], -1
	s_mov_b64 s[34:35], 0
.LBB166_55:
	s_mov_b64 s[42:43], 0
.LBB166_56:
	s_and_b64 vcc, exec, s[42:43]
	s_cbranch_vccz .LBB166_59
; %bb.57:
	s_cmp_eq_u32 s45, 11
	s_mov_b64 s[34:35], -1
	s_cbranch_scc0 .LBB166_59
; %bb.58:
	s_mov_b64 s[38:39], -1
	s_mov_b64 s[34:35], 0
	global_store_byte v[6:7], v9, off
.LBB166_59:
	s_branch .LBB166_10
.LBB166_60:
	s_and_b32 s42, 0xffff, s44
	s_cmp_lt_i32 s42, 5
	s_mov_b64 s[38:39], -1
	s_cbranch_scc1 .LBB166_81
; %bb.61:
	s_cmp_lt_i32 s42, 8
	s_cbranch_scc1 .LBB166_71
; %bb.62:
	s_cmp_lt_i32 s42, 9
	s_cbranch_scc1 .LBB166_68
; %bb.63:
	s_cmp_gt_i32 s42, 9
	s_cbranch_scc0 .LBB166_65
; %bb.64:
	v_mov_b32_e32 v2, 0
	v_mov_b32_e32 v3, v2
	global_store_dwordx4 v[6:7], v[0:3], off
	s_mov_b64 s[38:39], 0
.LBB166_65:
	s_andn2_b64 vcc, exec, s[38:39]
	s_cbranch_vccnz .LBB166_67
; %bb.66:
	v_mov_b32_e32 v5, 0
	global_store_dwordx2 v[6:7], v[4:5], off
.LBB166_67:
	s_mov_b64 s[38:39], 0
.LBB166_68:
	s_andn2_b64 vcc, exec, s[38:39]
	s_cbranch_vccnz .LBB166_70
; %bb.69:
	global_store_dword v[6:7], v8, off
.LBB166_70:
	s_mov_b64 s[38:39], 0
.LBB166_71:
	s_andn2_b64 vcc, exec, s[38:39]
	s_cbranch_vccnz .LBB166_80
; %bb.72:
	s_cmp_lt_i32 s42, 6
	s_mov_b64 s[38:39], -1
	s_cbranch_scc1 .LBB166_78
; %bb.73:
	s_cmp_gt_i32 s42, 6
	s_cbranch_scc0 .LBB166_75
; %bb.74:
	global_store_dwordx2 v[6:7], v[0:1], off
	s_mov_b64 s[38:39], 0
.LBB166_75:
	s_andn2_b64 vcc, exec, s[38:39]
	s_cbranch_vccnz .LBB166_77
; %bb.76:
	global_store_dword v[6:7], v4, off
.LBB166_77:
	s_mov_b64 s[38:39], 0
.LBB166_78:
	s_andn2_b64 vcc, exec, s[38:39]
	s_cbranch_vccnz .LBB166_80
; %bb.79:
	global_store_short v[6:7], v8, off
.LBB166_80:
	s_mov_b64 s[38:39], 0
.LBB166_81:
	s_andn2_b64 vcc, exec, s[38:39]
	s_cbranch_vccnz .LBB166_97
; %bb.82:
	s_cmp_lt_i32 s42, 2
	s_mov_b64 s[38:39], -1
	s_cbranch_scc1 .LBB166_92
; %bb.83:
	s_cmp_lt_i32 s42, 3
	s_cbranch_scc1 .LBB166_89
; %bb.84:
	s_cmp_gt_i32 s42, 3
	s_cbranch_scc0 .LBB166_86
; %bb.85:
	v_mov_b32_e32 v2, s26
	v_mov_b32_e32 v3, s27
	global_store_dwordx2 v[6:7], v[2:3], off
	s_mov_b64 s[38:39], 0
.LBB166_86:
	s_andn2_b64 vcc, exec, s[38:39]
	s_cbranch_vccnz .LBB166_88
; %bb.87:
	v_mov_b32_e32 v2, s23
	global_store_dword v[6:7], v2, off
.LBB166_88:
	s_mov_b64 s[38:39], 0
.LBB166_89:
	s_andn2_b64 vcc, exec, s[38:39]
	s_cbranch_vccnz .LBB166_91
; %bb.90:
	v_mov_b32_e32 v2, s23
	global_store_short v[6:7], v2, off
.LBB166_91:
	s_mov_b64 s[38:39], 0
.LBB166_92:
	s_andn2_b64 vcc, exec, s[38:39]
	s_cbranch_vccnz .LBB166_97
; %bb.93:
	s_cmp_gt_i32 s42, 0
	s_mov_b64 s[38:39], -1
	s_cbranch_scc0 .LBB166_95
; %bb.94:
	v_mov_b32_e32 v2, s23
	global_store_byte v[6:7], v2, off
	s_mov_b64 s[38:39], 0
.LBB166_95:
	s_andn2_b64 vcc, exec, s[38:39]
	s_cbranch_vccnz .LBB166_97
; %bb.96:
	v_mov_b32_e32 v2, s23
	global_store_byte v[6:7], v2, off
.LBB166_97:
	s_branch .LBB166_11
.LBB166_98:
	s_mov_b64 s[38:39], 0
                                        ; implicit-def: $vgpr22
.LBB166_99:
	s_and_b64 s[34:35], s[34:35], exec
	s_orn2_b64 s[38:39], s[38:39], exec
.LBB166_100:
	s_or_b64 exec, exec, s[36:37]
	s_mov_b64 s[42:43], 0
                                        ; implicit-def: $sgpr54
                                        ; implicit-def: $vgpr6_vgpr7
	s_and_saveexec_b64 s[36:37], s[38:39]
	s_cbranch_execz .LBB166_109
; %bb.101:
	v_cmp_gt_i32_e32 vcc, s50, v22
	s_mov_b64 s[44:45], -1
	s_mov_b64 s[38:39], s[34:35]
	s_and_saveexec_b64 s[40:41], vcc
	s_cbranch_execz .LBB166_204
; %bb.102:
	v_mul_lo_u32 v2, v22, s22
	v_mov_b32_e32 v3, s21
	s_and_b32 s46, s33, 0xff
	s_cmp_lt_i32 s46, 11
	v_ashrrev_i32_e32 v5, 31, v2
	v_add_co_u32_e32 v6, vcc, s20, v2
	v_addc_co_u32_e32 v7, vcc, v3, v5, vcc
	s_cbranch_scc1 .LBB166_112
; %bb.103:
	s_and_b32 s47, 0xffff, s46
	s_cmp_gt_i32 s47, 25
	s_cbranch_scc0 .LBB166_115
; %bb.104:
	s_cmp_gt_i32 s47, 28
	s_cbranch_scc0 .LBB166_116
; %bb.105:
	;; [unrolled: 3-line block ×4, first 2 shown]
	s_mov_b64 s[44:45], 0
	s_mov_b64 s[38:39], -1
	s_cmp_eq_u32 s47, 46
	s_cbranch_scc0 .LBB166_119
; %bb.108:
	global_store_dword v[6:7], v10, off
	s_mov_b64 s[42:43], -1
	s_mov_b64 s[38:39], 0
	s_branch .LBB166_119
.LBB166_109:
	s_or_b64 exec, exec, s[36:37]
	s_mov_b64 s[0:1], 0
	s_and_saveexec_b64 s[2:3], s[34:35]
	s_cbranch_execnz .LBB166_364
.LBB166_110:
	s_or_b64 exec, exec, s[2:3]
	s_and_saveexec_b64 s[2:3], s[40:41]
	s_xor_b64 s[2:3], exec, s[2:3]
	s_cbranch_execz .LBB166_365
.LBB166_111:
	global_store_byte v[6:7], v9, off
	s_or_b64 exec, exec, s[2:3]
	s_and_saveexec_b64 s[2:3], s[42:43]
	s_xor_b64 s[2:3], exec, s[2:3]
	s_cbranch_execz .LBB166_403
	s_branch .LBB166_366
.LBB166_112:
	s_mov_b64 s[38:39], s[34:35]
	s_and_b64 vcc, exec, s[44:45]
	s_cbranch_vccnz .LBB166_164
.LBB166_113:
	s_andn2_b64 vcc, exec, s[42:43]
	s_cbranch_vccnz .LBB166_202
.LBB166_114:
	v_add_u32_e32 v22, 0x80, v22
	s_mov_b64 s[42:43], -1
	s_branch .LBB166_203
.LBB166_115:
	s_mov_b64 s[38:39], s[34:35]
	s_branch .LBB166_141
.LBB166_116:
	s_mov_b64 s[38:39], s[34:35]
	s_branch .LBB166_127
.LBB166_117:
	s_mov_b64 s[38:39], s[34:35]
	s_branch .LBB166_123
.LBB166_118:
	s_mov_b64 s[38:39], s[34:35]
.LBB166_119:
	s_and_b64 vcc, exec, s[44:45]
	s_cbranch_vccz .LBB166_122
; %bb.120:
	s_cmp_eq_u32 s47, 44
	s_mov_b64 s[38:39], -1
	s_cbranch_scc0 .LBB166_122
; %bb.121:
	v_mov_b32_e32 v2, 0xffff
	v_cndmask_b32_e64 v2, v21, v2, s[16:17]
	s_mov_b64 s[42:43], -1
	s_mov_b64 s[38:39], 0
	global_store_byte v[6:7], v2, off
.LBB166_122:
	s_mov_b64 s[44:45], 0
.LBB166_123:
	s_and_b64 vcc, exec, s[44:45]
	s_cbranch_vccz .LBB166_126
; %bb.124:
	s_cmp_eq_u32 s47, 29
	s_mov_b64 s[38:39], -1
	s_cbranch_scc0 .LBB166_126
; %bb.125:
	v_mov_b32_e32 v2, s26
	v_mov_b32_e32 v3, s27
	global_store_dwordx2 v[6:7], v[2:3], off
	s_mov_b64 s[42:43], -1
	s_mov_b64 s[38:39], 0
.LBB166_126:
	s_mov_b64 s[44:45], 0
.LBB166_127:
	s_and_b64 vcc, exec, s[44:45]
	s_cbranch_vccz .LBB166_140
; %bb.128:
	s_cmp_lt_i32 s47, 27
	s_mov_b64 s[42:43], -1
	s_cbranch_scc1 .LBB166_134
; %bb.129:
	s_cmp_gt_i32 s47, 27
	s_cbranch_scc0 .LBB166_131
; %bb.130:
	v_mov_b32_e32 v2, s23
	s_mov_b64 s[42:43], 0
	global_store_dword v[6:7], v2, off
.LBB166_131:
	s_andn2_b64 vcc, exec, s[42:43]
	s_cbranch_vccnz .LBB166_133
; %bb.132:
	v_mov_b32_e32 v2, s23
	global_store_short v[6:7], v2, off
.LBB166_133:
	s_mov_b64 s[42:43], 0
.LBB166_134:
	s_andn2_b64 vcc, exec, s[42:43]
	s_cbranch_vccnz .LBB166_139
; %bb.135:
	s_andn2_b64 vcc, exec, s[14:15]
	v_mov_b32_e32 v2, 0x80
	s_cbranch_vccnz .LBB166_138
; %bb.136:
	s_or_b64 s[42:43], s[12:13], s[30:31]
	s_andn2_b64 vcc, exec, s[42:43]
	v_mov_b32_e32 v2, 0
	s_cbranch_vccnz .LBB166_138
; %bb.137:
	v_cndmask_b32_e64 v2, v20, v19, s[12:13]
.LBB166_138:
	global_store_byte v[6:7], v2, off
.LBB166_139:
	s_mov_b64 s[42:43], -1
.LBB166_140:
	s_mov_b64 s[44:45], 0
.LBB166_141:
	s_and_b64 vcc, exec, s[44:45]
	s_cbranch_vccz .LBB166_163
; %bb.142:
	s_cmp_gt_i32 s47, 22
	s_mov_b64 s[44:45], -1
	s_cbranch_scc0 .LBB166_155
; %bb.143:
	s_cmp_lt_i32 s47, 24
	s_mov_b64 s[42:43], -1
	s_cbranch_scc1 .LBB166_152
; %bb.144:
	s_cmp_gt_i32 s47, 24
	s_cbranch_scc0 .LBB166_149
; %bb.145:
	s_andn2_b64 vcc, exec, s[10:11]
	v_mov_b32_e32 v2, 0x80
	s_cbranch_vccnz .LBB166_148
; %bb.146:
	s_or_b64 s[42:43], s[8:9], s[28:29]
	s_andn2_b64 vcc, exec, s[42:43]
	v_mov_b32_e32 v2, 0
	s_cbranch_vccnz .LBB166_148
; %bb.147:
	v_cndmask_b32_e64 v2, v17, v16, s[8:9]
.LBB166_148:
	s_mov_b64 s[42:43], 0
	global_store_byte v[6:7], v2, off
.LBB166_149:
	s_and_b64 vcc, exec, s[42:43]
	s_cbranch_vccz .LBB166_151
; %bb.150:
	v_cndmask_b32_e64 v2, v14, v15, s[6:7]
	v_cndmask_b32_e64 v2, v2, v18, s[4:5]
	global_store_byte v[6:7], v2, off
.LBB166_151:
	s_mov_b64 s[42:43], 0
.LBB166_152:
	s_andn2_b64 vcc, exec, s[42:43]
	s_cbranch_vccnz .LBB166_154
; %bb.153:
	v_cndmask_b32_e64 v2, v11, v12, s[2:3]
	v_cndmask_b32_e64 v2, v2, v13, s[0:1]
	global_store_byte v[6:7], v2, off
.LBB166_154:
	s_mov_b64 s[44:45], 0
	s_mov_b64 s[42:43], -1
.LBB166_155:
	s_andn2_b64 vcc, exec, s[44:45]
	s_cbranch_vccnz .LBB166_163
; %bb.156:
	s_cmp_gt_i32 s47, 14
	s_mov_b64 s[44:45], -1
	s_cbranch_scc0 .LBB166_160
; %bb.157:
	s_cmp_eq_u32 s47, 15
	s_mov_b64 s[38:39], -1
	s_cbranch_scc0 .LBB166_159
; %bb.158:
	global_store_short v[6:7], v10, off
	s_mov_b64 s[42:43], -1
	s_mov_b64 s[38:39], 0
.LBB166_159:
	s_mov_b64 s[44:45], 0
.LBB166_160:
	s_and_b64 vcc, exec, s[44:45]
	s_cbranch_vccz .LBB166_163
; %bb.161:
	s_cmp_eq_u32 s47, 11
	s_mov_b64 s[38:39], -1
	s_cbranch_scc0 .LBB166_163
; %bb.162:
	s_mov_b64 s[42:43], -1
	s_mov_b64 s[38:39], 0
	global_store_byte v[6:7], v9, off
.LBB166_163:
	s_branch .LBB166_113
.LBB166_164:
	s_and_b32 s44, 0xffff, s46
	s_cmp_lt_i32 s44, 5
	s_mov_b64 s[42:43], -1
	s_cbranch_scc1 .LBB166_185
; %bb.165:
	s_cmp_lt_i32 s44, 8
	s_cbranch_scc1 .LBB166_175
; %bb.166:
	s_cmp_lt_i32 s44, 9
	s_cbranch_scc1 .LBB166_172
; %bb.167:
	s_cmp_gt_i32 s44, 9
	s_cbranch_scc0 .LBB166_169
; %bb.168:
	v_mov_b32_e32 v2, 0
	v_mov_b32_e32 v3, v2
	s_mov_b64 s[42:43], 0
	global_store_dwordx4 v[6:7], v[0:3], off
.LBB166_169:
	s_andn2_b64 vcc, exec, s[42:43]
	s_cbranch_vccnz .LBB166_171
; %bb.170:
	v_mov_b32_e32 v5, 0
	global_store_dwordx2 v[6:7], v[4:5], off
.LBB166_171:
	s_mov_b64 s[42:43], 0
.LBB166_172:
	s_andn2_b64 vcc, exec, s[42:43]
	s_cbranch_vccnz .LBB166_174
; %bb.173:
	global_store_dword v[6:7], v8, off
.LBB166_174:
	s_mov_b64 s[42:43], 0
.LBB166_175:
	s_andn2_b64 vcc, exec, s[42:43]
	s_cbranch_vccnz .LBB166_184
; %bb.176:
	s_cmp_lt_i32 s44, 6
	s_mov_b64 s[42:43], -1
	s_cbranch_scc1 .LBB166_182
; %bb.177:
	s_cmp_gt_i32 s44, 6
	s_cbranch_scc0 .LBB166_179
; %bb.178:
	s_mov_b64 s[42:43], 0
	global_store_dwordx2 v[6:7], v[0:1], off
.LBB166_179:
	s_andn2_b64 vcc, exec, s[42:43]
	s_cbranch_vccnz .LBB166_181
; %bb.180:
	global_store_dword v[6:7], v4, off
.LBB166_181:
	s_mov_b64 s[42:43], 0
.LBB166_182:
	s_andn2_b64 vcc, exec, s[42:43]
	s_cbranch_vccnz .LBB166_184
; %bb.183:
	global_store_short v[6:7], v8, off
.LBB166_184:
	s_mov_b64 s[42:43], 0
.LBB166_185:
	s_andn2_b64 vcc, exec, s[42:43]
	s_cbranch_vccnz .LBB166_201
; %bb.186:
	s_cmp_lt_i32 s44, 2
	s_mov_b64 s[42:43], -1
	s_cbranch_scc1 .LBB166_196
; %bb.187:
	s_cmp_lt_i32 s44, 3
	s_cbranch_scc1 .LBB166_193
; %bb.188:
	s_cmp_gt_i32 s44, 3
	s_cbranch_scc0 .LBB166_190
; %bb.189:
	v_mov_b32_e32 v2, s26
	v_mov_b32_e32 v3, s27
	s_mov_b64 s[42:43], 0
	global_store_dwordx2 v[6:7], v[2:3], off
.LBB166_190:
	s_andn2_b64 vcc, exec, s[42:43]
	s_cbranch_vccnz .LBB166_192
; %bb.191:
	v_mov_b32_e32 v2, s23
	global_store_dword v[6:7], v2, off
.LBB166_192:
	s_mov_b64 s[42:43], 0
.LBB166_193:
	s_andn2_b64 vcc, exec, s[42:43]
	s_cbranch_vccnz .LBB166_195
; %bb.194:
	v_mov_b32_e32 v2, s23
	global_store_short v[6:7], v2, off
.LBB166_195:
	s_mov_b64 s[42:43], 0
.LBB166_196:
	s_andn2_b64 vcc, exec, s[42:43]
	s_cbranch_vccnz .LBB166_201
; %bb.197:
	s_cmp_gt_i32 s44, 0
	s_mov_b64 s[42:43], -1
	s_cbranch_scc0 .LBB166_199
; %bb.198:
	v_mov_b32_e32 v2, s23
	s_mov_b64 s[42:43], 0
	global_store_byte v[6:7], v2, off
.LBB166_199:
	s_andn2_b64 vcc, exec, s[42:43]
	s_cbranch_vccnz .LBB166_201
; %bb.200:
	v_mov_b32_e32 v2, s23
	global_store_byte v[6:7], v2, off
.LBB166_201:
	s_branch .LBB166_114
.LBB166_202:
	s_mov_b64 s[42:43], 0
                                        ; implicit-def: $vgpr22
.LBB166_203:
	s_andn2_b64 s[44:45], s[34:35], exec
	s_and_b64 s[38:39], s[38:39], exec
	s_or_b64 s[38:39], s[44:45], s[38:39]
	s_orn2_b64 s[44:45], s[42:43], exec
.LBB166_204:
	s_or_b64 exec, exec, s[40:41]
	s_mov_b64 s[46:47], 0
	s_mov_b64 s[42:43], 0
                                        ; implicit-def: $sgpr54
                                        ; implicit-def: $vgpr6_vgpr7
	s_and_saveexec_b64 s[40:41], s[44:45]
	s_cbranch_execz .LBB166_363
; %bb.205:
	v_cmp_gt_i32_e32 vcc, s50, v22
	s_mov_b64 s[48:49], -1
	s_mov_b64 s[44:45], s[38:39]
	s_and_saveexec_b64 s[42:43], vcc
	s_cbranch_execz .LBB166_306
; %bb.206:
	v_mul_lo_u32 v2, v22, s22
	v_mov_b32_e32 v3, s21
	s_and_b32 s51, s33, 0xff
	s_cmp_lt_i32 s51, 11
	v_ashrrev_i32_e32 v5, 31, v2
	v_add_co_u32_e32 v6, vcc, s20, v2
	v_addc_co_u32_e32 v7, vcc, v3, v5, vcc
	s_cbranch_scc1 .LBB166_213
; %bb.207:
	s_and_b32 s52, 0xffff, s51
	s_cmp_gt_i32 s52, 25
	s_cbranch_scc0 .LBB166_214
; %bb.208:
	s_cmp_gt_i32 s52, 28
	s_cbranch_scc0 .LBB166_215
; %bb.209:
	;; [unrolled: 3-line block ×4, first 2 shown]
	s_mov_b64 s[48:49], 0
	s_mov_b64 s[44:45], -1
	s_cmp_eq_u32 s52, 46
	s_cbranch_scc0 .LBB166_218
; %bb.212:
	global_store_dword v[6:7], v10, off
	s_mov_b64 s[46:47], -1
	s_mov_b64 s[44:45], 0
	s_branch .LBB166_218
.LBB166_213:
	s_mov_b64 s[44:45], s[38:39]
	s_branch .LBB166_263
.LBB166_214:
	s_mov_b64 s[44:45], s[38:39]
	s_branch .LBB166_240
.LBB166_215:
	s_mov_b64 s[44:45], s[38:39]
	s_branch .LBB166_226
.LBB166_216:
	s_mov_b64 s[44:45], s[38:39]
	s_branch .LBB166_222
.LBB166_217:
	s_mov_b64 s[44:45], s[38:39]
.LBB166_218:
	s_and_b64 vcc, exec, s[48:49]
	s_cbranch_vccz .LBB166_221
; %bb.219:
	s_cmp_eq_u32 s52, 44
	s_mov_b64 s[44:45], -1
	s_cbranch_scc0 .LBB166_221
; %bb.220:
	v_mov_b32_e32 v2, 0xffff
	v_cndmask_b32_e64 v2, v21, v2, s[16:17]
	s_mov_b64 s[46:47], -1
	s_mov_b64 s[44:45], 0
	global_store_byte v[6:7], v2, off
.LBB166_221:
	s_mov_b64 s[48:49], 0
.LBB166_222:
	s_and_b64 vcc, exec, s[48:49]
	s_cbranch_vccz .LBB166_225
; %bb.223:
	s_cmp_eq_u32 s52, 29
	s_mov_b64 s[44:45], -1
	s_cbranch_scc0 .LBB166_225
; %bb.224:
	v_mov_b32_e32 v2, s26
	v_mov_b32_e32 v3, s27
	global_store_dwordx2 v[6:7], v[2:3], off
	s_mov_b64 s[46:47], -1
	s_mov_b64 s[44:45], 0
.LBB166_225:
	s_mov_b64 s[48:49], 0
.LBB166_226:
	s_and_b64 vcc, exec, s[48:49]
	s_cbranch_vccz .LBB166_239
; %bb.227:
	s_cmp_lt_i32 s52, 27
	s_mov_b64 s[46:47], -1
	s_cbranch_scc1 .LBB166_233
; %bb.228:
	s_cmp_gt_i32 s52, 27
	s_cbranch_scc0 .LBB166_230
; %bb.229:
	v_mov_b32_e32 v2, s23
	s_mov_b64 s[46:47], 0
	global_store_dword v[6:7], v2, off
.LBB166_230:
	s_andn2_b64 vcc, exec, s[46:47]
	s_cbranch_vccnz .LBB166_232
; %bb.231:
	v_mov_b32_e32 v2, s23
	global_store_short v[6:7], v2, off
.LBB166_232:
	s_mov_b64 s[46:47], 0
.LBB166_233:
	s_andn2_b64 vcc, exec, s[46:47]
	s_cbranch_vccnz .LBB166_238
; %bb.234:
	s_andn2_b64 vcc, exec, s[14:15]
	v_mov_b32_e32 v2, 0x80
	s_cbranch_vccnz .LBB166_237
; %bb.235:
	s_or_b64 s[46:47], s[12:13], s[30:31]
	s_andn2_b64 vcc, exec, s[46:47]
	v_mov_b32_e32 v2, 0
	s_cbranch_vccnz .LBB166_237
; %bb.236:
	v_cndmask_b32_e64 v2, v20, v19, s[12:13]
.LBB166_237:
	global_store_byte v[6:7], v2, off
.LBB166_238:
	s_mov_b64 s[46:47], -1
.LBB166_239:
	s_mov_b64 s[48:49], 0
.LBB166_240:
	s_and_b64 vcc, exec, s[48:49]
	s_cbranch_vccz .LBB166_262
; %bb.241:
	s_cmp_gt_i32 s52, 22
	s_mov_b64 s[48:49], -1
	s_cbranch_scc0 .LBB166_254
; %bb.242:
	s_cmp_lt_i32 s52, 24
	s_mov_b64 s[46:47], -1
	s_cbranch_scc1 .LBB166_251
; %bb.243:
	s_cmp_gt_i32 s52, 24
	s_cbranch_scc0 .LBB166_248
; %bb.244:
	s_andn2_b64 vcc, exec, s[10:11]
	v_mov_b32_e32 v2, 0x80
	s_cbranch_vccnz .LBB166_247
; %bb.245:
	s_or_b64 s[46:47], s[8:9], s[28:29]
	s_andn2_b64 vcc, exec, s[46:47]
	v_mov_b32_e32 v2, 0
	s_cbranch_vccnz .LBB166_247
; %bb.246:
	v_cndmask_b32_e64 v2, v17, v16, s[8:9]
.LBB166_247:
	s_mov_b64 s[46:47], 0
	global_store_byte v[6:7], v2, off
.LBB166_248:
	s_and_b64 vcc, exec, s[46:47]
	s_cbranch_vccz .LBB166_250
; %bb.249:
	v_cndmask_b32_e64 v2, v14, v15, s[6:7]
	v_cndmask_b32_e64 v2, v2, v18, s[4:5]
	global_store_byte v[6:7], v2, off
.LBB166_250:
	s_mov_b64 s[46:47], 0
.LBB166_251:
	s_andn2_b64 vcc, exec, s[46:47]
	s_cbranch_vccnz .LBB166_253
; %bb.252:
	v_cndmask_b32_e64 v2, v11, v12, s[2:3]
	v_cndmask_b32_e64 v2, v2, v13, s[0:1]
	global_store_byte v[6:7], v2, off
.LBB166_253:
	s_mov_b64 s[48:49], 0
	s_mov_b64 s[46:47], -1
.LBB166_254:
	s_andn2_b64 vcc, exec, s[48:49]
	s_cbranch_vccnz .LBB166_262
; %bb.255:
	s_cmp_gt_i32 s52, 14
	s_mov_b64 s[48:49], -1
	s_cbranch_scc0 .LBB166_259
; %bb.256:
	s_cmp_eq_u32 s52, 15
	s_mov_b64 s[44:45], -1
	s_cbranch_scc0 .LBB166_258
; %bb.257:
	global_store_short v[6:7], v10, off
	s_mov_b64 s[46:47], -1
	s_mov_b64 s[44:45], 0
.LBB166_258:
	s_mov_b64 s[48:49], 0
.LBB166_259:
	s_and_b64 vcc, exec, s[48:49]
	s_cbranch_vccz .LBB166_262
; %bb.260:
	s_cmp_eq_u32 s52, 11
	s_mov_b64 s[44:45], -1
	s_cbranch_scc0 .LBB166_262
; %bb.261:
	s_mov_b64 s[46:47], -1
	s_mov_b64 s[44:45], 0
	global_store_byte v[6:7], v9, off
.LBB166_262:
	s_mov_b64 s[48:49], 0
.LBB166_263:
	s_and_b64 vcc, exec, s[48:49]
	s_cbranch_vccz .LBB166_302
; %bb.264:
	s_and_b32 s48, 0xffff, s51
	s_cmp_lt_i32 s48, 5
	s_mov_b64 s[46:47], -1
	s_cbranch_scc1 .LBB166_285
; %bb.265:
	s_cmp_lt_i32 s48, 8
	s_cbranch_scc1 .LBB166_275
; %bb.266:
	s_cmp_lt_i32 s48, 9
	s_cbranch_scc1 .LBB166_272
; %bb.267:
	s_cmp_gt_i32 s48, 9
	s_cbranch_scc0 .LBB166_269
; %bb.268:
	v_mov_b32_e32 v2, 0
	v_mov_b32_e32 v3, v2
	s_mov_b64 s[46:47], 0
	global_store_dwordx4 v[6:7], v[0:3], off
.LBB166_269:
	s_andn2_b64 vcc, exec, s[46:47]
	s_cbranch_vccnz .LBB166_271
; %bb.270:
	v_mov_b32_e32 v5, 0
	global_store_dwordx2 v[6:7], v[4:5], off
.LBB166_271:
	s_mov_b64 s[46:47], 0
.LBB166_272:
	s_andn2_b64 vcc, exec, s[46:47]
	s_cbranch_vccnz .LBB166_274
; %bb.273:
	global_store_dword v[6:7], v8, off
.LBB166_274:
	s_mov_b64 s[46:47], 0
.LBB166_275:
	s_andn2_b64 vcc, exec, s[46:47]
	s_cbranch_vccnz .LBB166_284
; %bb.276:
	s_cmp_lt_i32 s48, 6
	s_mov_b64 s[46:47], -1
	s_cbranch_scc1 .LBB166_282
; %bb.277:
	s_cmp_gt_i32 s48, 6
	s_cbranch_scc0 .LBB166_279
; %bb.278:
	s_mov_b64 s[46:47], 0
	global_store_dwordx2 v[6:7], v[0:1], off
.LBB166_279:
	s_andn2_b64 vcc, exec, s[46:47]
	s_cbranch_vccnz .LBB166_281
; %bb.280:
	global_store_dword v[6:7], v4, off
.LBB166_281:
	s_mov_b64 s[46:47], 0
.LBB166_282:
	s_andn2_b64 vcc, exec, s[46:47]
	s_cbranch_vccnz .LBB166_284
; %bb.283:
	global_store_short v[6:7], v8, off
.LBB166_284:
	s_mov_b64 s[46:47], 0
.LBB166_285:
	s_andn2_b64 vcc, exec, s[46:47]
	s_cbranch_vccnz .LBB166_301
; %bb.286:
	s_cmp_lt_i32 s48, 2
	s_mov_b64 s[46:47], -1
	s_cbranch_scc1 .LBB166_296
; %bb.287:
	s_cmp_lt_i32 s48, 3
	s_cbranch_scc1 .LBB166_293
; %bb.288:
	s_cmp_gt_i32 s48, 3
	s_cbranch_scc0 .LBB166_290
; %bb.289:
	v_mov_b32_e32 v2, s26
	v_mov_b32_e32 v3, s27
	s_mov_b64 s[46:47], 0
	global_store_dwordx2 v[6:7], v[2:3], off
.LBB166_290:
	s_andn2_b64 vcc, exec, s[46:47]
	s_cbranch_vccnz .LBB166_292
; %bb.291:
	v_mov_b32_e32 v2, s23
	global_store_dword v[6:7], v2, off
.LBB166_292:
	s_mov_b64 s[46:47], 0
.LBB166_293:
	s_andn2_b64 vcc, exec, s[46:47]
	s_cbranch_vccnz .LBB166_295
; %bb.294:
	v_mov_b32_e32 v2, s23
	global_store_short v[6:7], v2, off
.LBB166_295:
	s_mov_b64 s[46:47], 0
.LBB166_296:
	s_andn2_b64 vcc, exec, s[46:47]
	s_cbranch_vccnz .LBB166_301
; %bb.297:
	s_cmp_gt_i32 s48, 0
	s_mov_b64 s[46:47], -1
	s_cbranch_scc0 .LBB166_299
; %bb.298:
	v_mov_b32_e32 v2, s23
	s_mov_b64 s[46:47], 0
	global_store_byte v[6:7], v2, off
.LBB166_299:
	s_andn2_b64 vcc, exec, s[46:47]
	s_cbranch_vccnz .LBB166_301
; %bb.300:
	v_mov_b32_e32 v2, s23
	global_store_byte v[6:7], v2, off
.LBB166_301:
	s_mov_b64 s[46:47], -1
.LBB166_302:
	s_andn2_b64 vcc, exec, s[46:47]
	s_cbranch_vccnz .LBB166_304
; %bb.303:
	v_add_u32_e32 v22, 0x80, v22
	s_mov_b64 s[46:47], -1
	s_branch .LBB166_305
.LBB166_304:
	s_mov_b64 s[46:47], 0
                                        ; implicit-def: $vgpr22
.LBB166_305:
	s_andn2_b64 s[48:49], s[38:39], exec
	s_and_b64 s[44:45], s[44:45], exec
	s_or_b64 s[44:45], s[48:49], s[44:45]
	s_orn2_b64 s[48:49], s[46:47], exec
.LBB166_306:
	s_or_b64 exec, exec, s[42:43]
	s_mov_b64 s[46:47], 0
	s_mov_b64 s[52:53], 0
                                        ; implicit-def: $sgpr54
                                        ; implicit-def: $vgpr6_vgpr7
	s_and_saveexec_b64 s[42:43], s[48:49]
	s_cbranch_execz .LBB166_362
; %bb.307:
	v_cmp_gt_i32_e32 vcc, s50, v22
	s_mov_b64 s[50:51], 0
	s_mov_b64 s[48:49], s[44:45]
                                        ; implicit-def: $sgpr54
                                        ; implicit-def: $vgpr6_vgpr7
	s_and_saveexec_b64 s[46:47], vcc
	s_cbranch_execz .LBB166_361
; %bb.308:
	v_mul_lo_u32 v2, v22, s22
	v_mov_b32_e32 v3, s21
	s_and_b32 s54, s33, 0xff
	s_cmp_lt_i32 s54, 11
	v_ashrrev_i32_e32 v5, 31, v2
	v_add_co_u32_e32 v6, vcc, s20, v2
	v_addc_co_u32_e32 v7, vcc, v3, v5, vcc
	s_cbranch_scc1 .LBB166_358
; %bb.309:
	s_and_b32 s52, 0xffff, s54
	s_mov_b64 s[50:51], -1
	s_cmp_gt_i32 s52, 25
	s_mov_b64 s[48:49], s[44:45]
	s_cbranch_scc0 .LBB166_337
; %bb.310:
	s_cmp_gt_i32 s52, 28
	s_mov_b64 s[48:49], s[44:45]
	s_cbranch_scc0 .LBB166_324
; %bb.311:
	;; [unrolled: 4-line block ×4, first 2 shown]
	s_cmp_eq_u32 s52, 46
	s_mov_b64 s[48:49], -1
	s_cbranch_scc0 .LBB166_315
; %bb.314:
	global_store_dword v[6:7], v10, off
	s_mov_b64 s[48:49], 0
.LBB166_315:
	s_mov_b64 s[50:51], 0
.LBB166_316:
	s_and_b64 vcc, exec, s[50:51]
	s_cbranch_vccz .LBB166_319
; %bb.317:
	s_cmp_eq_u32 s52, 44
	s_mov_b64 s[48:49], -1
	s_cbranch_scc0 .LBB166_319
; %bb.318:
	v_mov_b32_e32 v2, 0xffff
	v_cndmask_b32_e64 v2, v21, v2, s[16:17]
	global_store_byte v[6:7], v2, off
	s_mov_b64 s[48:49], 0
.LBB166_319:
	s_mov_b64 s[50:51], 0
.LBB166_320:
	s_and_b64 vcc, exec, s[50:51]
	s_cbranch_vccz .LBB166_323
; %bb.321:
	s_cmp_eq_u32 s52, 29
	s_mov_b64 s[48:49], -1
	s_cbranch_scc0 .LBB166_323
; %bb.322:
	v_mov_b32_e32 v2, s26
	v_mov_b32_e32 v3, s27
	global_store_dwordx2 v[6:7], v[2:3], off
	s_mov_b64 s[48:49], 0
.LBB166_323:
	s_mov_b64 s[50:51], 0
.LBB166_324:
	s_and_b64 vcc, exec, s[50:51]
	s_cbranch_vccz .LBB166_336
; %bb.325:
	s_cmp_lt_i32 s52, 27
	s_mov_b64 s[16:17], -1
	s_cbranch_scc1 .LBB166_331
; %bb.326:
	s_cmp_gt_i32 s52, 27
	s_cbranch_scc0 .LBB166_328
; %bb.327:
	v_mov_b32_e32 v2, s23
	s_mov_b64 s[16:17], 0
	global_store_dword v[6:7], v2, off
.LBB166_328:
	s_andn2_b64 vcc, exec, s[16:17]
	s_cbranch_vccnz .LBB166_330
; %bb.329:
	v_mov_b32_e32 v2, s23
	global_store_short v[6:7], v2, off
.LBB166_330:
	s_mov_b64 s[16:17], 0
.LBB166_331:
	s_andn2_b64 vcc, exec, s[16:17]
	s_cbranch_vccnz .LBB166_336
; %bb.332:
	s_andn2_b64 vcc, exec, s[14:15]
	v_mov_b32_e32 v2, 0x80
	s_cbranch_vccnz .LBB166_335
; %bb.333:
	s_or_b64 s[14:15], s[12:13], s[30:31]
	s_andn2_b64 vcc, exec, s[14:15]
	v_mov_b32_e32 v2, 0
	s_cbranch_vccnz .LBB166_335
; %bb.334:
	v_cndmask_b32_e64 v2, v20, v19, s[12:13]
.LBB166_335:
	global_store_byte v[6:7], v2, off
.LBB166_336:
	s_mov_b64 s[50:51], 0
.LBB166_337:
	s_mov_b64 s[12:13], 0
	s_and_b64 vcc, exec, s[50:51]
	s_cbranch_vccz .LBB166_359
; %bb.338:
	s_cmp_gt_i32 s52, 22
	s_mov_b64 s[14:15], -1
	s_cbranch_scc0 .LBB166_351
; %bb.339:
	s_cmp_lt_i32 s52, 24
	s_cbranch_scc1 .LBB166_348
; %bb.340:
	s_cmp_gt_i32 s52, 24
	s_cbranch_scc0 .LBB166_345
; %bb.341:
	s_andn2_b64 vcc, exec, s[10:11]
	v_mov_b32_e32 v2, 0x80
	s_cbranch_vccnz .LBB166_344
; %bb.342:
	s_or_b64 s[10:11], s[8:9], s[28:29]
	s_andn2_b64 vcc, exec, s[10:11]
	v_mov_b32_e32 v2, 0
	s_cbranch_vccnz .LBB166_344
; %bb.343:
	v_cndmask_b32_e64 v2, v17, v16, s[8:9]
.LBB166_344:
	s_mov_b64 s[14:15], 0
	global_store_byte v[6:7], v2, off
.LBB166_345:
	s_and_b64 vcc, exec, s[14:15]
	s_cbranch_vccz .LBB166_347
; %bb.346:
	v_cndmask_b32_e64 v2, v14, v15, s[6:7]
	v_cndmask_b32_e64 v2, v2, v18, s[4:5]
	global_store_byte v[6:7], v2, off
.LBB166_347:
	s_mov_b64 s[14:15], 0
.LBB166_348:
	s_andn2_b64 vcc, exec, s[14:15]
	s_cbranch_vccnz .LBB166_350
; %bb.349:
	v_cndmask_b32_e64 v2, v11, v12, s[2:3]
	v_cndmask_b32_e64 v2, v2, v13, s[0:1]
	global_store_byte v[6:7], v2, off
.LBB166_350:
	s_mov_b64 s[14:15], 0
.LBB166_351:
	s_andn2_b64 vcc, exec, s[14:15]
	s_mov_b64 s[0:1], 0
	s_cbranch_vccnz .LBB166_360
; %bb.352:
	s_cmp_gt_i32 s52, 14
	s_mov_b64 s[2:3], -1
	s_cbranch_scc0 .LBB166_356
; %bb.353:
	s_cmp_eq_u32 s52, 15
	s_mov_b64 s[48:49], -1
	s_cbranch_scc0 .LBB166_355
; %bb.354:
	global_store_short v[6:7], v10, off
	s_mov_b64 s[48:49], 0
.LBB166_355:
	s_mov_b64 s[2:3], 0
.LBB166_356:
	s_and_b64 vcc, exec, s[2:3]
	s_cbranch_vccz .LBB166_360
; %bb.357:
	s_cmp_lg_u32 s52, 11
	s_cselect_b64 s[2:3], -1, 0
	s_andn2_b64 s[4:5], s[48:49], exec
	s_and_b64 s[2:3], s[2:3], exec
	s_mov_b64 s[0:1], -1
	s_or_b64 s[48:49], s[4:5], s[2:3]
	s_branch .LBB166_360
.LBB166_358:
	s_mov_b64 s[0:1], 0
	s_mov_b64 s[12:13], -1
	s_mov_b64 s[48:49], s[44:45]
	s_branch .LBB166_360
.LBB166_359:
	s_mov_b64 s[0:1], 0
.LBB166_360:
	s_and_b64 s[50:51], s[0:1], exec
	s_andn2_b64 s[0:1], s[44:45], exec
	s_and_b64 s[2:3], s[48:49], exec
	s_and_b64 s[52:53], s[12:13], exec
	s_or_b64 s[48:49], s[0:1], s[2:3]
.LBB166_361:
	s_or_b64 exec, exec, s[46:47]
	s_andn2_b64 s[0:1], s[44:45], exec
	s_and_b64 s[2:3], s[48:49], exec
	s_and_b64 s[52:53], s[52:53], exec
	;; [unrolled: 1-line block ×3, first 2 shown]
	s_or_b64 s[44:45], s[0:1], s[2:3]
.LBB166_362:
	s_or_b64 exec, exec, s[42:43]
	s_andn2_b64 s[0:1], s[38:39], exec
	s_and_b64 s[2:3], s[44:45], exec
	s_and_b64 s[42:43], s[52:53], exec
	;; [unrolled: 1-line block ×3, first 2 shown]
	s_or_b64 s[38:39], s[0:1], s[2:3]
.LBB166_363:
	s_or_b64 exec, exec, s[40:41]
	s_andn2_b64 s[0:1], s[34:35], exec
	s_and_b64 s[2:3], s[38:39], exec
	s_and_b64 s[42:43], s[42:43], exec
	;; [unrolled: 1-line block ×3, first 2 shown]
	s_or_b64 s[34:35], s[0:1], s[2:3]
	s_or_b64 exec, exec, s[36:37]
	s_mov_b64 s[0:1], 0
	s_and_saveexec_b64 s[2:3], s[34:35]
	s_cbranch_execz .LBB166_110
.LBB166_364:
	s_mov_b64 s[0:1], exec
	s_andn2_b64 s[40:41], s[40:41], exec
	s_trap 2
	s_or_b64 exec, exec, s[2:3]
	s_and_saveexec_b64 s[2:3], s[40:41]
	s_xor_b64 s[2:3], exec, s[2:3]
	s_cbranch_execnz .LBB166_111
.LBB166_365:
	s_or_b64 exec, exec, s[2:3]
	s_and_saveexec_b64 s[2:3], s[42:43]
	s_xor_b64 s[2:3], exec, s[2:3]
	s_cbranch_execz .LBB166_403
.LBB166_366:
	s_sext_i32_i16 s6, s54
	s_cmp_lt_i32 s6, 5
	s_mov_b64 s[4:5], -1
	s_cbranch_scc1 .LBB166_387
; %bb.367:
	s_cmp_lt_i32 s6, 8
	s_cbranch_scc1 .LBB166_377
; %bb.368:
	s_cmp_lt_i32 s6, 9
	s_cbranch_scc1 .LBB166_374
; %bb.369:
	s_cmp_gt_i32 s6, 9
	s_cbranch_scc0 .LBB166_371
; %bb.370:
	v_mov_b32_e32 v2, 0
	v_mov_b32_e32 v3, v2
	s_mov_b64 s[4:5], 0
	global_store_dwordx4 v[6:7], v[0:3], off
.LBB166_371:
	s_andn2_b64 vcc, exec, s[4:5]
	s_cbranch_vccnz .LBB166_373
; %bb.372:
	v_mov_b32_e32 v5, 0
	global_store_dwordx2 v[6:7], v[4:5], off
.LBB166_373:
	s_mov_b64 s[4:5], 0
.LBB166_374:
	s_andn2_b64 vcc, exec, s[4:5]
	s_cbranch_vccnz .LBB166_376
; %bb.375:
	global_store_dword v[6:7], v8, off
.LBB166_376:
	s_mov_b64 s[4:5], 0
.LBB166_377:
	s_andn2_b64 vcc, exec, s[4:5]
	s_cbranch_vccnz .LBB166_386
; %bb.378:
	s_sext_i32_i16 s6, s54
	s_cmp_lt_i32 s6, 6
	s_mov_b64 s[4:5], -1
	s_cbranch_scc1 .LBB166_384
; %bb.379:
	s_cmp_gt_i32 s6, 6
	s_cbranch_scc0 .LBB166_381
; %bb.380:
	s_mov_b64 s[4:5], 0
	global_store_dwordx2 v[6:7], v[0:1], off
.LBB166_381:
	s_andn2_b64 vcc, exec, s[4:5]
	s_cbranch_vccnz .LBB166_383
; %bb.382:
	global_store_dword v[6:7], v4, off
.LBB166_383:
	s_mov_b64 s[4:5], 0
.LBB166_384:
	s_andn2_b64 vcc, exec, s[4:5]
	s_cbranch_vccnz .LBB166_386
; %bb.385:
	global_store_short v[6:7], v8, off
.LBB166_386:
	s_mov_b64 s[4:5], 0
.LBB166_387:
	s_andn2_b64 vcc, exec, s[4:5]
	s_cbranch_vccnz .LBB166_403
; %bb.388:
	s_sext_i32_i16 s6, s54
	s_cmp_lt_i32 s6, 2
	s_mov_b64 s[4:5], -1
	s_cbranch_scc1 .LBB166_398
; %bb.389:
	s_cmp_lt_i32 s6, 3
	s_cbranch_scc1 .LBB166_395
; %bb.390:
	s_cmp_gt_i32 s6, 3
	s_cbranch_scc0 .LBB166_392
; %bb.391:
	v_mov_b32_e32 v0, s26
	v_mov_b32_e32 v1, s27
	s_mov_b64 s[4:5], 0
	global_store_dwordx2 v[6:7], v[0:1], off
.LBB166_392:
	s_andn2_b64 vcc, exec, s[4:5]
	s_cbranch_vccnz .LBB166_394
; %bb.393:
	v_mov_b32_e32 v0, s23
	global_store_dword v[6:7], v0, off
.LBB166_394:
	s_mov_b64 s[4:5], 0
.LBB166_395:
	s_andn2_b64 vcc, exec, s[4:5]
	s_cbranch_vccnz .LBB166_397
; %bb.396:
	v_mov_b32_e32 v0, s23
	global_store_short v[6:7], v0, off
.LBB166_397:
	s_mov_b64 s[4:5], 0
.LBB166_398:
	s_andn2_b64 vcc, exec, s[4:5]
	s_cbranch_vccnz .LBB166_403
; %bb.399:
	s_sext_i32_i16 s4, s54
	s_cmp_gt_i32 s4, 0
	s_mov_b64 s[4:5], -1
	s_cbranch_scc0 .LBB166_401
; %bb.400:
	v_mov_b32_e32 v0, s23
	s_mov_b64 s[4:5], 0
	global_store_byte v[6:7], v0, off
.LBB166_401:
	s_andn2_b64 vcc, exec, s[4:5]
	s_cbranch_vccnz .LBB166_403
; %bb.402:
	v_mov_b32_e32 v0, s23
	global_store_byte v[6:7], v0, off
.LBB166_403:
	s_or_b64 exec, exec, s[2:3]
	s_and_b64 s[0:1], s[0:1], exec
                                        ; implicit-def: $vgpr22
.LBB166_404:
	s_or_saveexec_b64 s[2:3], s[24:25]
	s_mov_b64 s[6:7], 0
                                        ; implicit-def: $sgpr14
                                        ; implicit-def: $vgpr0_vgpr1
	s_xor_b64 exec, exec, s[2:3]
	s_cbranch_execz .LBB166_433
; %bb.405:
	v_mul_lo_u32 v2, s22, v22
	v_mov_b32_e32 v1, s21
	s_and_b32 s14, s33, 0xff
	s_cmp_lt_i32 s14, 11
	v_ashrrev_i32_e32 v3, 31, v2
	v_add_co_u32_e32 v0, vcc, s20, v2
	v_addc_co_u32_e32 v1, vcc, v1, v3, vcc
	s_cbranch_scc1 .LBB166_436
; %bb.406:
	s_and_b32 s12, 0xffff, s14
	s_mov_b64 s[10:11], -1
	s_cmp_gt_i32 s12, 25
	s_mov_b64 s[8:9], 0
	s_mov_b64 s[4:5], 0
	s_cbranch_scc0 .LBB166_446
; %bb.407:
	s_cmp_gt_i32 s12, 28
	s_cbranch_scc0 .LBB166_422
; %bb.408:
	s_cmp_gt_i32 s12, 43
	;; [unrolled: 3-line block ×3, first 2 shown]
	s_cbranch_scc0 .LBB166_412
; %bb.410:
	s_mov_b64 s[4:5], -1
	s_mov_b64 s[10:11], 0
	s_cmp_eq_u32 s12, 46
	s_cbranch_scc0 .LBB166_412
; %bb.411:
	v_cvt_f32_u32_e32 v3, s23
	s_mov_b64 s[4:5], 0
	s_mov_b64 s[8:9], -1
	v_bfe_u32 v4, v3, 16, 1
	v_add_u32_e32 v3, v3, v4
	v_add_u32_e32 v3, 0x7fff, v3
	v_lshrrev_b32_e32 v3, 16, v3
	global_store_dword v[0:1], v3, off
.LBB166_412:
	s_and_b64 vcc, exec, s[10:11]
	s_cbranch_vccz .LBB166_417
; %bb.413:
	s_cmp_eq_u32 s12, 44
	s_mov_b64 s[4:5], -1
	s_cbranch_scc0 .LBB166_417
; %bb.414:
	v_cvt_f32_u32_e32 v3, s23
	v_readfirstlane_b32 s5, v3
	s_lshr_b32 s4, s5, 23
	s_cmpk_eq_i32 s4, 0xff
	v_mov_b32_e32 v3, 0xff
	s_cbranch_scc1 .LBB166_416
; %bb.415:
	s_bitcmp1_b32 s5, 22
	s_cselect_b64 s[8:9], -1, 0
	s_and_b32 s5, s5, 0x3fffff
	s_or_b32 s5, s4, s5
	s_cmp_lg_u32 s5, 0
	s_cselect_b64 s[10:11], -1, 0
	s_and_b64 s[8:9], s[8:9], s[10:11]
	v_cndmask_b32_e64 v3, 0, 1, s[8:9]
	v_add_u32_e32 v3, s4, v3
.LBB166_416:
	s_mov_b64 s[4:5], 0
	s_mov_b64 s[8:9], -1
	global_store_byte v[0:1], v3, off
.LBB166_417:
	s_mov_b64 s[10:11], 0
.LBB166_418:
	s_and_b64 vcc, exec, s[10:11]
	s_cbranch_vccz .LBB166_421
; %bb.419:
	s_cmp_eq_u32 s12, 29
	s_mov_b64 s[4:5], -1
	s_cbranch_scc0 .LBB166_421
; %bb.420:
	v_mov_b32_e32 v3, s23
	v_mov_b32_e32 v4, 0
	global_store_dwordx2 v[0:1], v[3:4], off
	s_mov_b64 s[4:5], 0
	s_mov_b64 s[8:9], -1
.LBB166_421:
	s_mov_b64 s[10:11], 0
.LBB166_422:
	s_and_b64 vcc, exec, s[10:11]
	s_cbranch_vccz .LBB166_445
; %bb.423:
	s_cmp_lt_i32 s12, 27
	s_mov_b64 s[8:9], -1
	s_cbranch_scc1 .LBB166_429
; %bb.424:
	s_cmp_gt_i32 s12, 27
	s_cbranch_scc0 .LBB166_426
; %bb.425:
	v_mov_b32_e32 v3, s23
	s_mov_b64 s[8:9], 0
	global_store_dword v[0:1], v3, off
.LBB166_426:
	s_andn2_b64 vcc, exec, s[8:9]
	s_cbranch_vccnz .LBB166_428
; %bb.427:
	v_mov_b32_e32 v3, s23
	global_store_short v[0:1], v3, off
.LBB166_428:
	s_mov_b64 s[8:9], 0
.LBB166_429:
	s_andn2_b64 vcc, exec, s[8:9]
	s_cbranch_vccnz .LBB166_444
; %bb.430:
	v_cvt_f32_u32_e32 v3, s23
	s_mov_b32 s9, 0x437fffff
	v_mov_b32_e32 v5, 0x80
	v_cmp_lt_u32_e32 vcc, s9, v3
	v_readfirstlane_b32 s8, v3
	s_cbranch_vccnz .LBB166_443
; %bb.431:
	s_cmp_gt_u32 s8, 0x3bffffff
	s_cbranch_scc0 .LBB166_438
; %bb.432:
	s_bfe_u32 s9, s8, 0x10014
	s_add_i32 s8, s8, s9
	s_add_i32 s8, s8, 0x487ffff
	s_lshr_b32 s13, s8, 20
	s_mov_b64 s[10:11], 0
	s_mov_b64 s[8:9], -1
	s_branch .LBB166_439
.LBB166_433:
	s_or_b64 exec, exec, s[2:3]
	s_and_saveexec_b64 s[2:3], s[0:1]
	s_cbranch_execz .LBB166_834
.LBB166_434:
	; divergent unreachable
	s_or_b64 exec, exec, s[2:3]
	s_and_saveexec_b64 s[0:1], s[18:19]
	s_xor_b64 s[0:1], exec, s[0:1]
	s_cbranch_execnz .LBB166_835
.LBB166_435:
	s_or_b64 exec, exec, s[0:1]
	s_and_saveexec_b64 s[0:1], s[6:7]
	s_cbranch_execnz .LBB166_836
	s_branch .LBB166_873
.LBB166_436:
	s_mov_b64 s[8:9], 0
	s_mov_b64 s[4:5], s[0:1]
	s_cbranch_execnz .LBB166_496
.LBB166_437:
	s_andn2_b64 vcc, exec, s[8:9]
	s_cbranch_vccz .LBB166_534
	s_branch .LBB166_832
.LBB166_438:
	s_mov_b64 s[10:11], -1
	s_mov_b64 s[8:9], 0
                                        ; implicit-def: $sgpr13
.LBB166_439:
	s_andn2_b64 vcc, exec, s[10:11]
	v_mov_b32_e32 v4, s13
	s_cbranch_vccnz .LBB166_441
; %bb.440:
	v_add_f32_e32 v3, 0x46000000, v3
	v_and_b32_e32 v4, 0xff, v3
	v_cmp_ne_u32_e64 s[8:9], 0, v4
.LBB166_441:
	s_andn2_b64 vcc, exec, s[8:9]
	v_mov_b32_e32 v5, 0
	s_cbranch_vccnz .LBB166_443
; %bb.442:
	v_mov_b32_e32 v5, v4
.LBB166_443:
	global_store_byte v[0:1], v5, off
.LBB166_444:
	s_mov_b64 s[8:9], -1
.LBB166_445:
	s_mov_b64 s[10:11], 0
.LBB166_446:
	s_and_b64 vcc, exec, s[10:11]
	s_cbranch_vccz .LBB166_492
; %bb.447:
	s_cmp_gt_i32 s12, 22
	s_mov_b64 s[6:7], -1
	s_cbranch_scc0 .LBB166_485
; %bb.448:
	s_cmp_lt_i32 s12, 24
	s_cbranch_scc1 .LBB166_472
; %bb.449:
	s_cmp_gt_i32 s12, 24
	s_cbranch_scc0 .LBB166_459
; %bb.450:
	v_cvt_f32_u32_e32 v3, s23
	s_mov_b32 s7, 0x477fffff
	v_mov_b32_e32 v5, 0x80
	v_cmp_lt_u32_e32 vcc, s7, v3
	v_readfirstlane_b32 s6, v3
	s_cbranch_vccnz .LBB166_458
; %bb.451:
	s_cmp_gt_u32 s6, 0x37ffffff
	s_cbranch_scc0 .LBB166_453
; %bb.452:
	s_bfe_u32 s7, s6, 0x10015
	s_add_i32 s6, s6, s7
	s_add_i32 s6, s6, 0x88fffff
	s_lshr_b32 s10, s6, 21
	s_mov_b64 s[8:9], 0
	s_mov_b64 s[6:7], -1
	s_branch .LBB166_454
.LBB166_453:
	s_mov_b64 s[8:9], -1
	s_mov_b64 s[6:7], 0
                                        ; implicit-def: $sgpr10
.LBB166_454:
	s_andn2_b64 vcc, exec, s[8:9]
	v_mov_b32_e32 v4, s10
	s_cbranch_vccnz .LBB166_456
; %bb.455:
	v_add_f32_e32 v3, 0x42800000, v3
	v_and_b32_e32 v4, 0xff, v3
	v_cmp_ne_u32_e64 s[6:7], 0, v4
.LBB166_456:
	s_andn2_b64 vcc, exec, s[6:7]
	v_mov_b32_e32 v5, 0
	s_cbranch_vccnz .LBB166_458
; %bb.457:
	v_mov_b32_e32 v5, v4
.LBB166_458:
	s_mov_b64 s[6:7], 0
	global_store_byte v[0:1], v5, off
.LBB166_459:
	s_and_b64 vcc, exec, s[6:7]
	s_cbranch_vccz .LBB166_471
; %bb.460:
	v_cvt_f32_u32_e32 v3, s23
	s_mov_b32 s6, 0x43f00000
	v_cmp_gt_u32_e32 vcc, s6, v3
	v_readfirstlane_b32 s8, v3
	s_cbranch_vccz .LBB166_463
; %bb.461:
	s_cmp_gt_u32 s8, 0x3c7fffff
	s_cbranch_scc0 .LBB166_464
; %bb.462:
	s_bfe_u32 s6, s8, 0x10014
	s_add_i32 s6, s8, s6
	s_add_i32 s6, s6, 0x407ffff
	s_lshr_b32 s7, s6, 20
	s_and_b32 s6, s6, 0xff00000
	s_cmp_lg_u32 s6, 0x7f00000
	s_cselect_b32 s9, s7, 0x7e
	s_mov_b64 s[6:7], 0
	s_branch .LBB166_465
.LBB166_463:
	s_mov_b64 s[6:7], -1
                                        ; implicit-def: $vgpr4
	s_branch .LBB166_468
.LBB166_464:
	s_mov_b64 s[6:7], -1
                                        ; implicit-def: $sgpr9
.LBB166_465:
	s_andn2_b64 vcc, exec, s[6:7]
	v_mov_b32_e32 v4, s9
	s_cbranch_vccnz .LBB166_467
; %bb.466:
	v_add_f32_e32 v4, 0x46800000, v3
.LBB166_467:
	s_mov_b64 s[6:7], 0
.LBB166_468:
	s_andn2_b64 vcc, exec, s[6:7]
	s_cbranch_vccnz .LBB166_470
; %bb.469:
	s_cmp_gt_u32 s8, 0x7f800000
	s_movk_i32 s6, 0x7f
	s_cselect_b32 s6, s6, 0x7e
	v_mov_b32_e32 v4, s6
.LBB166_470:
	global_store_byte v[0:1], v4, off
.LBB166_471:
	s_mov_b64 s[6:7], 0
.LBB166_472:
	s_andn2_b64 vcc, exec, s[6:7]
	s_cbranch_vccnz .LBB166_484
; %bb.473:
	v_cvt_f32_u32_e32 v3, s23
	s_mov_b32 s6, 0x47800000
	v_cmp_gt_u32_e32 vcc, s6, v3
	v_readfirstlane_b32 s8, v3
	s_cbranch_vccz .LBB166_476
; %bb.474:
	s_cmp_gt_u32 s8, 0x387fffff
	s_cbranch_scc0 .LBB166_477
; %bb.475:
	s_bfe_u32 s6, s8, 0x10015
	s_add_i32 s6, s8, s6
	s_add_i32 s6, s6, 0x80fffff
	s_lshr_b32 s9, s6, 21
	s_mov_b64 s[6:7], 0
	s_branch .LBB166_478
.LBB166_476:
	s_mov_b64 s[6:7], -1
                                        ; implicit-def: $vgpr4
	s_branch .LBB166_481
.LBB166_477:
	s_mov_b64 s[6:7], -1
                                        ; implicit-def: $sgpr9
.LBB166_478:
	s_andn2_b64 vcc, exec, s[6:7]
	v_mov_b32_e32 v4, s9
	s_cbranch_vccnz .LBB166_480
; %bb.479:
	v_add_f32_e32 v4, 0x43000000, v3
.LBB166_480:
	s_mov_b64 s[6:7], 0
.LBB166_481:
	s_andn2_b64 vcc, exec, s[6:7]
	s_cbranch_vccnz .LBB166_483
; %bb.482:
	s_cmp_gt_u32 s8, 0x7f800000
	s_movk_i32 s6, 0x7f
	s_cselect_b32 s6, s6, 0x7c
	v_mov_b32_e32 v4, s6
.LBB166_483:
	global_store_byte v[0:1], v4, off
.LBB166_484:
	s_mov_b64 s[6:7], 0
	s_mov_b64 s[8:9], -1
.LBB166_485:
	s_andn2_b64 vcc, exec, s[6:7]
	s_mov_b64 s[6:7], 0
	s_cbranch_vccnz .LBB166_492
; %bb.486:
	s_cmp_gt_i32 s12, 14
	s_mov_b64 s[10:11], -1
	s_cbranch_scc0 .LBB166_490
; %bb.487:
	s_cmp_eq_u32 s12, 15
	s_mov_b64 s[4:5], -1
	s_cbranch_scc0 .LBB166_489
; %bb.488:
	v_cvt_f32_u32_e32 v3, s23
	s_mov_b64 s[4:5], 0
	s_mov_b64 s[8:9], -1
	v_bfe_u32 v4, v3, 16, 1
	v_add_u32_e32 v3, v3, v4
	v_add_u32_e32 v3, 0x7fff, v3
	global_store_short_d16_hi v[0:1], v3, off
.LBB166_489:
	s_mov_b64 s[10:11], 0
.LBB166_490:
	s_and_b64 vcc, exec, s[10:11]
	s_cbranch_vccz .LBB166_492
; %bb.491:
	s_cmp_lg_u32 s12, 11
	s_mov_b64 s[6:7], -1
	s_cselect_b64 s[4:5], -1, 0
.LBB166_492:
	s_and_b64 vcc, exec, s[4:5]
	s_mov_b64 s[4:5], s[0:1]
	s_cbranch_vccnz .LBB166_564
; %bb.493:
	s_andn2_b64 vcc, exec, s[6:7]
	s_cbranch_vccnz .LBB166_495
.LBB166_494:
	s_cmp_lg_u32 s23, 0
	s_cselect_b64 s[6:7], -1, 0
	v_cndmask_b32_e64 v3, 0, 1, s[6:7]
	s_mov_b64 s[8:9], -1
	global_store_byte v[0:1], v3, off
.LBB166_495:
	s_branch .LBB166_437
.LBB166_496:
	s_and_b32 s8, 0xffff, s14
	s_cmp_lt_i32 s8, 5
	s_mov_b64 s[6:7], -1
	s_cbranch_scc1 .LBB166_517
; %bb.497:
	s_cmp_lt_i32 s8, 8
	s_cbranch_scc1 .LBB166_507
; %bb.498:
	s_cmp_lt_i32 s8, 9
	s_cbranch_scc1 .LBB166_504
; %bb.499:
	s_cmp_gt_i32 s8, 9
	s_cbranch_scc0 .LBB166_501
; %bb.500:
	v_cvt_f64_u32_e32 v[3:4], s23
	v_mov_b32_e32 v5, 0
	v_mov_b32_e32 v6, v5
	s_mov_b64 s[6:7], 0
	global_store_dwordx4 v[0:1], v[3:6], off
.LBB166_501:
	s_andn2_b64 vcc, exec, s[6:7]
	s_cbranch_vccnz .LBB166_503
; %bb.502:
	v_cvt_f32_u32_e32 v3, s23
	v_mov_b32_e32 v4, 0
	global_store_dwordx2 v[0:1], v[3:4], off
.LBB166_503:
	s_mov_b64 s[6:7], 0
.LBB166_504:
	s_andn2_b64 vcc, exec, s[6:7]
	s_cbranch_vccnz .LBB166_506
; %bb.505:
	v_cvt_f32_u32_e32 v3, s23
	v_cvt_f16_f32_e32 v3, v3
	global_store_dword v[0:1], v3, off
.LBB166_506:
	s_mov_b64 s[6:7], 0
.LBB166_507:
	s_andn2_b64 vcc, exec, s[6:7]
	s_cbranch_vccnz .LBB166_516
; %bb.508:
	s_cmp_lt_i32 s8, 6
	s_mov_b64 s[6:7], -1
	s_cbranch_scc1 .LBB166_514
; %bb.509:
	s_cmp_gt_i32 s8, 6
	s_cbranch_scc0 .LBB166_511
; %bb.510:
	v_cvt_f64_u32_e32 v[3:4], s23
	s_mov_b64 s[6:7], 0
	global_store_dwordx2 v[0:1], v[3:4], off
.LBB166_511:
	s_andn2_b64 vcc, exec, s[6:7]
	s_cbranch_vccnz .LBB166_513
; %bb.512:
	v_cvt_f32_u32_e32 v3, s23
	global_store_dword v[0:1], v3, off
.LBB166_513:
	s_mov_b64 s[6:7], 0
.LBB166_514:
	s_andn2_b64 vcc, exec, s[6:7]
	s_cbranch_vccnz .LBB166_516
; %bb.515:
	v_cvt_f32_u32_e32 v3, s23
	v_cvt_f16_f32_e32 v3, v3
	global_store_short v[0:1], v3, off
.LBB166_516:
	s_mov_b64 s[6:7], 0
.LBB166_517:
	s_andn2_b64 vcc, exec, s[6:7]
	s_cbranch_vccnz .LBB166_533
; %bb.518:
	s_cmp_lt_i32 s8, 2
	s_mov_b64 s[6:7], -1
	s_cbranch_scc1 .LBB166_528
; %bb.519:
	s_cmp_lt_i32 s8, 3
	s_cbranch_scc1 .LBB166_525
; %bb.520:
	s_cmp_gt_i32 s8, 3
	s_cbranch_scc0 .LBB166_522
; %bb.521:
	v_mov_b32_e32 v3, s23
	v_mov_b32_e32 v4, 0
	global_store_dwordx2 v[0:1], v[3:4], off
	s_mov_b64 s[6:7], 0
.LBB166_522:
	s_andn2_b64 vcc, exec, s[6:7]
	s_cbranch_vccnz .LBB166_524
; %bb.523:
	v_mov_b32_e32 v3, s23
	global_store_dword v[0:1], v3, off
.LBB166_524:
	s_mov_b64 s[6:7], 0
.LBB166_525:
	s_andn2_b64 vcc, exec, s[6:7]
	s_cbranch_vccnz .LBB166_527
; %bb.526:
	v_mov_b32_e32 v3, s23
	global_store_short v[0:1], v3, off
.LBB166_527:
	s_mov_b64 s[6:7], 0
.LBB166_528:
	s_andn2_b64 vcc, exec, s[6:7]
	s_cbranch_vccnz .LBB166_533
; %bb.529:
	s_cmp_gt_i32 s8, 0
	s_mov_b64 s[6:7], -1
	s_cbranch_scc0 .LBB166_531
; %bb.530:
	v_mov_b32_e32 v3, s23
	global_store_byte v[0:1], v3, off
	s_mov_b64 s[6:7], 0
.LBB166_531:
	s_andn2_b64 vcc, exec, s[6:7]
	s_cbranch_vccnz .LBB166_533
; %bb.532:
	v_mov_b32_e32 v3, s23
	global_store_byte v[0:1], v3, off
.LBB166_533:
.LBB166_534:
	s_lshl_b32 s15, s22, 7
	v_add_u32_e32 v2, s15, v2
	v_ashrrev_i32_e32 v1, 31, v2
	v_mov_b32_e32 v3, s21
	v_add_co_u32_e32 v0, vcc, s20, v2
	s_cmp_lt_i32 s14, 11
	v_addc_co_u32_e32 v1, vcc, v3, v1, vcc
	s_cbranch_scc1 .LBB166_562
; %bb.535:
	s_and_b32 s16, 0xffff, s14
	s_mov_b64 s[12:13], -1
	s_mov_b64 s[8:9], 0
	s_cmp_gt_i32 s16, 25
	s_mov_b64 s[10:11], 0
	s_mov_b64 s[6:7], 0
	s_cbranch_scc0 .LBB166_573
; %bb.536:
	s_cmp_gt_i32 s16, 28
	s_cbranch_scc0 .LBB166_551
; %bb.537:
	s_cmp_gt_i32 s16, 43
	;; [unrolled: 3-line block ×3, first 2 shown]
	s_cbranch_scc0 .LBB166_541
; %bb.539:
	s_mov_b64 s[6:7], -1
	s_mov_b64 s[12:13], 0
	s_cmp_eq_u32 s16, 46
	s_cbranch_scc0 .LBB166_541
; %bb.540:
	v_cvt_f32_u32_e32 v3, s23
	s_mov_b64 s[6:7], 0
	s_mov_b64 s[10:11], -1
	v_bfe_u32 v4, v3, 16, 1
	v_add_u32_e32 v3, v3, v4
	v_add_u32_e32 v3, 0x7fff, v3
	v_lshrrev_b32_e32 v3, 16, v3
	global_store_dword v[0:1], v3, off
.LBB166_541:
	s_and_b64 vcc, exec, s[12:13]
	s_cbranch_vccz .LBB166_546
; %bb.542:
	s_cmp_eq_u32 s16, 44
	s_mov_b64 s[6:7], -1
	s_cbranch_scc0 .LBB166_546
; %bb.543:
	v_cvt_f32_u32_e32 v3, s23
	v_readfirstlane_b32 s7, v3
	s_lshr_b32 s6, s7, 23
	s_cmpk_eq_i32 s6, 0xff
	v_mov_b32_e32 v3, 0xff
	s_cbranch_scc1 .LBB166_545
; %bb.544:
	s_bitcmp1_b32 s7, 22
	s_cselect_b64 s[10:11], -1, 0
	s_and_b32 s7, s7, 0x3fffff
	s_or_b32 s7, s6, s7
	s_cmp_lg_u32 s7, 0
	s_cselect_b64 s[12:13], -1, 0
	s_and_b64 s[10:11], s[10:11], s[12:13]
	v_cndmask_b32_e64 v3, 0, 1, s[10:11]
	v_add_u32_e32 v3, s6, v3
.LBB166_545:
	s_mov_b64 s[6:7], 0
	s_mov_b64 s[10:11], -1
	global_store_byte v[0:1], v3, off
.LBB166_546:
	s_mov_b64 s[12:13], 0
.LBB166_547:
	s_and_b64 vcc, exec, s[12:13]
	s_cbranch_vccz .LBB166_550
; %bb.548:
	s_cmp_eq_u32 s16, 29
	s_mov_b64 s[6:7], -1
	s_cbranch_scc0 .LBB166_550
; %bb.549:
	v_mov_b32_e32 v3, s23
	v_mov_b32_e32 v4, 0
	global_store_dwordx2 v[0:1], v[3:4], off
	s_mov_b64 s[6:7], 0
	s_mov_b64 s[10:11], -1
.LBB166_550:
	s_mov_b64 s[12:13], 0
.LBB166_551:
	s_and_b64 vcc, exec, s[12:13]
	s_cbranch_vccz .LBB166_572
; %bb.552:
	s_cmp_lt_i32 s16, 27
	s_mov_b64 s[10:11], -1
	s_cbranch_scc1 .LBB166_558
; %bb.553:
	s_cmp_gt_i32 s16, 27
	s_cbranch_scc0 .LBB166_555
; %bb.554:
	v_mov_b32_e32 v3, s23
	s_mov_b64 s[10:11], 0
	global_store_dword v[0:1], v3, off
.LBB166_555:
	s_andn2_b64 vcc, exec, s[10:11]
	s_cbranch_vccnz .LBB166_557
; %bb.556:
	v_mov_b32_e32 v3, s23
	global_store_short v[0:1], v3, off
.LBB166_557:
	s_mov_b64 s[10:11], 0
.LBB166_558:
	s_andn2_b64 vcc, exec, s[10:11]
	s_cbranch_vccnz .LBB166_571
; %bb.559:
	v_cvt_f32_u32_e32 v3, s23
	s_mov_b32 s11, 0x437fffff
	v_mov_b32_e32 v5, 0x80
	v_cmp_lt_u32_e32 vcc, s11, v3
	v_readfirstlane_b32 s10, v3
	s_cbranch_vccnz .LBB166_570
; %bb.560:
	s_cmp_gt_u32 s10, 0x3bffffff
	s_cbranch_scc0 .LBB166_565
; %bb.561:
	s_bfe_u32 s11, s10, 0x10014
	s_add_i32 s10, s10, s11
	s_add_i32 s10, s10, 0x487ffff
	s_lshr_b32 s17, s10, 20
	s_mov_b64 s[12:13], 0
	s_mov_b64 s[10:11], -1
	s_branch .LBB166_566
.LBB166_562:
	s_mov_b64 s[10:11], 0
	s_cbranch_execnz .LBB166_623
.LBB166_563:
	s_andn2_b64 vcc, exec, s[10:11]
	s_cbranch_vccz .LBB166_661
	s_branch .LBB166_832
.LBB166_564:
	s_or_b64 s[4:5], s[0:1], exec
	s_trap 2
	s_cbranch_execz .LBB166_494
	s_branch .LBB166_495
.LBB166_565:
	s_mov_b64 s[12:13], -1
	s_mov_b64 s[10:11], 0
                                        ; implicit-def: $sgpr17
.LBB166_566:
	s_andn2_b64 vcc, exec, s[12:13]
	v_mov_b32_e32 v4, s17
	s_cbranch_vccnz .LBB166_568
; %bb.567:
	v_add_f32_e32 v3, 0x46000000, v3
	v_and_b32_e32 v4, 0xff, v3
	v_cmp_ne_u32_e64 s[10:11], 0, v4
.LBB166_568:
	s_andn2_b64 vcc, exec, s[10:11]
	v_mov_b32_e32 v5, 0
	s_cbranch_vccnz .LBB166_570
; %bb.569:
	v_mov_b32_e32 v5, v4
.LBB166_570:
	global_store_byte v[0:1], v5, off
.LBB166_571:
	s_mov_b64 s[10:11], -1
.LBB166_572:
	s_mov_b64 s[12:13], 0
.LBB166_573:
	s_and_b64 vcc, exec, s[12:13]
	s_cbranch_vccz .LBB166_619
; %bb.574:
	s_cmp_gt_i32 s16, 22
	s_mov_b64 s[8:9], -1
	s_cbranch_scc0 .LBB166_612
; %bb.575:
	s_cmp_lt_i32 s16, 24
	s_cbranch_scc1 .LBB166_599
; %bb.576:
	s_cmp_gt_i32 s16, 24
	s_cbranch_scc0 .LBB166_586
; %bb.577:
	v_cvt_f32_u32_e32 v3, s23
	s_mov_b32 s9, 0x477fffff
	v_mov_b32_e32 v5, 0x80
	v_cmp_lt_u32_e32 vcc, s9, v3
	v_readfirstlane_b32 s8, v3
	s_cbranch_vccnz .LBB166_585
; %bb.578:
	s_cmp_gt_u32 s8, 0x37ffffff
	s_cbranch_scc0 .LBB166_580
; %bb.579:
	s_bfe_u32 s9, s8, 0x10015
	s_add_i32 s8, s8, s9
	s_add_i32 s8, s8, 0x88fffff
	s_lshr_b32 s12, s8, 21
	s_mov_b64 s[10:11], 0
	s_mov_b64 s[8:9], -1
	s_branch .LBB166_581
.LBB166_580:
	s_mov_b64 s[10:11], -1
	s_mov_b64 s[8:9], 0
                                        ; implicit-def: $sgpr12
.LBB166_581:
	s_andn2_b64 vcc, exec, s[10:11]
	v_mov_b32_e32 v4, s12
	s_cbranch_vccnz .LBB166_583
; %bb.582:
	v_add_f32_e32 v3, 0x42800000, v3
	v_and_b32_e32 v4, 0xff, v3
	v_cmp_ne_u32_e64 s[8:9], 0, v4
.LBB166_583:
	s_andn2_b64 vcc, exec, s[8:9]
	v_mov_b32_e32 v5, 0
	s_cbranch_vccnz .LBB166_585
; %bb.584:
	v_mov_b32_e32 v5, v4
.LBB166_585:
	s_mov_b64 s[8:9], 0
	global_store_byte v[0:1], v5, off
.LBB166_586:
	s_and_b64 vcc, exec, s[8:9]
	s_cbranch_vccz .LBB166_598
; %bb.587:
	v_cvt_f32_u32_e32 v3, s23
	s_mov_b32 s8, 0x43f00000
	v_cmp_gt_u32_e32 vcc, s8, v3
	v_readfirstlane_b32 s10, v3
	s_cbranch_vccz .LBB166_590
; %bb.588:
	s_cmp_gt_u32 s10, 0x3c7fffff
	s_cbranch_scc0 .LBB166_591
; %bb.589:
	s_bfe_u32 s8, s10, 0x10014
	s_add_i32 s8, s10, s8
	s_add_i32 s8, s8, 0x407ffff
	s_lshr_b32 s9, s8, 20
	s_and_b32 s8, s8, 0xff00000
	s_cmp_lg_u32 s8, 0x7f00000
	s_cselect_b32 s11, s9, 0x7e
	s_mov_b64 s[8:9], 0
	s_branch .LBB166_592
.LBB166_590:
	s_mov_b64 s[8:9], -1
                                        ; implicit-def: $vgpr4
	s_branch .LBB166_595
.LBB166_591:
	s_mov_b64 s[8:9], -1
                                        ; implicit-def: $sgpr11
.LBB166_592:
	s_andn2_b64 vcc, exec, s[8:9]
	v_mov_b32_e32 v4, s11
	s_cbranch_vccnz .LBB166_594
; %bb.593:
	v_add_f32_e32 v4, 0x46800000, v3
.LBB166_594:
	s_mov_b64 s[8:9], 0
.LBB166_595:
	s_andn2_b64 vcc, exec, s[8:9]
	s_cbranch_vccnz .LBB166_597
; %bb.596:
	s_cmp_gt_u32 s10, 0x7f800000
	s_movk_i32 s8, 0x7f
	s_cselect_b32 s8, s8, 0x7e
	v_mov_b32_e32 v4, s8
.LBB166_597:
	global_store_byte v[0:1], v4, off
.LBB166_598:
	s_mov_b64 s[8:9], 0
.LBB166_599:
	s_andn2_b64 vcc, exec, s[8:9]
	s_cbranch_vccnz .LBB166_611
; %bb.600:
	v_cvt_f32_u32_e32 v3, s23
	s_mov_b32 s8, 0x47800000
	v_cmp_gt_u32_e32 vcc, s8, v3
	v_readfirstlane_b32 s10, v3
	s_cbranch_vccz .LBB166_603
; %bb.601:
	s_cmp_gt_u32 s10, 0x387fffff
	s_cbranch_scc0 .LBB166_604
; %bb.602:
	s_bfe_u32 s8, s10, 0x10015
	s_add_i32 s8, s10, s8
	s_add_i32 s8, s8, 0x80fffff
	s_lshr_b32 s11, s8, 21
	s_mov_b64 s[8:9], 0
	s_branch .LBB166_605
.LBB166_603:
	s_mov_b64 s[8:9], -1
                                        ; implicit-def: $vgpr4
	s_branch .LBB166_608
.LBB166_604:
	s_mov_b64 s[8:9], -1
                                        ; implicit-def: $sgpr11
.LBB166_605:
	s_andn2_b64 vcc, exec, s[8:9]
	v_mov_b32_e32 v4, s11
	s_cbranch_vccnz .LBB166_607
; %bb.606:
	v_add_f32_e32 v4, 0x43000000, v3
.LBB166_607:
	s_mov_b64 s[8:9], 0
.LBB166_608:
	s_andn2_b64 vcc, exec, s[8:9]
	s_cbranch_vccnz .LBB166_610
; %bb.609:
	s_cmp_gt_u32 s10, 0x7f800000
	s_movk_i32 s8, 0x7f
	s_cselect_b32 s8, s8, 0x7c
	v_mov_b32_e32 v4, s8
.LBB166_610:
	global_store_byte v[0:1], v4, off
.LBB166_611:
	s_mov_b64 s[8:9], 0
	s_mov_b64 s[10:11], -1
.LBB166_612:
	s_andn2_b64 vcc, exec, s[8:9]
	s_mov_b64 s[8:9], 0
	s_cbranch_vccnz .LBB166_619
; %bb.613:
	s_cmp_gt_i32 s16, 14
	s_mov_b64 s[12:13], -1
	s_cbranch_scc0 .LBB166_617
; %bb.614:
	s_cmp_eq_u32 s16, 15
	s_mov_b64 s[6:7], -1
	s_cbranch_scc0 .LBB166_616
; %bb.615:
	v_cvt_f32_u32_e32 v3, s23
	s_mov_b64 s[6:7], 0
	s_mov_b64 s[10:11], -1
	v_bfe_u32 v4, v3, 16, 1
	v_add_u32_e32 v3, v3, v4
	v_add_u32_e32 v3, 0x7fff, v3
	global_store_short_d16_hi v[0:1], v3, off
.LBB166_616:
	s_mov_b64 s[12:13], 0
.LBB166_617:
	s_and_b64 vcc, exec, s[12:13]
	s_cbranch_vccz .LBB166_619
; %bb.618:
	s_cmp_lg_u32 s16, 11
	s_mov_b64 s[8:9], -1
	s_cselect_b64 s[6:7], -1, 0
.LBB166_619:
	s_and_b64 vcc, exec, s[6:7]
	s_cbranch_vccnz .LBB166_721
; %bb.620:
	s_andn2_b64 vcc, exec, s[8:9]
	s_cbranch_vccnz .LBB166_622
.LBB166_621:
	s_cmp_lg_u32 s23, 0
	s_cselect_b64 s[6:7], -1, 0
	v_cndmask_b32_e64 v3, 0, 1, s[6:7]
	s_mov_b64 s[10:11], -1
	global_store_byte v[0:1], v3, off
.LBB166_622:
	s_branch .LBB166_563
.LBB166_623:
	s_and_b32 s8, 0xffff, s14
	s_cmp_lt_i32 s8, 5
	s_mov_b64 s[6:7], -1
	s_cbranch_scc1 .LBB166_644
; %bb.624:
	s_cmp_lt_i32 s8, 8
	s_cbranch_scc1 .LBB166_634
; %bb.625:
	s_cmp_lt_i32 s8, 9
	s_cbranch_scc1 .LBB166_631
; %bb.626:
	s_cmp_gt_i32 s8, 9
	s_cbranch_scc0 .LBB166_628
; %bb.627:
	v_cvt_f64_u32_e32 v[3:4], s23
	v_mov_b32_e32 v5, 0
	v_mov_b32_e32 v6, v5
	s_mov_b64 s[6:7], 0
	global_store_dwordx4 v[0:1], v[3:6], off
.LBB166_628:
	s_andn2_b64 vcc, exec, s[6:7]
	s_cbranch_vccnz .LBB166_630
; %bb.629:
	v_cvt_f32_u32_e32 v3, s23
	v_mov_b32_e32 v4, 0
	global_store_dwordx2 v[0:1], v[3:4], off
.LBB166_630:
	s_mov_b64 s[6:7], 0
.LBB166_631:
	s_andn2_b64 vcc, exec, s[6:7]
	s_cbranch_vccnz .LBB166_633
; %bb.632:
	v_cvt_f32_u32_e32 v3, s23
	v_cvt_f16_f32_e32 v3, v3
	global_store_dword v[0:1], v3, off
.LBB166_633:
	s_mov_b64 s[6:7], 0
.LBB166_634:
	s_andn2_b64 vcc, exec, s[6:7]
	s_cbranch_vccnz .LBB166_643
; %bb.635:
	s_cmp_lt_i32 s8, 6
	s_mov_b64 s[6:7], -1
	s_cbranch_scc1 .LBB166_641
; %bb.636:
	s_cmp_gt_i32 s8, 6
	s_cbranch_scc0 .LBB166_638
; %bb.637:
	v_cvt_f64_u32_e32 v[3:4], s23
	s_mov_b64 s[6:7], 0
	global_store_dwordx2 v[0:1], v[3:4], off
.LBB166_638:
	s_andn2_b64 vcc, exec, s[6:7]
	s_cbranch_vccnz .LBB166_640
; %bb.639:
	v_cvt_f32_u32_e32 v3, s23
	global_store_dword v[0:1], v3, off
.LBB166_640:
	s_mov_b64 s[6:7], 0
.LBB166_641:
	s_andn2_b64 vcc, exec, s[6:7]
	s_cbranch_vccnz .LBB166_643
; %bb.642:
	v_cvt_f32_u32_e32 v3, s23
	v_cvt_f16_f32_e32 v3, v3
	global_store_short v[0:1], v3, off
.LBB166_643:
	s_mov_b64 s[6:7], 0
.LBB166_644:
	s_andn2_b64 vcc, exec, s[6:7]
	s_cbranch_vccnz .LBB166_660
; %bb.645:
	s_cmp_lt_i32 s8, 2
	s_mov_b64 s[6:7], -1
	s_cbranch_scc1 .LBB166_655
; %bb.646:
	s_cmp_lt_i32 s8, 3
	s_cbranch_scc1 .LBB166_652
; %bb.647:
	s_cmp_gt_i32 s8, 3
	s_cbranch_scc0 .LBB166_649
; %bb.648:
	v_mov_b32_e32 v3, s23
	v_mov_b32_e32 v4, 0
	global_store_dwordx2 v[0:1], v[3:4], off
	s_mov_b64 s[6:7], 0
.LBB166_649:
	s_andn2_b64 vcc, exec, s[6:7]
	s_cbranch_vccnz .LBB166_651
; %bb.650:
	v_mov_b32_e32 v3, s23
	global_store_dword v[0:1], v3, off
.LBB166_651:
	s_mov_b64 s[6:7], 0
.LBB166_652:
	s_andn2_b64 vcc, exec, s[6:7]
	s_cbranch_vccnz .LBB166_654
; %bb.653:
	v_mov_b32_e32 v3, s23
	global_store_short v[0:1], v3, off
.LBB166_654:
	s_mov_b64 s[6:7], 0
.LBB166_655:
	s_andn2_b64 vcc, exec, s[6:7]
	s_cbranch_vccnz .LBB166_660
; %bb.656:
	s_cmp_gt_i32 s8, 0
	s_mov_b64 s[6:7], -1
	s_cbranch_scc0 .LBB166_658
; %bb.657:
	v_mov_b32_e32 v3, s23
	global_store_byte v[0:1], v3, off
	s_mov_b64 s[6:7], 0
.LBB166_658:
	s_andn2_b64 vcc, exec, s[6:7]
	s_cbranch_vccnz .LBB166_660
; %bb.659:
	v_mov_b32_e32 v3, s23
	global_store_byte v[0:1], v3, off
.LBB166_660:
.LBB166_661:
	v_add_u32_e32 v2, s15, v2
	v_ashrrev_i32_e32 v1, 31, v2
	v_mov_b32_e32 v3, s21
	v_add_co_u32_e32 v0, vcc, s20, v2
	s_cmp_lt_i32 s14, 11
	v_addc_co_u32_e32 v1, vcc, v3, v1, vcc
	s_cbranch_scc1 .LBB166_689
; %bb.662:
	s_and_b32 s16, 0xffff, s14
	s_mov_b64 s[12:13], -1
	s_mov_b64 s[8:9], 0
	s_cmp_gt_i32 s16, 25
	s_mov_b64 s[10:11], 0
	s_mov_b64 s[6:7], 0
	s_cbranch_scc0 .LBB166_730
; %bb.663:
	s_cmp_gt_i32 s16, 28
	s_cbranch_scc0 .LBB166_678
; %bb.664:
	s_cmp_gt_i32 s16, 43
	;; [unrolled: 3-line block ×3, first 2 shown]
	s_cbranch_scc0 .LBB166_668
; %bb.666:
	s_mov_b64 s[6:7], -1
	s_mov_b64 s[12:13], 0
	s_cmp_eq_u32 s16, 46
	s_cbranch_scc0 .LBB166_668
; %bb.667:
	v_cvt_f32_u32_e32 v3, s23
	s_mov_b64 s[6:7], 0
	s_mov_b64 s[10:11], -1
	v_bfe_u32 v4, v3, 16, 1
	v_add_u32_e32 v3, v3, v4
	v_add_u32_e32 v3, 0x7fff, v3
	v_lshrrev_b32_e32 v3, 16, v3
	global_store_dword v[0:1], v3, off
.LBB166_668:
	s_and_b64 vcc, exec, s[12:13]
	s_cbranch_vccz .LBB166_673
; %bb.669:
	s_cmp_eq_u32 s16, 44
	s_mov_b64 s[6:7], -1
	s_cbranch_scc0 .LBB166_673
; %bb.670:
	v_cvt_f32_u32_e32 v3, s23
	v_readfirstlane_b32 s7, v3
	s_lshr_b32 s6, s7, 23
	s_cmpk_eq_i32 s6, 0xff
	v_mov_b32_e32 v3, 0xff
	s_cbranch_scc1 .LBB166_672
; %bb.671:
	s_bitcmp1_b32 s7, 22
	s_cselect_b64 s[10:11], -1, 0
	s_and_b32 s7, s7, 0x3fffff
	s_or_b32 s7, s6, s7
	s_cmp_lg_u32 s7, 0
	s_cselect_b64 s[12:13], -1, 0
	s_and_b64 s[10:11], s[10:11], s[12:13]
	v_cndmask_b32_e64 v3, 0, 1, s[10:11]
	v_add_u32_e32 v3, s6, v3
.LBB166_672:
	s_mov_b64 s[6:7], 0
	s_mov_b64 s[10:11], -1
	global_store_byte v[0:1], v3, off
.LBB166_673:
	s_mov_b64 s[12:13], 0
.LBB166_674:
	s_and_b64 vcc, exec, s[12:13]
	s_cbranch_vccz .LBB166_677
; %bb.675:
	s_cmp_eq_u32 s16, 29
	s_mov_b64 s[6:7], -1
	s_cbranch_scc0 .LBB166_677
; %bb.676:
	v_mov_b32_e32 v3, s23
	v_mov_b32_e32 v4, 0
	global_store_dwordx2 v[0:1], v[3:4], off
	s_mov_b64 s[6:7], 0
	s_mov_b64 s[10:11], -1
.LBB166_677:
	s_mov_b64 s[12:13], 0
.LBB166_678:
	s_and_b64 vcc, exec, s[12:13]
	s_cbranch_vccz .LBB166_729
; %bb.679:
	s_cmp_lt_i32 s16, 27
	s_mov_b64 s[10:11], -1
	s_cbranch_scc1 .LBB166_685
; %bb.680:
	s_cmp_gt_i32 s16, 27
	s_cbranch_scc0 .LBB166_682
; %bb.681:
	v_mov_b32_e32 v3, s23
	s_mov_b64 s[10:11], 0
	global_store_dword v[0:1], v3, off
.LBB166_682:
	s_andn2_b64 vcc, exec, s[10:11]
	s_cbranch_vccnz .LBB166_684
; %bb.683:
	v_mov_b32_e32 v3, s23
	global_store_short v[0:1], v3, off
.LBB166_684:
	s_mov_b64 s[10:11], 0
.LBB166_685:
	s_andn2_b64 vcc, exec, s[10:11]
	s_cbranch_vccnz .LBB166_728
; %bb.686:
	v_cvt_f32_u32_e32 v3, s23
	s_mov_b32 s11, 0x437fffff
	v_mov_b32_e32 v5, 0x80
	v_cmp_lt_u32_e32 vcc, s11, v3
	v_readfirstlane_b32 s10, v3
	s_cbranch_vccnz .LBB166_727
; %bb.687:
	s_cmp_gt_u32 s10, 0x3bffffff
	s_cbranch_scc0 .LBB166_722
; %bb.688:
	s_bfe_u32 s11, s10, 0x10014
	s_add_i32 s10, s10, s11
	s_add_i32 s10, s10, 0x487ffff
	s_lshr_b32 s17, s10, 20
	s_mov_b64 s[12:13], 0
	s_mov_b64 s[10:11], -1
	s_branch .LBB166_723
.LBB166_689:
	s_mov_b64 s[10:11], 0
	s_cbranch_execnz .LBB166_794
.LBB166_690:
	s_andn2_b64 vcc, exec, s[10:11]
	s_cbranch_vccnz .LBB166_832
.LBB166_691:
	v_add_u32_e32 v0, s15, v2
	v_ashrrev_i32_e32 v1, 31, v0
	v_mov_b32_e32 v2, s21
	v_add_co_u32_e32 v0, vcc, s20, v0
	s_cmp_lt_i32 s14, 11
	v_addc_co_u32_e32 v1, vcc, v2, v1, vcc
	s_cbranch_scc1 .LBB166_720
; %bb.692:
	s_and_b32 s15, 0xffff, s14
	s_mov_b64 s[10:11], -1
	s_mov_b64 s[8:9], 0
	s_cmp_gt_i32 s15, 25
	s_mov_b64 s[6:7], 0
	s_cbranch_scc0 .LBB166_744
; %bb.693:
	s_cmp_gt_i32 s15, 28
	s_cbranch_scc0 .LBB166_709
; %bb.694:
	s_cmp_gt_i32 s15, 43
	;; [unrolled: 3-line block ×3, first 2 shown]
	s_cbranch_scc0 .LBB166_699
; %bb.696:
	s_cmp_eq_u32 s15, 46
	s_mov_b64 s[6:7], -1
	s_cbranch_scc0 .LBB166_698
; %bb.697:
	v_cvt_f32_u32_e32 v2, s23
	s_mov_b64 s[6:7], 0
	v_bfe_u32 v3, v2, 16, 1
	v_add_u32_e32 v2, v2, v3
	v_add_u32_e32 v2, 0x7fff, v2
	v_lshrrev_b32_e32 v2, 16, v2
	global_store_dword v[0:1], v2, off
.LBB166_698:
	s_mov_b64 s[10:11], 0
.LBB166_699:
	s_and_b64 vcc, exec, s[10:11]
	s_cbranch_vccz .LBB166_704
; %bb.700:
	s_cmp_eq_u32 s15, 44
	s_mov_b64 s[6:7], -1
	s_cbranch_scc0 .LBB166_704
; %bb.701:
	v_cvt_f32_u32_e32 v2, s23
	v_readfirstlane_b32 s7, v2
	s_lshr_b32 s6, s7, 23
	s_cmpk_eq_i32 s6, 0xff
	v_mov_b32_e32 v2, 0xff
	s_cbranch_scc1 .LBB166_703
; %bb.702:
	s_bitcmp1_b32 s7, 22
	s_cselect_b64 s[10:11], -1, 0
	s_and_b32 s7, s7, 0x3fffff
	s_or_b32 s7, s6, s7
	s_cmp_lg_u32 s7, 0
	s_cselect_b64 s[12:13], -1, 0
	s_and_b64 s[10:11], s[10:11], s[12:13]
	v_cndmask_b32_e64 v2, 0, 1, s[10:11]
	v_add_u32_e32 v2, s6, v2
.LBB166_703:
	s_mov_b64 s[6:7], 0
	global_store_byte v[0:1], v2, off
.LBB166_704:
	s_mov_b64 s[10:11], 0
.LBB166_705:
	s_and_b64 vcc, exec, s[10:11]
	s_cbranch_vccz .LBB166_708
; %bb.706:
	s_cmp_eq_u32 s15, 29
	s_mov_b64 s[6:7], -1
	s_cbranch_scc0 .LBB166_708
; %bb.707:
	v_mov_b32_e32 v2, s23
	v_mov_b32_e32 v3, 0
	global_store_dwordx2 v[0:1], v[2:3], off
	s_mov_b64 s[6:7], 0
.LBB166_708:
	s_mov_b64 s[10:11], 0
.LBB166_709:
	s_and_b64 vcc, exec, s[10:11]
	s_cbranch_vccz .LBB166_743
; %bb.710:
	s_cmp_lt_i32 s15, 27
	s_mov_b64 s[10:11], -1
	s_cbranch_scc1 .LBB166_716
; %bb.711:
	s_cmp_gt_i32 s15, 27
	s_cbranch_scc0 .LBB166_713
; %bb.712:
	v_mov_b32_e32 v2, s23
	global_store_dword v[0:1], v2, off
	s_mov_b64 s[10:11], 0
.LBB166_713:
	s_andn2_b64 vcc, exec, s[10:11]
	s_cbranch_vccnz .LBB166_715
; %bb.714:
	v_mov_b32_e32 v2, s23
	global_store_short v[0:1], v2, off
.LBB166_715:
	s_mov_b64 s[10:11], 0
.LBB166_716:
	s_andn2_b64 vcc, exec, s[10:11]
	s_cbranch_vccnz .LBB166_743
; %bb.717:
	v_cvt_f32_u32_e32 v2, s23
	s_mov_b32 s11, 0x437fffff
	v_mov_b32_e32 v4, 0x80
	v_cmp_lt_u32_e32 vcc, s11, v2
	v_readfirstlane_b32 s10, v2
	s_cbranch_vccnz .LBB166_742
; %bb.718:
	s_cmp_gt_u32 s10, 0x3bffffff
	s_cbranch_scc0 .LBB166_737
; %bb.719:
	s_bfe_u32 s11, s10, 0x10014
	s_add_i32 s10, s10, s11
	s_add_i32 s10, s10, 0x487ffff
	s_lshr_b32 s16, s10, 20
	s_mov_b64 s[12:13], 0
	s_mov_b64 s[10:11], -1
	s_branch .LBB166_738
.LBB166_720:
	s_mov_b64 s[8:9], 0
	s_mov_b64 s[6:7], -1
	s_branch .LBB166_833
.LBB166_721:
	s_trap 2
	s_or_b64 s[4:5], s[4:5], exec
	s_cbranch_execz .LBB166_621
	s_branch .LBB166_622
.LBB166_722:
	s_mov_b64 s[12:13], -1
	s_mov_b64 s[10:11], 0
                                        ; implicit-def: $sgpr17
.LBB166_723:
	s_andn2_b64 vcc, exec, s[12:13]
	v_mov_b32_e32 v4, s17
	s_cbranch_vccnz .LBB166_725
; %bb.724:
	v_add_f32_e32 v3, 0x46000000, v3
	v_and_b32_e32 v4, 0xff, v3
	v_cmp_ne_u32_e64 s[10:11], 0, v4
.LBB166_725:
	s_andn2_b64 vcc, exec, s[10:11]
	v_mov_b32_e32 v5, 0
	s_cbranch_vccnz .LBB166_727
; %bb.726:
	v_mov_b32_e32 v5, v4
.LBB166_727:
	global_store_byte v[0:1], v5, off
.LBB166_728:
	s_mov_b64 s[10:11], -1
.LBB166_729:
	s_mov_b64 s[12:13], 0
.LBB166_730:
	s_and_b64 vcc, exec, s[12:13]
	s_cbranch_vccz .LBB166_790
; %bb.731:
	s_cmp_gt_i32 s16, 22
	s_mov_b64 s[8:9], -1
	s_cbranch_scc0 .LBB166_783
; %bb.732:
	s_cmp_lt_i32 s16, 24
	s_cbranch_scc1 .LBB166_770
; %bb.733:
	s_cmp_gt_i32 s16, 24
	s_cbranch_scc0 .LBB166_757
; %bb.734:
	v_cvt_f32_u32_e32 v3, s23
	s_mov_b32 s9, 0x477fffff
	v_mov_b32_e32 v5, 0x80
	v_cmp_lt_u32_e32 vcc, s9, v3
	v_readfirstlane_b32 s8, v3
	s_cbranch_vccnz .LBB166_756
; %bb.735:
	s_cmp_gt_u32 s8, 0x37ffffff
	s_cbranch_scc0 .LBB166_751
; %bb.736:
	s_bfe_u32 s9, s8, 0x10015
	s_add_i32 s8, s8, s9
	s_add_i32 s8, s8, 0x88fffff
	s_lshr_b32 s12, s8, 21
	s_mov_b64 s[10:11], 0
	s_mov_b64 s[8:9], -1
	s_branch .LBB166_752
.LBB166_737:
	s_mov_b64 s[12:13], -1
	s_mov_b64 s[10:11], 0
                                        ; implicit-def: $sgpr16
.LBB166_738:
	s_andn2_b64 vcc, exec, s[12:13]
	v_mov_b32_e32 v3, s16
	s_cbranch_vccnz .LBB166_740
; %bb.739:
	v_add_f32_e32 v2, 0x46000000, v2
	v_and_b32_e32 v3, 0xff, v2
	v_cmp_ne_u32_e64 s[10:11], 0, v3
.LBB166_740:
	s_andn2_b64 vcc, exec, s[10:11]
	v_mov_b32_e32 v4, 0
	s_cbranch_vccnz .LBB166_742
; %bb.741:
	v_mov_b32_e32 v4, v3
.LBB166_742:
	global_store_byte v[0:1], v4, off
.LBB166_743:
	s_mov_b64 s[10:11], 0
.LBB166_744:
	s_and_b64 vcc, exec, s[10:11]
	s_cbranch_vccz .LBB166_914
; %bb.745:
	s_cmp_gt_i32 s15, 22
	s_mov_b64 s[8:9], -1
	s_cbranch_scc0 .LBB166_907
; %bb.746:
	s_cmp_lt_i32 s15, 24
	s_cbranch_scc1 .LBB166_894
; %bb.747:
	s_cmp_gt_i32 s15, 24
	s_cbranch_scc0 .LBB166_881
; %bb.748:
	v_cvt_f32_u32_e32 v2, s23
	s_mov_b32 s9, 0x477fffff
	v_mov_b32_e32 v4, 0x80
	v_cmp_lt_u32_e32 vcc, s9, v2
	v_readfirstlane_b32 s8, v2
	s_cbranch_vccnz .LBB166_880
; %bb.749:
	s_cmp_gt_u32 s8, 0x37ffffff
	s_cbranch_scc0 .LBB166_875
; %bb.750:
	s_bfe_u32 s9, s8, 0x10015
	s_add_i32 s8, s8, s9
	s_add_i32 s8, s8, 0x88fffff
	s_lshr_b32 s12, s8, 21
	s_mov_b64 s[10:11], 0
	s_mov_b64 s[8:9], -1
	s_branch .LBB166_876
.LBB166_751:
	s_mov_b64 s[10:11], -1
	s_mov_b64 s[8:9], 0
                                        ; implicit-def: $sgpr12
.LBB166_752:
	s_andn2_b64 vcc, exec, s[10:11]
	v_mov_b32_e32 v4, s12
	s_cbranch_vccnz .LBB166_754
; %bb.753:
	v_add_f32_e32 v3, 0x42800000, v3
	v_and_b32_e32 v4, 0xff, v3
	v_cmp_ne_u32_e64 s[8:9], 0, v4
.LBB166_754:
	s_andn2_b64 vcc, exec, s[8:9]
	v_mov_b32_e32 v5, 0
	s_cbranch_vccnz .LBB166_756
; %bb.755:
	v_mov_b32_e32 v5, v4
.LBB166_756:
	s_mov_b64 s[8:9], 0
	global_store_byte v[0:1], v5, off
.LBB166_757:
	s_and_b64 vcc, exec, s[8:9]
	s_cbranch_vccz .LBB166_769
; %bb.758:
	v_cvt_f32_u32_e32 v3, s23
	s_mov_b32 s8, 0x43f00000
	v_cmp_gt_u32_e32 vcc, s8, v3
	v_readfirstlane_b32 s10, v3
	s_cbranch_vccz .LBB166_761
; %bb.759:
	s_cmp_gt_u32 s10, 0x3c7fffff
	s_cbranch_scc0 .LBB166_762
; %bb.760:
	s_bfe_u32 s8, s10, 0x10014
	s_add_i32 s8, s10, s8
	s_add_i32 s8, s8, 0x407ffff
	s_lshr_b32 s9, s8, 20
	s_and_b32 s8, s8, 0xff00000
	s_cmp_lg_u32 s8, 0x7f00000
	s_cselect_b32 s11, s9, 0x7e
	s_mov_b64 s[8:9], 0
	s_branch .LBB166_763
.LBB166_761:
	s_mov_b64 s[8:9], -1
                                        ; implicit-def: $vgpr4
	s_branch .LBB166_766
.LBB166_762:
	s_mov_b64 s[8:9], -1
                                        ; implicit-def: $sgpr11
.LBB166_763:
	s_andn2_b64 vcc, exec, s[8:9]
	v_mov_b32_e32 v4, s11
	s_cbranch_vccnz .LBB166_765
; %bb.764:
	v_add_f32_e32 v4, 0x46800000, v3
.LBB166_765:
	s_mov_b64 s[8:9], 0
.LBB166_766:
	s_andn2_b64 vcc, exec, s[8:9]
	s_cbranch_vccnz .LBB166_768
; %bb.767:
	s_cmp_gt_u32 s10, 0x7f800000
	s_movk_i32 s8, 0x7f
	s_cselect_b32 s8, s8, 0x7e
	v_mov_b32_e32 v4, s8
.LBB166_768:
	global_store_byte v[0:1], v4, off
.LBB166_769:
	s_mov_b64 s[8:9], 0
.LBB166_770:
	s_andn2_b64 vcc, exec, s[8:9]
	s_cbranch_vccnz .LBB166_782
; %bb.771:
	v_cvt_f32_u32_e32 v3, s23
	s_mov_b32 s8, 0x47800000
	v_cmp_gt_u32_e32 vcc, s8, v3
	v_readfirstlane_b32 s10, v3
	s_cbranch_vccz .LBB166_774
; %bb.772:
	s_cmp_gt_u32 s10, 0x387fffff
	s_cbranch_scc0 .LBB166_775
; %bb.773:
	s_bfe_u32 s8, s10, 0x10015
	s_add_i32 s8, s10, s8
	s_add_i32 s8, s8, 0x80fffff
	s_lshr_b32 s11, s8, 21
	s_mov_b64 s[8:9], 0
	s_branch .LBB166_776
.LBB166_774:
	s_mov_b64 s[8:9], -1
                                        ; implicit-def: $vgpr4
	s_branch .LBB166_779
.LBB166_775:
	s_mov_b64 s[8:9], -1
                                        ; implicit-def: $sgpr11
.LBB166_776:
	s_andn2_b64 vcc, exec, s[8:9]
	v_mov_b32_e32 v4, s11
	s_cbranch_vccnz .LBB166_778
; %bb.777:
	v_add_f32_e32 v4, 0x43000000, v3
.LBB166_778:
	s_mov_b64 s[8:9], 0
.LBB166_779:
	s_andn2_b64 vcc, exec, s[8:9]
	s_cbranch_vccnz .LBB166_781
; %bb.780:
	s_cmp_gt_u32 s10, 0x7f800000
	s_movk_i32 s8, 0x7f
	s_cselect_b32 s8, s8, 0x7c
	v_mov_b32_e32 v4, s8
.LBB166_781:
	global_store_byte v[0:1], v4, off
.LBB166_782:
	s_mov_b64 s[8:9], 0
	s_mov_b64 s[10:11], -1
.LBB166_783:
	s_andn2_b64 vcc, exec, s[8:9]
	s_mov_b64 s[8:9], 0
	s_cbranch_vccnz .LBB166_790
; %bb.784:
	s_cmp_gt_i32 s16, 14
	s_mov_b64 s[12:13], -1
	s_cbranch_scc0 .LBB166_788
; %bb.785:
	s_cmp_eq_u32 s16, 15
	s_mov_b64 s[6:7], -1
	s_cbranch_scc0 .LBB166_787
; %bb.786:
	v_cvt_f32_u32_e32 v3, s23
	s_mov_b64 s[6:7], 0
	s_mov_b64 s[10:11], -1
	v_bfe_u32 v4, v3, 16, 1
	v_add_u32_e32 v3, v3, v4
	v_add_u32_e32 v3, 0x7fff, v3
	global_store_short_d16_hi v[0:1], v3, off
.LBB166_787:
	s_mov_b64 s[12:13], 0
.LBB166_788:
	s_and_b64 vcc, exec, s[12:13]
	s_cbranch_vccz .LBB166_790
; %bb.789:
	s_cmp_lg_u32 s16, 11
	s_mov_b64 s[8:9], -1
	s_cselect_b64 s[6:7], -1, 0
.LBB166_790:
	s_and_b64 vcc, exec, s[6:7]
	s_cbranch_vccnz .LBB166_874
; %bb.791:
	s_andn2_b64 vcc, exec, s[8:9]
	s_cbranch_vccnz .LBB166_793
.LBB166_792:
	s_cmp_lg_u32 s23, 0
	s_cselect_b64 s[6:7], -1, 0
	v_cndmask_b32_e64 v3, 0, 1, s[6:7]
	s_mov_b64 s[10:11], -1
	global_store_byte v[0:1], v3, off
.LBB166_793:
	s_branch .LBB166_690
.LBB166_794:
	s_and_b32 s8, 0xffff, s14
	s_cmp_lt_i32 s8, 5
	s_mov_b64 s[6:7], -1
	s_cbranch_scc1 .LBB166_815
; %bb.795:
	s_cmp_lt_i32 s8, 8
	s_cbranch_scc1 .LBB166_805
; %bb.796:
	s_cmp_lt_i32 s8, 9
	s_cbranch_scc1 .LBB166_802
; %bb.797:
	s_cmp_gt_i32 s8, 9
	s_cbranch_scc0 .LBB166_799
; %bb.798:
	v_cvt_f64_u32_e32 v[3:4], s23
	v_mov_b32_e32 v5, 0
	v_mov_b32_e32 v6, v5
	s_mov_b64 s[6:7], 0
	global_store_dwordx4 v[0:1], v[3:6], off
.LBB166_799:
	s_andn2_b64 vcc, exec, s[6:7]
	s_cbranch_vccnz .LBB166_801
; %bb.800:
	v_cvt_f32_u32_e32 v3, s23
	v_mov_b32_e32 v4, 0
	global_store_dwordx2 v[0:1], v[3:4], off
.LBB166_801:
	s_mov_b64 s[6:7], 0
.LBB166_802:
	s_andn2_b64 vcc, exec, s[6:7]
	s_cbranch_vccnz .LBB166_804
; %bb.803:
	v_cvt_f32_u32_e32 v3, s23
	v_cvt_f16_f32_e32 v3, v3
	global_store_dword v[0:1], v3, off
.LBB166_804:
	s_mov_b64 s[6:7], 0
.LBB166_805:
	s_andn2_b64 vcc, exec, s[6:7]
	s_cbranch_vccnz .LBB166_814
; %bb.806:
	s_cmp_lt_i32 s8, 6
	s_mov_b64 s[6:7], -1
	s_cbranch_scc1 .LBB166_812
; %bb.807:
	s_cmp_gt_i32 s8, 6
	s_cbranch_scc0 .LBB166_809
; %bb.808:
	v_cvt_f64_u32_e32 v[3:4], s23
	s_mov_b64 s[6:7], 0
	global_store_dwordx2 v[0:1], v[3:4], off
.LBB166_809:
	s_andn2_b64 vcc, exec, s[6:7]
	s_cbranch_vccnz .LBB166_811
; %bb.810:
	v_cvt_f32_u32_e32 v3, s23
	global_store_dword v[0:1], v3, off
.LBB166_811:
	s_mov_b64 s[6:7], 0
.LBB166_812:
	s_andn2_b64 vcc, exec, s[6:7]
	s_cbranch_vccnz .LBB166_814
; %bb.813:
	v_cvt_f32_u32_e32 v3, s23
	v_cvt_f16_f32_e32 v3, v3
	global_store_short v[0:1], v3, off
.LBB166_814:
	s_mov_b64 s[6:7], 0
.LBB166_815:
	s_andn2_b64 vcc, exec, s[6:7]
	s_cbranch_vccnz .LBB166_831
; %bb.816:
	s_cmp_lt_i32 s8, 2
	s_mov_b64 s[6:7], -1
	s_cbranch_scc1 .LBB166_826
; %bb.817:
	s_cmp_lt_i32 s8, 3
	s_cbranch_scc1 .LBB166_823
; %bb.818:
	s_cmp_gt_i32 s8, 3
	s_cbranch_scc0 .LBB166_820
; %bb.819:
	v_mov_b32_e32 v3, s23
	v_mov_b32_e32 v4, 0
	global_store_dwordx2 v[0:1], v[3:4], off
	s_mov_b64 s[6:7], 0
.LBB166_820:
	s_andn2_b64 vcc, exec, s[6:7]
	s_cbranch_vccnz .LBB166_822
; %bb.821:
	v_mov_b32_e32 v3, s23
	global_store_dword v[0:1], v3, off
.LBB166_822:
	s_mov_b64 s[6:7], 0
.LBB166_823:
	s_andn2_b64 vcc, exec, s[6:7]
	s_cbranch_vccnz .LBB166_825
; %bb.824:
	v_mov_b32_e32 v3, s23
	global_store_short v[0:1], v3, off
.LBB166_825:
	s_mov_b64 s[6:7], 0
.LBB166_826:
	s_andn2_b64 vcc, exec, s[6:7]
	s_cbranch_vccnz .LBB166_831
; %bb.827:
	s_cmp_gt_i32 s8, 0
	s_mov_b64 s[6:7], -1
	s_cbranch_scc0 .LBB166_829
; %bb.828:
	v_mov_b32_e32 v3, s23
	global_store_byte v[0:1], v3, off
	s_mov_b64 s[6:7], 0
.LBB166_829:
	s_andn2_b64 vcc, exec, s[6:7]
	s_cbranch_vccnz .LBB166_831
; %bb.830:
	v_mov_b32_e32 v3, s23
	global_store_byte v[0:1], v3, off
.LBB166_831:
	s_branch .LBB166_691
.LBB166_832:
	s_mov_b64 s[6:7], 0
	s_mov_b64 s[8:9], 0
                                        ; implicit-def: $sgpr14
                                        ; implicit-def: $vgpr0_vgpr1
.LBB166_833:
	s_andn2_b64 s[0:1], s[0:1], exec
	s_and_b64 s[4:5], s[4:5], exec
	s_and_b64 s[6:7], s[6:7], exec
	;; [unrolled: 1-line block ×3, first 2 shown]
	s_or_b64 s[0:1], s[0:1], s[4:5]
	s_or_b64 exec, exec, s[2:3]
	s_and_saveexec_b64 s[2:3], s[0:1]
	s_cbranch_execnz .LBB166_434
.LBB166_834:
	s_or_b64 exec, exec, s[2:3]
	s_and_saveexec_b64 s[0:1], s[18:19]
	s_xor_b64 s[0:1], exec, s[0:1]
	s_cbranch_execz .LBB166_435
.LBB166_835:
	s_cmp_lg_u32 s23, 0
	s_cselect_b64 s[2:3], -1, 0
	v_cndmask_b32_e64 v2, 0, 1, s[2:3]
	global_store_byte v[0:1], v2, off
	s_or_b64 exec, exec, s[0:1]
	s_and_saveexec_b64 s[0:1], s[6:7]
	s_cbranch_execz .LBB166_873
.LBB166_836:
	s_sext_i32_i16 s2, s14
	s_cmp_lt_i32 s2, 5
	s_mov_b64 s[0:1], -1
	s_cbranch_scc1 .LBB166_857
; %bb.837:
	s_cmp_lt_i32 s2, 8
	s_cbranch_scc1 .LBB166_847
; %bb.838:
	s_cmp_lt_i32 s2, 9
	s_cbranch_scc1 .LBB166_844
; %bb.839:
	s_cmp_gt_i32 s2, 9
	s_cbranch_scc0 .LBB166_841
; %bb.840:
	v_cvt_f64_u32_e32 v[2:3], s23
	v_mov_b32_e32 v4, 0
	v_mov_b32_e32 v5, v4
	s_mov_b64 s[0:1], 0
	global_store_dwordx4 v[0:1], v[2:5], off
.LBB166_841:
	s_andn2_b64 vcc, exec, s[0:1]
	s_cbranch_vccnz .LBB166_843
; %bb.842:
	v_cvt_f32_u32_e32 v2, s23
	v_mov_b32_e32 v3, 0
	global_store_dwordx2 v[0:1], v[2:3], off
.LBB166_843:
	s_mov_b64 s[0:1], 0
.LBB166_844:
	s_andn2_b64 vcc, exec, s[0:1]
	s_cbranch_vccnz .LBB166_846
; %bb.845:
	v_cvt_f32_u32_e32 v2, s23
	v_cvt_f16_f32_e32 v2, v2
	global_store_dword v[0:1], v2, off
.LBB166_846:
	s_mov_b64 s[0:1], 0
.LBB166_847:
	s_andn2_b64 vcc, exec, s[0:1]
	s_cbranch_vccnz .LBB166_856
; %bb.848:
	s_sext_i32_i16 s2, s14
	s_cmp_lt_i32 s2, 6
	s_mov_b64 s[0:1], -1
	s_cbranch_scc1 .LBB166_854
; %bb.849:
	s_cmp_gt_i32 s2, 6
	s_cbranch_scc0 .LBB166_851
; %bb.850:
	v_cvt_f64_u32_e32 v[2:3], s23
	s_mov_b64 s[0:1], 0
	global_store_dwordx2 v[0:1], v[2:3], off
.LBB166_851:
	s_andn2_b64 vcc, exec, s[0:1]
	s_cbranch_vccnz .LBB166_853
; %bb.852:
	v_cvt_f32_u32_e32 v2, s23
	global_store_dword v[0:1], v2, off
.LBB166_853:
	s_mov_b64 s[0:1], 0
.LBB166_854:
	s_andn2_b64 vcc, exec, s[0:1]
	s_cbranch_vccnz .LBB166_856
; %bb.855:
	v_cvt_f32_u32_e32 v2, s23
	v_cvt_f16_f32_e32 v2, v2
	global_store_short v[0:1], v2, off
.LBB166_856:
	s_mov_b64 s[0:1], 0
.LBB166_857:
	s_andn2_b64 vcc, exec, s[0:1]
	s_cbranch_vccnz .LBB166_873
; %bb.858:
	s_sext_i32_i16 s2, s14
	s_cmp_lt_i32 s2, 2
	s_mov_b64 s[0:1], -1
	s_cbranch_scc1 .LBB166_868
; %bb.859:
	s_cmp_lt_i32 s2, 3
	s_cbranch_scc1 .LBB166_865
; %bb.860:
	s_cmp_gt_i32 s2, 3
	s_cbranch_scc0 .LBB166_862
; %bb.861:
	v_mov_b32_e32 v2, s23
	v_mov_b32_e32 v3, 0
	global_store_dwordx2 v[0:1], v[2:3], off
	s_mov_b64 s[0:1], 0
.LBB166_862:
	s_andn2_b64 vcc, exec, s[0:1]
	s_cbranch_vccnz .LBB166_864
; %bb.863:
	v_mov_b32_e32 v2, s23
	global_store_dword v[0:1], v2, off
.LBB166_864:
	s_mov_b64 s[0:1], 0
.LBB166_865:
	s_andn2_b64 vcc, exec, s[0:1]
	s_cbranch_vccnz .LBB166_867
; %bb.866:
	v_mov_b32_e32 v2, s23
	global_store_short v[0:1], v2, off
.LBB166_867:
	s_mov_b64 s[0:1], 0
.LBB166_868:
	s_andn2_b64 vcc, exec, s[0:1]
	s_cbranch_vccnz .LBB166_873
; %bb.869:
	s_sext_i32_i16 s0, s14
	s_cmp_gt_i32 s0, 0
	s_mov_b64 s[0:1], -1
	s_cbranch_scc0 .LBB166_871
; %bb.870:
	v_mov_b32_e32 v2, s23
	global_store_byte v[0:1], v2, off
	s_mov_b64 s[0:1], 0
.LBB166_871:
	s_andn2_b64 vcc, exec, s[0:1]
	s_cbranch_vccnz .LBB166_873
; %bb.872:
	v_mov_b32_e32 v2, s23
	global_store_byte v[0:1], v2, off
	s_endpgm
.LBB166_873:
	s_endpgm
.LBB166_874:
	s_trap 2
	s_or_b64 s[4:5], s[4:5], exec
	s_cbranch_execz .LBB166_792
	s_branch .LBB166_793
.LBB166_875:
	s_mov_b64 s[10:11], -1
	s_mov_b64 s[8:9], 0
                                        ; implicit-def: $sgpr12
.LBB166_876:
	s_andn2_b64 vcc, exec, s[10:11]
	v_mov_b32_e32 v3, s12
	s_cbranch_vccnz .LBB166_878
; %bb.877:
	v_add_f32_e32 v2, 0x42800000, v2
	v_and_b32_e32 v3, 0xff, v2
	v_cmp_ne_u32_e64 s[8:9], 0, v3
.LBB166_878:
	s_andn2_b64 vcc, exec, s[8:9]
	v_mov_b32_e32 v4, 0
	s_cbranch_vccnz .LBB166_880
; %bb.879:
	v_mov_b32_e32 v4, v3
.LBB166_880:
	s_mov_b64 s[8:9], 0
	global_store_byte v[0:1], v4, off
.LBB166_881:
	s_and_b64 vcc, exec, s[8:9]
	s_cbranch_vccz .LBB166_893
; %bb.882:
	v_cvt_f32_u32_e32 v2, s23
	s_mov_b32 s8, 0x43f00000
	v_cmp_gt_u32_e32 vcc, s8, v2
	v_readfirstlane_b32 s10, v2
	s_cbranch_vccz .LBB166_885
; %bb.883:
	s_cmp_gt_u32 s10, 0x3c7fffff
	s_cbranch_scc0 .LBB166_886
; %bb.884:
	s_bfe_u32 s8, s10, 0x10014
	s_add_i32 s8, s10, s8
	s_add_i32 s8, s8, 0x407ffff
	s_lshr_b32 s9, s8, 20
	s_and_b32 s8, s8, 0xff00000
	s_cmp_lg_u32 s8, 0x7f00000
	s_cselect_b32 s11, s9, 0x7e
	s_mov_b64 s[8:9], 0
	s_branch .LBB166_887
.LBB166_885:
	s_mov_b64 s[8:9], -1
                                        ; implicit-def: $vgpr3
	s_branch .LBB166_890
.LBB166_886:
	s_mov_b64 s[8:9], -1
                                        ; implicit-def: $sgpr11
.LBB166_887:
	s_andn2_b64 vcc, exec, s[8:9]
	v_mov_b32_e32 v3, s11
	s_cbranch_vccnz .LBB166_889
; %bb.888:
	v_add_f32_e32 v3, 0x46800000, v2
.LBB166_889:
	s_mov_b64 s[8:9], 0
.LBB166_890:
	s_andn2_b64 vcc, exec, s[8:9]
	s_cbranch_vccnz .LBB166_892
; %bb.891:
	s_cmp_gt_u32 s10, 0x7f800000
	s_movk_i32 s8, 0x7f
	s_cselect_b32 s8, s8, 0x7e
	v_mov_b32_e32 v3, s8
.LBB166_892:
	global_store_byte v[0:1], v3, off
.LBB166_893:
	s_mov_b64 s[8:9], 0
.LBB166_894:
	s_andn2_b64 vcc, exec, s[8:9]
	s_cbranch_vccnz .LBB166_906
; %bb.895:
	v_cvt_f32_u32_e32 v2, s23
	s_mov_b32 s8, 0x47800000
	v_cmp_gt_u32_e32 vcc, s8, v2
	v_readfirstlane_b32 s10, v2
	s_cbranch_vccz .LBB166_898
; %bb.896:
	s_cmp_gt_u32 s10, 0x387fffff
	s_cbranch_scc0 .LBB166_899
; %bb.897:
	s_bfe_u32 s8, s10, 0x10015
	s_add_i32 s8, s10, s8
	s_add_i32 s8, s8, 0x80fffff
	s_lshr_b32 s11, s8, 21
	s_mov_b64 s[8:9], 0
	s_branch .LBB166_900
.LBB166_898:
	s_mov_b64 s[8:9], -1
                                        ; implicit-def: $vgpr3
	s_branch .LBB166_903
.LBB166_899:
	s_mov_b64 s[8:9], -1
                                        ; implicit-def: $sgpr11
.LBB166_900:
	s_andn2_b64 vcc, exec, s[8:9]
	v_mov_b32_e32 v3, s11
	s_cbranch_vccnz .LBB166_902
; %bb.901:
	v_add_f32_e32 v3, 0x43000000, v2
.LBB166_902:
	s_mov_b64 s[8:9], 0
.LBB166_903:
	s_andn2_b64 vcc, exec, s[8:9]
	s_cbranch_vccnz .LBB166_905
; %bb.904:
	s_cmp_gt_u32 s10, 0x7f800000
	s_movk_i32 s8, 0x7f
	s_cselect_b32 s8, s8, 0x7c
	v_mov_b32_e32 v3, s8
.LBB166_905:
	global_store_byte v[0:1], v3, off
.LBB166_906:
	s_mov_b64 s[8:9], 0
.LBB166_907:
	s_andn2_b64 vcc, exec, s[8:9]
	s_mov_b64 s[8:9], 0
	s_cbranch_vccnz .LBB166_914
; %bb.908:
	s_cmp_gt_i32 s15, 14
	s_mov_b64 s[10:11], -1
	s_cbranch_scc0 .LBB166_912
; %bb.909:
	s_cmp_eq_u32 s15, 15
	s_mov_b64 s[6:7], -1
	s_cbranch_scc0 .LBB166_911
; %bb.910:
	v_cvt_f32_u32_e32 v2, s23
	s_mov_b64 s[6:7], 0
	v_bfe_u32 v3, v2, 16, 1
	v_add_u32_e32 v2, v2, v3
	v_add_u32_e32 v2, 0x7fff, v2
	global_store_short_d16_hi v[0:1], v2, off
.LBB166_911:
	s_mov_b64 s[10:11], 0
.LBB166_912:
	s_and_b64 vcc, exec, s[10:11]
	s_cbranch_vccz .LBB166_914
; %bb.913:
	s_cmp_lg_u32 s15, 11
	s_mov_b64 s[8:9], -1
	s_cselect_b64 s[6:7], -1, 0
.LBB166_914:
	s_and_b64 vcc, exec, s[6:7]
	s_cbranch_vccnz .LBB166_916
.LBB166_915:
	s_mov_b64 s[6:7], 0
	s_branch .LBB166_833
.LBB166_916:
	s_mov_b64 s[8:9], 0
	s_or_b64 s[4:5], s[4:5], exec
	s_trap 2
	s_branch .LBB166_915
	.section	.rodata,"a",@progbits
	.p2align	6, 0x0
	.amdhsa_kernel _ZN2at6native32elementwise_kernel_manual_unrollILi128ELi4EZNS0_15gpu_kernel_implINS0_11FillFunctorIjEEEEvRNS_18TensorIteratorBaseERKT_EUlibE_EEviT1_
		.amdhsa_group_segment_fixed_size 0
		.amdhsa_private_segment_fixed_size 0
		.amdhsa_kernarg_size 32
		.amdhsa_user_sgpr_count 6
		.amdhsa_user_sgpr_private_segment_buffer 1
		.amdhsa_user_sgpr_dispatch_ptr 0
		.amdhsa_user_sgpr_queue_ptr 0
		.amdhsa_user_sgpr_kernarg_segment_ptr 1
		.amdhsa_user_sgpr_dispatch_id 0
		.amdhsa_user_sgpr_flat_scratch_init 0
		.amdhsa_user_sgpr_private_segment_size 0
		.amdhsa_uses_dynamic_stack 0
		.amdhsa_system_sgpr_private_segment_wavefront_offset 0
		.amdhsa_system_sgpr_workgroup_id_x 1
		.amdhsa_system_sgpr_workgroup_id_y 0
		.amdhsa_system_sgpr_workgroup_id_z 0
		.amdhsa_system_sgpr_workgroup_info 0
		.amdhsa_system_vgpr_workitem_id 0
		.amdhsa_next_free_vgpr 23
		.amdhsa_next_free_sgpr 55
		.amdhsa_reserve_vcc 1
		.amdhsa_reserve_flat_scratch 0
		.amdhsa_float_round_mode_32 0
		.amdhsa_float_round_mode_16_64 0
		.amdhsa_float_denorm_mode_32 3
		.amdhsa_float_denorm_mode_16_64 3
		.amdhsa_dx10_clamp 1
		.amdhsa_ieee_mode 1
		.amdhsa_fp16_overflow 0
		.amdhsa_exception_fp_ieee_invalid_op 0
		.amdhsa_exception_fp_denorm_src 0
		.amdhsa_exception_fp_ieee_div_zero 0
		.amdhsa_exception_fp_ieee_overflow 0
		.amdhsa_exception_fp_ieee_underflow 0
		.amdhsa_exception_fp_ieee_inexact 0
		.amdhsa_exception_int_div_zero 0
	.end_amdhsa_kernel
	.section	.text._ZN2at6native32elementwise_kernel_manual_unrollILi128ELi4EZNS0_15gpu_kernel_implINS0_11FillFunctorIjEEEEvRNS_18TensorIteratorBaseERKT_EUlibE_EEviT1_,"axG",@progbits,_ZN2at6native32elementwise_kernel_manual_unrollILi128ELi4EZNS0_15gpu_kernel_implINS0_11FillFunctorIjEEEEvRNS_18TensorIteratorBaseERKT_EUlibE_EEviT1_,comdat
.Lfunc_end166:
	.size	_ZN2at6native32elementwise_kernel_manual_unrollILi128ELi4EZNS0_15gpu_kernel_implINS0_11FillFunctorIjEEEEvRNS_18TensorIteratorBaseERKT_EUlibE_EEviT1_, .Lfunc_end166-_ZN2at6native32elementwise_kernel_manual_unrollILi128ELi4EZNS0_15gpu_kernel_implINS0_11FillFunctorIjEEEEvRNS_18TensorIteratorBaseERKT_EUlibE_EEviT1_
                                        ; -- End function
	.set _ZN2at6native32elementwise_kernel_manual_unrollILi128ELi4EZNS0_15gpu_kernel_implINS0_11FillFunctorIjEEEEvRNS_18TensorIteratorBaseERKT_EUlibE_EEviT1_.num_vgpr, 23
	.set _ZN2at6native32elementwise_kernel_manual_unrollILi128ELi4EZNS0_15gpu_kernel_implINS0_11FillFunctorIjEEEEvRNS_18TensorIteratorBaseERKT_EUlibE_EEviT1_.num_agpr, 0
	.set _ZN2at6native32elementwise_kernel_manual_unrollILi128ELi4EZNS0_15gpu_kernel_implINS0_11FillFunctorIjEEEEvRNS_18TensorIteratorBaseERKT_EUlibE_EEviT1_.numbered_sgpr, 55
	.set _ZN2at6native32elementwise_kernel_manual_unrollILi128ELi4EZNS0_15gpu_kernel_implINS0_11FillFunctorIjEEEEvRNS_18TensorIteratorBaseERKT_EUlibE_EEviT1_.num_named_barrier, 0
	.set _ZN2at6native32elementwise_kernel_manual_unrollILi128ELi4EZNS0_15gpu_kernel_implINS0_11FillFunctorIjEEEEvRNS_18TensorIteratorBaseERKT_EUlibE_EEviT1_.private_seg_size, 0
	.set _ZN2at6native32elementwise_kernel_manual_unrollILi128ELi4EZNS0_15gpu_kernel_implINS0_11FillFunctorIjEEEEvRNS_18TensorIteratorBaseERKT_EUlibE_EEviT1_.uses_vcc, 1
	.set _ZN2at6native32elementwise_kernel_manual_unrollILi128ELi4EZNS0_15gpu_kernel_implINS0_11FillFunctorIjEEEEvRNS_18TensorIteratorBaseERKT_EUlibE_EEviT1_.uses_flat_scratch, 0
	.set _ZN2at6native32elementwise_kernel_manual_unrollILi128ELi4EZNS0_15gpu_kernel_implINS0_11FillFunctorIjEEEEvRNS_18TensorIteratorBaseERKT_EUlibE_EEviT1_.has_dyn_sized_stack, 0
	.set _ZN2at6native32elementwise_kernel_manual_unrollILi128ELi4EZNS0_15gpu_kernel_implINS0_11FillFunctorIjEEEEvRNS_18TensorIteratorBaseERKT_EUlibE_EEviT1_.has_recursion, 0
	.set _ZN2at6native32elementwise_kernel_manual_unrollILi128ELi4EZNS0_15gpu_kernel_implINS0_11FillFunctorIjEEEEvRNS_18TensorIteratorBaseERKT_EUlibE_EEviT1_.has_indirect_call, 0
	.section	.AMDGPU.csdata,"",@progbits
; Kernel info:
; codeLenInByte = 11652
; TotalNumSgprs: 59
; NumVgprs: 23
; ScratchSize: 0
; MemoryBound: 0
; FloatMode: 240
; IeeeMode: 1
; LDSByteSize: 0 bytes/workgroup (compile time only)
; SGPRBlocks: 7
; VGPRBlocks: 5
; NumSGPRsForWavesPerEU: 59
; NumVGPRsForWavesPerEU: 23
; Occupancy: 10
; WaveLimiterHint : 0
; COMPUTE_PGM_RSRC2:SCRATCH_EN: 0
; COMPUTE_PGM_RSRC2:USER_SGPR: 6
; COMPUTE_PGM_RSRC2:TRAP_HANDLER: 0
; COMPUTE_PGM_RSRC2:TGID_X_EN: 1
; COMPUTE_PGM_RSRC2:TGID_Y_EN: 0
; COMPUTE_PGM_RSRC2:TGID_Z_EN: 0
; COMPUTE_PGM_RSRC2:TIDIG_COMP_CNT: 0
	.section	.text._ZN2at6native32elementwise_kernel_manual_unrollILi128ELi4EZNS0_15gpu_kernel_implINS0_11FillFunctorIjEEEEvRNS_18TensorIteratorBaseERKT_EUlibE0_EEviT1_,"axG",@progbits,_ZN2at6native32elementwise_kernel_manual_unrollILi128ELi4EZNS0_15gpu_kernel_implINS0_11FillFunctorIjEEEEvRNS_18TensorIteratorBaseERKT_EUlibE0_EEviT1_,comdat
	.protected	_ZN2at6native32elementwise_kernel_manual_unrollILi128ELi4EZNS0_15gpu_kernel_implINS0_11FillFunctorIjEEEEvRNS_18TensorIteratorBaseERKT_EUlibE0_EEviT1_ ; -- Begin function _ZN2at6native32elementwise_kernel_manual_unrollILi128ELi4EZNS0_15gpu_kernel_implINS0_11FillFunctorIjEEEEvRNS_18TensorIteratorBaseERKT_EUlibE0_EEviT1_
	.globl	_ZN2at6native32elementwise_kernel_manual_unrollILi128ELi4EZNS0_15gpu_kernel_implINS0_11FillFunctorIjEEEEvRNS_18TensorIteratorBaseERKT_EUlibE0_EEviT1_
	.p2align	8
	.type	_ZN2at6native32elementwise_kernel_manual_unrollILi128ELi4EZNS0_15gpu_kernel_implINS0_11FillFunctorIjEEEEvRNS_18TensorIteratorBaseERKT_EUlibE0_EEviT1_,@function
_ZN2at6native32elementwise_kernel_manual_unrollILi128ELi4EZNS0_15gpu_kernel_implINS0_11FillFunctorIjEEEEvRNS_18TensorIteratorBaseERKT_EUlibE0_EEviT1_: ; @_ZN2at6native32elementwise_kernel_manual_unrollILi128ELi4EZNS0_15gpu_kernel_implINS0_11FillFunctorIjEEEEvRNS_18TensorIteratorBaseERKT_EUlibE0_EEviT1_
; %bb.0:
	s_load_dword s83, s[4:5], 0x0
	s_load_dword s33, s[4:5], 0x8
	s_add_u32 s34, s4, 8
	s_addc_u32 s35, s5, 0
	v_lshl_or_b32 v8, s6, 9, v0
	v_or_b32_e32 v9, 0x180, v8
	s_waitcnt lgkmcnt(0)
	s_add_i32 s82, s33, -1
	s_cmp_gt_u32 s82, 1
	v_cmp_le_i32_e32 vcc, s83, v9
	s_cselect_b64 s[48:49], -1, 0
	s_mov_b64 s[18:19], 0
	s_mov_b64 s[20:21], 0
	s_and_saveexec_b64 s[0:1], vcc
	s_xor_b64 s[50:51], exec, s[0:1]
	s_cbranch_execz .LBB167_462
; %bb.1:
	s_load_dwordx2 s[58:59], s[34:35], 0xc4
	s_load_dwordx4 s[28:31], s[34:35], 0x108
	s_load_dwordx4 s[36:39], s[34:35], 0x4
	s_load_dwordx2 s[60:61], s[34:35], 0x14
	s_cmp_lg_u32 s33, 0
	s_cselect_b64 s[66:67], -1, 0
	s_waitcnt lgkmcnt(0)
	v_cvt_f32_u32_e32 v4, s30
	s_add_u32 s64, s34, 0xc4
	s_addc_u32 s65, s35, 0
	s_min_u32 s84, s82, 15
	v_and_b32_e32 v1, 0x400000, v4
	v_lshrrev_b32_e32 v0, 23, v4
	v_cmp_ne_u32_e32 vcc, 0, v1
	v_and_b32_e32 v1, 0x3fffff, v4
	s_cmp_gt_u32 s33, 1
	s_movk_i32 s0, 0xff
	v_or_b32_e32 v1, v0, v1
	s_cselect_b64 s[62:63], -1, 0
	s_cmp_lg_u32 s30, 0
	v_cmp_eq_u32_e64 s[16:17], s0, v0
	v_cmp_ne_u32_e64 s[0:1], 0, v1
	s_cselect_b64 s[20:21], -1, 0
	s_and_b64 s[0:1], vcc, s[0:1]
	v_cndmask_b32_e64 v1, 0, 1, s[0:1]
	s_mov_b32 s0, 0x43800000
	v_cmp_gt_u32_e64 s[14:15], s0, v4
	s_mov_b32 s0, 0x3bffffff
	v_add_f32_e32 v21, 0x46000000, v4
	v_add_u32_e32 v22, v0, v1
	v_cmp_lt_u32_e64 s[12:13], s0, v4
	v_bfe_u32 v0, v4, 20, 1
	v_readfirstlane_b32 s0, v21
	s_mov_b32 s2, 0x47800000
	v_add_u32_e32 v0, v4, v0
	s_and_b32 s0, s0, 0xff
	v_cmp_gt_u32_e64 s[10:11], s2, v4
	s_mov_b32 s2, 0x37ffffff
	v_add_f32_e32 v18, 0x42800000, v4
	v_add_u32_e32 v1, 0x487ffff, v0
	s_cmp_lg_u32 s0, 0
	v_cmp_lt_u32_e64 s[8:9], s2, v4
	v_readfirstlane_b32 s2, v18
	v_lshrrev_b32_e32 v20, 20, v1
	s_cselect_b64 s[56:57], -1, 0
	v_bfe_u32 v1, v4, 21, 1
	s_and_b32 s2, s2, 0xff
	v_add_u32_e32 v1, v4, v1
	s_cmp_lg_u32 s2, 0
	s_mov_b32 s2, 0x43efffff
	v_add_u32_e32 v2, 0x88fffff, v1
	v_cmp_lt_u32_e64 s[4:5], s2, v4
	s_mov_b32 s2, 0x3c800000
	v_add_u32_e32 v0, 0x407ffff, v0
	v_lshrrev_b32_e32 v17, 21, v2
	v_cmp_gt_u32_e64 s[6:7], s2, v4
	v_lshrrev_b32_e32 v2, 20, v0
	v_and_b32_e32 v0, 0xff00000, v0
	s_mov_b32 s2, 0x7f00000
	v_mov_b32_e32 v3, 0x7e
	v_cmp_ne_u32_e32 vcc, s2, v0
	v_add_u32_e32 v0, 0x80fffff, v1
	s_mov_b32 s22, 0x7f800000
	v_cndmask_b32_e32 v15, v3, v2, vcc
	v_lshrrev_b32_e32 v12, 21, v0
	v_mov_b32_e32 v0, 0x7f
	v_cmp_lt_u32_e32 vcc, s22, v4
	v_mov_b32_e32 v1, 0x7c
	v_cndmask_b32_e32 v19, v3, v0, vcc
	v_cndmask_b32_e32 v14, v1, v0, vcc
	v_bfe_u32 v0, v4, 16, 1
	v_add_u32_e32 v0, v4, v0
	v_add_u32_e32 v0, 0x7fff, v0
	v_lshrrev_b32_e32 v11, 16, v0
	v_cvt_f64_u32_e32 v[0:1], s30
	v_cvt_f16_f32_e32 v9, v4
	s_mov_b32 s0, 0x477fffff
	s_mov_b32 s2, 0x38800000
	;; [unrolled: 1-line block ×4, first 2 shown]
	v_cmp_lt_u32_e64 s[0:1], s0, v4
	s_cselect_b64 s[54:55], -1, 0
	v_add_f32_e32 v16, 0x46800000, v4
	v_cmp_gt_u32_e64 s[2:3], s2, v4
	v_add_f32_e32 v13, 0x43000000, v4
	v_cmp_gt_i32_e32 vcc, s83, v8
	s_mov_b64 s[22:23], -1
	s_mov_b64 s[74:75], 0
	s_mov_b64 s[68:69], 0
	v_cndmask_b32_e64 v10, 0, 1, s[20:21]
	s_and_saveexec_b64 s[70:71], vcc
	s_cbranch_execz .LBB167_114
; %bb.2:
	s_andn2_b64 vcc, exec, s[48:49]
	s_cbranch_vccnz .LBB167_7
; %bb.3:
	s_andn2_b64 vcc, exec, s[66:67]
	s_cbranch_vccnz .LBB167_8
; %bb.4:
	s_add_i32 s77, s84, 1
	s_cmp_eq_u32 s82, 2
	s_cbranch_scc1 .LBB167_9
; %bb.5:
	s_and_b32 s76, s77, 28
	s_mov_b32 s78, 0
	v_mov_b32_e32 v2, 0
	s_mov_b64 s[68:69], s[34:35]
	s_mov_b64 s[72:73], s[64:65]
	v_mov_b32_e32 v3, v8
.LBB167_6:                              ; =>This Inner Loop Header: Depth=1
	s_load_dwordx8 s[20:27], s[68:69], 0x4
	s_load_dwordx4 s[40:43], s[68:69], 0x24
	s_load_dwordx4 s[44:47], s[72:73], 0x0
	s_add_u32 s68, s68, 48
	s_addc_u32 s69, s69, 0
	s_waitcnt lgkmcnt(0)
	v_mul_hi_u32 v5, s21, v3
	s_add_i32 s78, s78, 4
	s_add_u32 s72, s72, 16
	s_addc_u32 s73, s73, 0
	v_add_u32_e32 v5, v3, v5
	v_lshrrev_b32_e32 v5, s22, v5
	v_mul_lo_u32 v6, v5, s20
	v_mul_hi_u32 v7, s24, v5
	s_cmp_lg_u32 s76, s78
	v_sub_u32_e32 v3, v3, v6
	v_add_u32_e32 v6, v5, v7
	v_lshrrev_b32_e32 v6, s25, v6
	v_mul_lo_u32 v7, v3, s44
	v_mul_hi_u32 v3, s27, v6
	v_mul_lo_u32 v24, v6, s23
	v_add_u32_e32 v3, v6, v3
	v_lshrrev_b32_e32 v23, s40, v3
	v_mul_hi_u32 v3, s42, v23
	v_sub_u32_e32 v5, v5, v24
	v_mul_lo_u32 v24, v23, s26
	v_mul_lo_u32 v5, v5, s45
	v_add_u32_e32 v3, v23, v3
	v_lshrrev_b32_e32 v3, s43, v3
	v_mul_lo_u32 v25, v3, s41
	v_sub_u32_e32 v6, v6, v24
	v_mul_lo_u32 v6, v6, s46
	v_add3_u32 v2, v7, v2, v5
	v_sub_u32_e32 v23, v23, v25
	v_mul_lo_u32 v23, v23, s47
	v_add3_u32 v2, v6, v2, v23
	s_cbranch_scc1 .LBB167_6
	s_branch .LBB167_10
.LBB167_7:
                                        ; implicit-def: $vgpr2
	s_branch .LBB167_14
.LBB167_8:
	v_mov_b32_e32 v2, 0
	s_branch .LBB167_13
.LBB167_9:
	v_mov_b32_e32 v2, 0
	s_mov_b32 s76, 0
	v_mov_b32_e32 v3, v8
.LBB167_10:
	s_and_b32 s24, s77, 3
	s_cmp_eq_u32 s24, 0
	s_cbranch_scc1 .LBB167_13
; %bb.11:
	s_lshl_b32 s20, s76, 2
	s_add_u32 s20, s34, s20
	s_addc_u32 s21, s35, 0
	s_add_u32 s20, s20, 0xc4
	s_addc_u32 s21, s21, 0
	s_mul_i32 s22, s76, 12
	s_add_u32 s22, s34, s22
	s_addc_u32 s23, s35, 0
.LBB167_12:                             ; =>This Inner Loop Header: Depth=1
	s_load_dwordx2 s[26:27], s[22:23], 0x4
	s_load_dword s25, s[22:23], 0xc
	s_add_u32 s22, s22, 12
	s_addc_u32 s23, s23, 0
	s_waitcnt lgkmcnt(0)
	v_mul_hi_u32 v5, s27, v3
	s_load_dword s27, s[20:21], 0x0
	s_add_u32 s20, s20, 4
	s_addc_u32 s21, s21, 0
	v_add_u32_e32 v5, v3, v5
	v_lshrrev_b32_e32 v5, s25, v5
	v_mul_lo_u32 v6, v5, s26
	s_add_i32 s24, s24, -1
	s_cmp_lg_u32 s24, 0
	v_sub_u32_e32 v3, v3, v6
	s_waitcnt lgkmcnt(0)
	v_mad_u64_u32 v[2:3], s[26:27], v3, s27, v[2:3]
	v_mov_b32_e32 v3, v5
	s_cbranch_scc1 .LBB167_12
.LBB167_13:
	s_cbranch_execnz .LBB167_16
.LBB167_14:
	v_mul_hi_u32 v2, s37, v8
	s_andn2_b64 vcc, exec, s[62:63]
	v_add_u32_e32 v2, v8, v2
	v_lshrrev_b32_e32 v3, s38, v2
	v_mul_lo_u32 v2, v3, s36
	v_sub_u32_e32 v2, v8, v2
	v_mul_lo_u32 v2, v2, s58
	s_cbranch_vccnz .LBB167_16
; %bb.15:
	v_mul_hi_u32 v5, s60, v3
	v_add_u32_e32 v5, v3, v5
	v_lshrrev_b32_e32 v5, s61, v5
	v_mul_lo_u32 v5, v5, s39
	v_sub_u32_e32 v3, v3, v5
	v_mad_u64_u32 v[2:3], s[20:21], v3, s59, v[2:3]
.LBB167_16:
	v_mov_b32_e32 v3, s29
	s_and_b32 s26, s31, 0xff
	v_add_co_u32_e32 v6, vcc, s28, v2
	s_cmp_lt_i32 s26, 11
	v_addc_co_u32_e32 v7, vcc, 0, v3, vcc
	s_cbranch_scc1 .LBB167_23
; %bb.17:
	s_and_b32 s27, 0xffff, s26
	s_cmp_gt_i32 s27, 25
	s_cbranch_scc0 .LBB167_26
; %bb.18:
	s_cmp_gt_i32 s27, 28
	s_cbranch_scc0 .LBB167_27
; %bb.19:
	;; [unrolled: 3-line block ×4, first 2 shown]
	s_mov_b64 s[24:25], 0
	s_mov_b64 s[20:21], -1
	s_cmp_eq_u32 s27, 46
	s_mov_b64 s[22:23], 0
	s_cbranch_scc0 .LBB167_30
; %bb.22:
	global_store_dword v[6:7], v11, off
	s_mov_b64 s[22:23], -1
	s_mov_b64 s[20:21], 0
	s_branch .LBB167_30
.LBB167_23:
	s_mov_b64 s[20:21], 0
	s_mov_b64 s[22:23], 0
	s_cbranch_execnz .LBB167_74
.LBB167_24:
	s_andn2_b64 vcc, exec, s[22:23]
	s_cbranch_vccnz .LBB167_112
.LBB167_25:
	v_add_u32_e32 v8, 0x80, v8
	s_mov_b64 s[22:23], -1
	s_branch .LBB167_113
.LBB167_26:
	s_mov_b64 s[20:21], 0
	s_mov_b64 s[22:23], 0
	s_cbranch_execnz .LBB167_52
	s_branch .LBB167_73
.LBB167_27:
	s_mov_b64 s[24:25], -1
	s_mov_b64 s[20:21], 0
	s_mov_b64 s[22:23], 0
	s_branch .LBB167_38
.LBB167_28:
	s_mov_b64 s[24:25], -1
	s_mov_b64 s[20:21], 0
	s_mov_b64 s[22:23], 0
	s_branch .LBB167_34
.LBB167_29:
	s_mov_b64 s[24:25], -1
	s_mov_b64 s[20:21], 0
	s_mov_b64 s[22:23], 0
.LBB167_30:
	s_and_b64 vcc, exec, s[24:25]
	s_cbranch_vccz .LBB167_33
; %bb.31:
	s_cmp_eq_u32 s27, 44
	s_mov_b64 s[20:21], -1
	s_cbranch_scc0 .LBB167_33
; %bb.32:
	v_mov_b32_e32 v2, 0xffff
	v_cndmask_b32_e64 v2, v22, v2, s[16:17]
	global_store_byte v[6:7], v2, off
	s_mov_b64 s[22:23], -1
	s_mov_b64 s[20:21], 0
.LBB167_33:
	s_mov_b64 s[24:25], 0
.LBB167_34:
	s_and_b64 vcc, exec, s[24:25]
	s_cbranch_vccz .LBB167_37
; %bb.35:
	s_cmp_eq_u32 s27, 29
	s_mov_b64 s[20:21], -1
	s_cbranch_scc0 .LBB167_37
; %bb.36:
	v_mov_b32_e32 v2, s52
	v_mov_b32_e32 v3, s53
	global_store_dwordx2 v[6:7], v[2:3], off
	s_mov_b64 s[22:23], -1
	s_mov_b64 s[20:21], 0
.LBB167_37:
	s_mov_b64 s[24:25], 0
.LBB167_38:
	s_and_b64 vcc, exec, s[24:25]
	s_cbranch_vccz .LBB167_51
; %bb.39:
	s_cmp_lt_i32 s27, 27
	s_mov_b64 s[22:23], -1
	s_cbranch_scc1 .LBB167_45
; %bb.40:
	s_cmp_gt_i32 s27, 27
	s_cbranch_scc0 .LBB167_42
; %bb.41:
	v_mov_b32_e32 v2, s30
	s_mov_b64 s[22:23], 0
	global_store_dword v[6:7], v2, off
.LBB167_42:
	s_andn2_b64 vcc, exec, s[22:23]
	s_cbranch_vccnz .LBB167_44
; %bb.43:
	v_mov_b32_e32 v2, s30
	global_store_short v[6:7], v2, off
.LBB167_44:
	s_mov_b64 s[22:23], 0
.LBB167_45:
	s_andn2_b64 vcc, exec, s[22:23]
	s_cbranch_vccnz .LBB167_50
; %bb.46:
	s_andn2_b64 vcc, exec, s[14:15]
	v_mov_b32_e32 v2, 0x80
	s_cbranch_vccnz .LBB167_49
; %bb.47:
	s_or_b64 s[22:23], s[12:13], s[56:57]
	s_andn2_b64 vcc, exec, s[22:23]
	v_mov_b32_e32 v2, 0
	s_cbranch_vccnz .LBB167_49
; %bb.48:
	v_cndmask_b32_e64 v2, v21, v20, s[12:13]
.LBB167_49:
	global_store_byte v[6:7], v2, off
.LBB167_50:
	s_mov_b64 s[22:23], -1
.LBB167_51:
	s_branch .LBB167_73
.LBB167_52:
	s_cmp_gt_i32 s27, 22
	s_mov_b64 s[24:25], -1
	s_cbranch_scc0 .LBB167_65
; %bb.53:
	s_cmp_lt_i32 s27, 24
	s_mov_b64 s[22:23], -1
	s_cbranch_scc1 .LBB167_62
; %bb.54:
	s_cmp_gt_i32 s27, 24
	s_cbranch_scc0 .LBB167_59
; %bb.55:
	s_andn2_b64 vcc, exec, s[10:11]
	v_mov_b32_e32 v2, 0x80
	s_cbranch_vccnz .LBB167_58
; %bb.56:
	s_or_b64 s[22:23], s[8:9], s[54:55]
	s_andn2_b64 vcc, exec, s[22:23]
	v_mov_b32_e32 v2, 0
	s_cbranch_vccnz .LBB167_58
; %bb.57:
	v_cndmask_b32_e64 v2, v18, v17, s[8:9]
.LBB167_58:
	s_mov_b64 s[22:23], 0
	global_store_byte v[6:7], v2, off
.LBB167_59:
	s_and_b64 vcc, exec, s[22:23]
	s_cbranch_vccz .LBB167_61
; %bb.60:
	v_cndmask_b32_e64 v2, v15, v16, s[6:7]
	v_cndmask_b32_e64 v2, v2, v19, s[4:5]
	global_store_byte v[6:7], v2, off
.LBB167_61:
	s_mov_b64 s[22:23], 0
.LBB167_62:
	s_andn2_b64 vcc, exec, s[22:23]
	s_cbranch_vccnz .LBB167_64
; %bb.63:
	v_cndmask_b32_e64 v2, v12, v13, s[2:3]
	v_cndmask_b32_e64 v2, v2, v14, s[0:1]
	global_store_byte v[6:7], v2, off
.LBB167_64:
	s_mov_b64 s[24:25], 0
	s_mov_b64 s[22:23], -1
.LBB167_65:
	s_andn2_b64 vcc, exec, s[24:25]
	s_cbranch_vccnz .LBB167_73
; %bb.66:
	s_cmp_gt_i32 s27, 14
	s_mov_b64 s[24:25], -1
	s_cbranch_scc0 .LBB167_70
; %bb.67:
	s_cmp_eq_u32 s27, 15
	s_mov_b64 s[20:21], -1
	s_cbranch_scc0 .LBB167_69
; %bb.68:
	global_store_short v[6:7], v11, off
	s_mov_b64 s[22:23], -1
	s_mov_b64 s[20:21], 0
.LBB167_69:
	s_mov_b64 s[24:25], 0
.LBB167_70:
	s_and_b64 vcc, exec, s[24:25]
	s_cbranch_vccz .LBB167_73
; %bb.71:
	s_cmp_eq_u32 s27, 11
	s_mov_b64 s[20:21], -1
	s_cbranch_scc0 .LBB167_73
; %bb.72:
	s_mov_b64 s[22:23], -1
	s_mov_b64 s[20:21], 0
	global_store_byte v[6:7], v10, off
.LBB167_73:
	s_branch .LBB167_24
.LBB167_74:
	s_and_b32 s24, 0xffff, s26
	s_cmp_lt_i32 s24, 5
	s_mov_b64 s[22:23], -1
	s_cbranch_scc1 .LBB167_95
; %bb.75:
	s_cmp_lt_i32 s24, 8
	s_cbranch_scc1 .LBB167_85
; %bb.76:
	s_cmp_lt_i32 s24, 9
	s_cbranch_scc1 .LBB167_82
; %bb.77:
	s_cmp_gt_i32 s24, 9
	s_cbranch_scc0 .LBB167_79
; %bb.78:
	v_mov_b32_e32 v2, 0
	v_mov_b32_e32 v3, v2
	global_store_dwordx4 v[6:7], v[0:3], off
	s_mov_b64 s[22:23], 0
.LBB167_79:
	s_andn2_b64 vcc, exec, s[22:23]
	s_cbranch_vccnz .LBB167_81
; %bb.80:
	v_mov_b32_e32 v5, 0
	global_store_dwordx2 v[6:7], v[4:5], off
.LBB167_81:
	s_mov_b64 s[22:23], 0
.LBB167_82:
	s_andn2_b64 vcc, exec, s[22:23]
	s_cbranch_vccnz .LBB167_84
; %bb.83:
	global_store_dword v[6:7], v9, off
.LBB167_84:
	s_mov_b64 s[22:23], 0
.LBB167_85:
	s_andn2_b64 vcc, exec, s[22:23]
	s_cbranch_vccnz .LBB167_94
; %bb.86:
	s_cmp_lt_i32 s24, 6
	s_mov_b64 s[22:23], -1
	s_cbranch_scc1 .LBB167_92
; %bb.87:
	s_cmp_gt_i32 s24, 6
	s_cbranch_scc0 .LBB167_89
; %bb.88:
	global_store_dwordx2 v[6:7], v[0:1], off
	s_mov_b64 s[22:23], 0
.LBB167_89:
	s_andn2_b64 vcc, exec, s[22:23]
	s_cbranch_vccnz .LBB167_91
; %bb.90:
	global_store_dword v[6:7], v4, off
.LBB167_91:
	s_mov_b64 s[22:23], 0
.LBB167_92:
	s_andn2_b64 vcc, exec, s[22:23]
	s_cbranch_vccnz .LBB167_94
; %bb.93:
	global_store_short v[6:7], v9, off
.LBB167_94:
	s_mov_b64 s[22:23], 0
.LBB167_95:
	s_andn2_b64 vcc, exec, s[22:23]
	s_cbranch_vccnz .LBB167_111
; %bb.96:
	s_cmp_lt_i32 s24, 2
	s_mov_b64 s[22:23], -1
	s_cbranch_scc1 .LBB167_106
; %bb.97:
	s_cmp_lt_i32 s24, 3
	s_cbranch_scc1 .LBB167_103
; %bb.98:
	s_cmp_gt_i32 s24, 3
	s_cbranch_scc0 .LBB167_100
; %bb.99:
	v_mov_b32_e32 v2, s52
	v_mov_b32_e32 v3, s53
	global_store_dwordx2 v[6:7], v[2:3], off
	s_mov_b64 s[22:23], 0
.LBB167_100:
	s_andn2_b64 vcc, exec, s[22:23]
	s_cbranch_vccnz .LBB167_102
; %bb.101:
	v_mov_b32_e32 v2, s30
	global_store_dword v[6:7], v2, off
.LBB167_102:
	s_mov_b64 s[22:23], 0
.LBB167_103:
	s_andn2_b64 vcc, exec, s[22:23]
	s_cbranch_vccnz .LBB167_105
; %bb.104:
	v_mov_b32_e32 v2, s30
	global_store_short v[6:7], v2, off
.LBB167_105:
	s_mov_b64 s[22:23], 0
.LBB167_106:
	s_andn2_b64 vcc, exec, s[22:23]
	s_cbranch_vccnz .LBB167_111
; %bb.107:
	s_cmp_gt_i32 s24, 0
	s_mov_b64 s[22:23], -1
	s_cbranch_scc0 .LBB167_109
; %bb.108:
	v_mov_b32_e32 v2, s30
	global_store_byte v[6:7], v2, off
	s_mov_b64 s[22:23], 0
.LBB167_109:
	s_andn2_b64 vcc, exec, s[22:23]
	s_cbranch_vccnz .LBB167_111
; %bb.110:
	v_mov_b32_e32 v2, s30
	global_store_byte v[6:7], v2, off
.LBB167_111:
	s_branch .LBB167_25
.LBB167_112:
	s_mov_b64 s[22:23], 0
                                        ; implicit-def: $vgpr8
.LBB167_113:
	s_and_b64 s[68:69], s[20:21], exec
	s_orn2_b64 s[22:23], s[22:23], exec
.LBB167_114:
	s_or_b64 exec, exec, s[70:71]
	s_mov_b64 s[20:21], 0
                                        ; implicit-def: $sgpr40
                                        ; implicit-def: $vgpr6_vgpr7
	s_and_saveexec_b64 s[70:71], s[22:23]
	s_cbranch_execz .LBB167_121
; %bb.115:
	v_cmp_gt_i32_e32 vcc, s83, v8
	s_mov_b64 s[20:21], -1
	s_mov_b64 s[72:73], s[68:69]
	s_and_saveexec_b64 s[74:75], vcc
	s_cbranch_execz .LBB167_232
; %bb.116:
	s_andn2_b64 vcc, exec, s[48:49]
	s_cbranch_vccnz .LBB167_124
; %bb.117:
	s_andn2_b64 vcc, exec, s[66:67]
	s_cbranch_vccnz .LBB167_125
; %bb.118:
	s_add_i32 s79, s84, 1
	s_cmp_eq_u32 s82, 2
	s_cbranch_scc1 .LBB167_126
; %bb.119:
	s_and_b32 s78, s79, 28
	s_mov_b32 s80, 0
	v_mov_b32_e32 v2, 0
	s_mov_b64 s[72:73], s[34:35]
	s_mov_b64 s[76:77], s[64:65]
	v_mov_b32_e32 v3, v8
.LBB167_120:                            ; =>This Inner Loop Header: Depth=1
	s_load_dwordx8 s[20:27], s[72:73], 0x4
	s_load_dwordx4 s[40:43], s[72:73], 0x24
	s_load_dwordx4 s[44:47], s[76:77], 0x0
	s_add_u32 s72, s72, 48
	s_addc_u32 s73, s73, 0
	s_waitcnt lgkmcnt(0)
	v_mul_hi_u32 v5, s21, v3
	s_add_i32 s80, s80, 4
	s_add_u32 s76, s76, 16
	s_addc_u32 s77, s77, 0
	v_add_u32_e32 v5, v3, v5
	v_lshrrev_b32_e32 v5, s22, v5
	v_mul_lo_u32 v6, v5, s20
	v_mul_hi_u32 v7, s24, v5
	s_cmp_eq_u32 s78, s80
	v_sub_u32_e32 v3, v3, v6
	v_add_u32_e32 v6, v5, v7
	v_lshrrev_b32_e32 v6, s25, v6
	v_mul_lo_u32 v7, v3, s44
	v_mul_hi_u32 v3, s27, v6
	v_mul_lo_u32 v24, v6, s23
	v_add_u32_e32 v3, v6, v3
	v_lshrrev_b32_e32 v23, s40, v3
	v_mul_hi_u32 v3, s42, v23
	v_sub_u32_e32 v5, v5, v24
	v_mul_lo_u32 v24, v23, s26
	v_mul_lo_u32 v5, v5, s45
	v_add_u32_e32 v3, v23, v3
	v_lshrrev_b32_e32 v3, s43, v3
	v_mul_lo_u32 v25, v3, s41
	v_sub_u32_e32 v6, v6, v24
	v_mul_lo_u32 v6, v6, s46
	v_add3_u32 v2, v7, v2, v5
	v_sub_u32_e32 v23, v23, v25
	v_mul_lo_u32 v23, v23, s47
	v_add3_u32 v2, v6, v2, v23
	s_cbranch_scc0 .LBB167_120
	s_branch .LBB167_127
.LBB167_121:
	s_or_b64 exec, exec, s[70:71]
	s_mov_b64 s[0:1], 0
	s_and_saveexec_b64 s[2:3], s[68:69]
	s_cbranch_execnz .LBB167_422
.LBB167_122:
	s_or_b64 exec, exec, s[2:3]
	s_and_saveexec_b64 s[2:3], s[74:75]
	s_xor_b64 s[2:3], exec, s[2:3]
	s_cbranch_execz .LBB167_423
.LBB167_123:
	global_store_byte v[6:7], v10, off
	s_or_b64 exec, exec, s[2:3]
	s_and_saveexec_b64 s[2:3], s[20:21]
	s_xor_b64 s[2:3], exec, s[2:3]
	s_cbranch_execz .LBB167_461
	s_branch .LBB167_424
.LBB167_124:
                                        ; implicit-def: $vgpr2
	s_andn2_b64 vcc, exec, s[20:21]
	s_cbranch_vccz .LBB167_131
	s_branch .LBB167_133
.LBB167_125:
	v_mov_b32_e32 v2, 0
	s_branch .LBB167_130
.LBB167_126:
	v_mov_b32_e32 v2, 0
	s_mov_b32 s78, 0
	v_mov_b32_e32 v3, v8
.LBB167_127:
	s_and_b32 s24, s79, 3
	s_cmp_eq_u32 s24, 0
	s_cbranch_scc1 .LBB167_130
; %bb.128:
	s_lshl_b32 s20, s78, 2
	s_add_u32 s20, s34, s20
	s_addc_u32 s21, s35, 0
	s_add_u32 s20, s20, 0xc4
	s_addc_u32 s21, s21, 0
	s_mul_i32 s22, s78, 12
	s_add_u32 s22, s34, s22
	s_addc_u32 s23, s35, 0
.LBB167_129:                            ; =>This Inner Loop Header: Depth=1
	s_load_dwordx2 s[26:27], s[22:23], 0x4
	s_load_dword s25, s[22:23], 0xc
	s_add_u32 s22, s22, 12
	s_addc_u32 s23, s23, 0
	s_waitcnt lgkmcnt(0)
	v_mul_hi_u32 v5, s27, v3
	s_load_dword s27, s[20:21], 0x0
	s_add_u32 s20, s20, 4
	s_addc_u32 s21, s21, 0
	v_add_u32_e32 v5, v3, v5
	v_lshrrev_b32_e32 v5, s25, v5
	v_mul_lo_u32 v6, v5, s26
	s_add_i32 s24, s24, -1
	s_cmp_lg_u32 s24, 0
	v_sub_u32_e32 v3, v3, v6
	s_waitcnt lgkmcnt(0)
	v_mad_u64_u32 v[2:3], s[26:27], v3, s27, v[2:3]
	v_mov_b32_e32 v3, v5
	s_cbranch_scc1 .LBB167_129
.LBB167_130:
	s_cbranch_execnz .LBB167_133
.LBB167_131:
	v_mul_hi_u32 v2, s37, v8
	s_andn2_b64 vcc, exec, s[62:63]
	v_add_u32_e32 v2, v8, v2
	v_lshrrev_b32_e32 v3, s38, v2
	v_mul_lo_u32 v2, v3, s36
	v_sub_u32_e32 v2, v8, v2
	v_mul_lo_u32 v2, v2, s58
	s_cbranch_vccnz .LBB167_133
; %bb.132:
	v_mul_hi_u32 v5, s60, v3
	v_add_u32_e32 v5, v3, v5
	v_lshrrev_b32_e32 v5, s61, v5
	v_mul_lo_u32 v5, v5, s39
	v_sub_u32_e32 v3, v3, v5
	v_mad_u64_u32 v[2:3], s[20:21], v3, s59, v[2:3]
.LBB167_133:
	v_mov_b32_e32 v3, s29
	s_and_b32 s26, s31, 0xff
	v_add_co_u32_e32 v6, vcc, s28, v2
	s_cmp_lt_i32 s26, 11
	v_addc_co_u32_e32 v7, vcc, 0, v3, vcc
	s_cbranch_scc1 .LBB167_140
; %bb.134:
	s_and_b32 s27, 0xffff, s26
	s_cmp_gt_i32 s27, 25
	s_cbranch_scc0 .LBB167_143
; %bb.135:
	s_cmp_gt_i32 s27, 28
	s_cbranch_scc0 .LBB167_144
; %bb.136:
	;; [unrolled: 3-line block ×4, first 2 shown]
	s_mov_b64 s[24:25], 0
	s_mov_b64 s[20:21], -1
	s_cmp_eq_u32 s27, 46
	s_mov_b64 s[22:23], 0
	s_cbranch_scc0 .LBB167_147
; %bb.139:
	global_store_dword v[6:7], v11, off
	s_mov_b64 s[22:23], -1
	s_mov_b64 s[20:21], 0
	s_branch .LBB167_147
.LBB167_140:
	s_mov_b64 s[22:23], 0
	s_mov_b64 s[20:21], s[68:69]
	s_cbranch_execnz .LBB167_192
.LBB167_141:
	s_andn2_b64 vcc, exec, s[22:23]
	s_cbranch_vccnz .LBB167_230
.LBB167_142:
	v_add_u32_e32 v8, 0x80, v8
	s_mov_b64 s[22:23], -1
	s_branch .LBB167_231
.LBB167_143:
	s_mov_b64 s[24:25], -1
	s_mov_b64 s[22:23], 0
	s_mov_b64 s[20:21], s[68:69]
	s_branch .LBB167_169
.LBB167_144:
	s_mov_b64 s[24:25], -1
	s_mov_b64 s[22:23], 0
	s_mov_b64 s[20:21], s[68:69]
	s_branch .LBB167_155
.LBB167_145:
	s_mov_b64 s[24:25], -1
	s_mov_b64 s[22:23], 0
	s_mov_b64 s[20:21], s[68:69]
	s_branch .LBB167_151
.LBB167_146:
	s_mov_b64 s[24:25], -1
	s_mov_b64 s[22:23], 0
	s_mov_b64 s[20:21], s[68:69]
.LBB167_147:
	s_and_b64 vcc, exec, s[24:25]
	s_cbranch_vccz .LBB167_150
; %bb.148:
	s_cmp_eq_u32 s27, 44
	s_mov_b64 s[20:21], -1
	s_cbranch_scc0 .LBB167_150
; %bb.149:
	v_mov_b32_e32 v2, 0xffff
	v_cndmask_b32_e64 v2, v22, v2, s[16:17]
	s_mov_b64 s[22:23], -1
	s_mov_b64 s[20:21], 0
	global_store_byte v[6:7], v2, off
.LBB167_150:
	s_mov_b64 s[24:25], 0
.LBB167_151:
	s_and_b64 vcc, exec, s[24:25]
	s_cbranch_vccz .LBB167_154
; %bb.152:
	s_cmp_eq_u32 s27, 29
	s_mov_b64 s[20:21], -1
	s_cbranch_scc0 .LBB167_154
; %bb.153:
	v_mov_b32_e32 v2, s52
	v_mov_b32_e32 v3, s53
	global_store_dwordx2 v[6:7], v[2:3], off
	s_mov_b64 s[22:23], -1
	s_mov_b64 s[20:21], 0
.LBB167_154:
	s_mov_b64 s[24:25], 0
.LBB167_155:
	s_and_b64 vcc, exec, s[24:25]
	s_cbranch_vccz .LBB167_168
; %bb.156:
	s_cmp_lt_i32 s27, 27
	s_mov_b64 s[22:23], -1
	s_cbranch_scc1 .LBB167_162
; %bb.157:
	s_cmp_gt_i32 s27, 27
	s_cbranch_scc0 .LBB167_159
; %bb.158:
	v_mov_b32_e32 v2, s30
	s_mov_b64 s[22:23], 0
	global_store_dword v[6:7], v2, off
.LBB167_159:
	s_andn2_b64 vcc, exec, s[22:23]
	s_cbranch_vccnz .LBB167_161
; %bb.160:
	v_mov_b32_e32 v2, s30
	global_store_short v[6:7], v2, off
.LBB167_161:
	s_mov_b64 s[22:23], 0
.LBB167_162:
	s_andn2_b64 vcc, exec, s[22:23]
	s_cbranch_vccnz .LBB167_167
; %bb.163:
	s_andn2_b64 vcc, exec, s[14:15]
	v_mov_b32_e32 v2, 0x80
	s_cbranch_vccnz .LBB167_166
; %bb.164:
	s_or_b64 s[22:23], s[12:13], s[56:57]
	s_andn2_b64 vcc, exec, s[22:23]
	v_mov_b32_e32 v2, 0
	s_cbranch_vccnz .LBB167_166
; %bb.165:
	v_cndmask_b32_e64 v2, v21, v20, s[12:13]
.LBB167_166:
	global_store_byte v[6:7], v2, off
.LBB167_167:
	s_mov_b64 s[22:23], -1
.LBB167_168:
	s_mov_b64 s[24:25], 0
.LBB167_169:
	s_and_b64 vcc, exec, s[24:25]
	s_cbranch_vccz .LBB167_191
; %bb.170:
	s_cmp_gt_i32 s27, 22
	s_mov_b64 s[24:25], -1
	s_cbranch_scc0 .LBB167_183
; %bb.171:
	s_cmp_lt_i32 s27, 24
	s_mov_b64 s[22:23], -1
	s_cbranch_scc1 .LBB167_180
; %bb.172:
	s_cmp_gt_i32 s27, 24
	s_cbranch_scc0 .LBB167_177
; %bb.173:
	s_andn2_b64 vcc, exec, s[10:11]
	v_mov_b32_e32 v2, 0x80
	s_cbranch_vccnz .LBB167_176
; %bb.174:
	s_or_b64 s[22:23], s[8:9], s[54:55]
	s_andn2_b64 vcc, exec, s[22:23]
	v_mov_b32_e32 v2, 0
	s_cbranch_vccnz .LBB167_176
; %bb.175:
	v_cndmask_b32_e64 v2, v18, v17, s[8:9]
.LBB167_176:
	s_mov_b64 s[22:23], 0
	global_store_byte v[6:7], v2, off
.LBB167_177:
	s_and_b64 vcc, exec, s[22:23]
	s_cbranch_vccz .LBB167_179
; %bb.178:
	v_cndmask_b32_e64 v2, v15, v16, s[6:7]
	v_cndmask_b32_e64 v2, v2, v19, s[4:5]
	global_store_byte v[6:7], v2, off
.LBB167_179:
	s_mov_b64 s[22:23], 0
.LBB167_180:
	s_andn2_b64 vcc, exec, s[22:23]
	s_cbranch_vccnz .LBB167_182
; %bb.181:
	v_cndmask_b32_e64 v2, v12, v13, s[2:3]
	v_cndmask_b32_e64 v2, v2, v14, s[0:1]
	global_store_byte v[6:7], v2, off
.LBB167_182:
	s_mov_b64 s[24:25], 0
	s_mov_b64 s[22:23], -1
.LBB167_183:
	s_andn2_b64 vcc, exec, s[24:25]
	s_cbranch_vccnz .LBB167_191
; %bb.184:
	s_cmp_gt_i32 s27, 14
	s_mov_b64 s[24:25], -1
	s_cbranch_scc0 .LBB167_188
; %bb.185:
	s_cmp_eq_u32 s27, 15
	s_mov_b64 s[20:21], -1
	s_cbranch_scc0 .LBB167_187
; %bb.186:
	global_store_short v[6:7], v11, off
	s_mov_b64 s[22:23], -1
	s_mov_b64 s[20:21], 0
.LBB167_187:
	s_mov_b64 s[24:25], 0
.LBB167_188:
	s_and_b64 vcc, exec, s[24:25]
	s_cbranch_vccz .LBB167_191
; %bb.189:
	s_cmp_eq_u32 s27, 11
	s_mov_b64 s[20:21], -1
	s_cbranch_scc0 .LBB167_191
; %bb.190:
	s_mov_b64 s[22:23], -1
	s_mov_b64 s[20:21], 0
	global_store_byte v[6:7], v10, off
.LBB167_191:
	s_branch .LBB167_141
.LBB167_192:
	s_and_b32 s24, 0xffff, s26
	s_cmp_lt_i32 s24, 5
	s_mov_b64 s[22:23], -1
	s_cbranch_scc1 .LBB167_213
; %bb.193:
	s_cmp_lt_i32 s24, 8
	s_cbranch_scc1 .LBB167_203
; %bb.194:
	s_cmp_lt_i32 s24, 9
	s_cbranch_scc1 .LBB167_200
; %bb.195:
	s_cmp_gt_i32 s24, 9
	s_cbranch_scc0 .LBB167_197
; %bb.196:
	v_mov_b32_e32 v2, 0
	v_mov_b32_e32 v3, v2
	s_mov_b64 s[22:23], 0
	global_store_dwordx4 v[6:7], v[0:3], off
.LBB167_197:
	s_andn2_b64 vcc, exec, s[22:23]
	s_cbranch_vccnz .LBB167_199
; %bb.198:
	v_mov_b32_e32 v5, 0
	global_store_dwordx2 v[6:7], v[4:5], off
.LBB167_199:
	s_mov_b64 s[22:23], 0
.LBB167_200:
	s_andn2_b64 vcc, exec, s[22:23]
	s_cbranch_vccnz .LBB167_202
; %bb.201:
	global_store_dword v[6:7], v9, off
.LBB167_202:
	s_mov_b64 s[22:23], 0
.LBB167_203:
	s_andn2_b64 vcc, exec, s[22:23]
	s_cbranch_vccnz .LBB167_212
; %bb.204:
	s_cmp_lt_i32 s24, 6
	s_mov_b64 s[22:23], -1
	s_cbranch_scc1 .LBB167_210
; %bb.205:
	s_cmp_gt_i32 s24, 6
	s_cbranch_scc0 .LBB167_207
; %bb.206:
	s_mov_b64 s[22:23], 0
	global_store_dwordx2 v[6:7], v[0:1], off
.LBB167_207:
	s_andn2_b64 vcc, exec, s[22:23]
	s_cbranch_vccnz .LBB167_209
; %bb.208:
	global_store_dword v[6:7], v4, off
.LBB167_209:
	s_mov_b64 s[22:23], 0
.LBB167_210:
	s_andn2_b64 vcc, exec, s[22:23]
	s_cbranch_vccnz .LBB167_212
; %bb.211:
	global_store_short v[6:7], v9, off
.LBB167_212:
	s_mov_b64 s[22:23], 0
.LBB167_213:
	s_andn2_b64 vcc, exec, s[22:23]
	s_cbranch_vccnz .LBB167_229
; %bb.214:
	s_cmp_lt_i32 s24, 2
	s_mov_b64 s[22:23], -1
	s_cbranch_scc1 .LBB167_224
; %bb.215:
	s_cmp_lt_i32 s24, 3
	s_cbranch_scc1 .LBB167_221
; %bb.216:
	s_cmp_gt_i32 s24, 3
	s_cbranch_scc0 .LBB167_218
; %bb.217:
	v_mov_b32_e32 v2, s52
	v_mov_b32_e32 v3, s53
	s_mov_b64 s[22:23], 0
	global_store_dwordx2 v[6:7], v[2:3], off
.LBB167_218:
	s_andn2_b64 vcc, exec, s[22:23]
	s_cbranch_vccnz .LBB167_220
; %bb.219:
	v_mov_b32_e32 v2, s30
	global_store_dword v[6:7], v2, off
.LBB167_220:
	s_mov_b64 s[22:23], 0
.LBB167_221:
	s_andn2_b64 vcc, exec, s[22:23]
	s_cbranch_vccnz .LBB167_223
; %bb.222:
	v_mov_b32_e32 v2, s30
	global_store_short v[6:7], v2, off
.LBB167_223:
	s_mov_b64 s[22:23], 0
.LBB167_224:
	s_andn2_b64 vcc, exec, s[22:23]
	s_cbranch_vccnz .LBB167_229
; %bb.225:
	s_cmp_gt_i32 s24, 0
	s_mov_b64 s[22:23], -1
	s_cbranch_scc0 .LBB167_227
; %bb.226:
	v_mov_b32_e32 v2, s30
	s_mov_b64 s[22:23], 0
	global_store_byte v[6:7], v2, off
.LBB167_227:
	s_andn2_b64 vcc, exec, s[22:23]
	s_cbranch_vccnz .LBB167_229
; %bb.228:
	v_mov_b32_e32 v2, s30
	global_store_byte v[6:7], v2, off
.LBB167_229:
	s_branch .LBB167_142
.LBB167_230:
	s_mov_b64 s[22:23], 0
                                        ; implicit-def: $vgpr8
.LBB167_231:
	s_andn2_b64 s[24:25], s[68:69], exec
	s_and_b64 s[20:21], s[20:21], exec
	s_or_b64 s[72:73], s[24:25], s[20:21]
	s_orn2_b64 s[20:21], s[22:23], exec
.LBB167_232:
	s_or_b64 exec, exec, s[74:75]
	s_mov_b64 s[22:23], 0
	s_mov_b64 s[24:25], 0
                                        ; implicit-def: $sgpr40
                                        ; implicit-def: $vgpr6_vgpr7
	s_and_saveexec_b64 s[74:75], s[20:21]
	s_cbranch_execz .LBB167_421
; %bb.233:
	v_cmp_gt_i32_e32 vcc, s83, v8
	s_mov_b64 s[22:23], -1
	s_mov_b64 s[78:79], s[72:73]
	s_and_saveexec_b64 s[76:77], vcc
	s_cbranch_execz .LBB167_349
; %bb.234:
	s_andn2_b64 vcc, exec, s[48:49]
	s_cbranch_vccnz .LBB167_239
; %bb.235:
	s_andn2_b64 vcc, exec, s[66:67]
	s_cbranch_vccnz .LBB167_240
; %bb.236:
	s_add_i32 s86, s84, 1
	s_cmp_eq_u32 s82, 2
	s_cbranch_scc1 .LBB167_241
; %bb.237:
	s_and_b32 s85, s86, 28
	s_mov_b32 s87, 0
	v_mov_b32_e32 v2, 0
	s_mov_b64 s[78:79], s[34:35]
	s_mov_b64 s[80:81], s[64:65]
	v_mov_b32_e32 v3, v8
.LBB167_238:                            ; =>This Inner Loop Header: Depth=1
	s_load_dwordx8 s[20:27], s[78:79], 0x4
	s_load_dwordx4 s[40:43], s[78:79], 0x24
	s_load_dwordx4 s[44:47], s[80:81], 0x0
	s_add_u32 s78, s78, 48
	s_addc_u32 s79, s79, 0
	s_waitcnt lgkmcnt(0)
	v_mul_hi_u32 v5, s21, v3
	s_add_i32 s87, s87, 4
	s_add_u32 s80, s80, 16
	s_addc_u32 s81, s81, 0
	v_add_u32_e32 v5, v3, v5
	v_lshrrev_b32_e32 v5, s22, v5
	v_mul_lo_u32 v6, v5, s20
	v_mul_hi_u32 v7, s24, v5
	s_cmp_eq_u32 s85, s87
	v_sub_u32_e32 v3, v3, v6
	v_add_u32_e32 v6, v5, v7
	v_lshrrev_b32_e32 v6, s25, v6
	v_mul_lo_u32 v7, v3, s44
	v_mul_hi_u32 v3, s27, v6
	v_mul_lo_u32 v24, v6, s23
	v_add_u32_e32 v3, v6, v3
	v_lshrrev_b32_e32 v23, s40, v3
	v_mul_hi_u32 v3, s42, v23
	v_sub_u32_e32 v5, v5, v24
	v_mul_lo_u32 v24, v23, s26
	v_mul_lo_u32 v5, v5, s45
	v_add_u32_e32 v3, v23, v3
	v_lshrrev_b32_e32 v3, s43, v3
	v_mul_lo_u32 v25, v3, s41
	v_sub_u32_e32 v6, v6, v24
	v_mul_lo_u32 v6, v6, s46
	v_add3_u32 v2, v7, v2, v5
	v_sub_u32_e32 v23, v23, v25
	v_mul_lo_u32 v23, v23, s47
	v_add3_u32 v2, v6, v2, v23
	s_cbranch_scc0 .LBB167_238
	s_branch .LBB167_242
.LBB167_239:
	s_mov_b64 s[20:21], -1
                                        ; implicit-def: $vgpr2
	s_branch .LBB167_246
.LBB167_240:
	v_mov_b32_e32 v2, 0
	s_branch .LBB167_245
.LBB167_241:
	v_mov_b32_e32 v2, 0
	s_mov_b32 s85, 0
	v_mov_b32_e32 v3, v8
.LBB167_242:
	s_and_b32 s24, s86, 3
	s_cmp_eq_u32 s24, 0
	s_cbranch_scc1 .LBB167_245
; %bb.243:
	s_lshl_b32 s20, s85, 2
	s_add_u32 s20, s34, s20
	s_addc_u32 s21, s35, 0
	s_add_u32 s20, s20, 0xc4
	s_addc_u32 s21, s21, 0
	s_mul_i32 s22, s85, 12
	s_add_u32 s22, s34, s22
	s_addc_u32 s23, s35, 0
.LBB167_244:                            ; =>This Inner Loop Header: Depth=1
	s_load_dwordx2 s[26:27], s[22:23], 0x4
	s_load_dword s25, s[22:23], 0xc
	s_add_u32 s22, s22, 12
	s_addc_u32 s23, s23, 0
	s_waitcnt lgkmcnt(0)
	v_mul_hi_u32 v5, s27, v3
	s_load_dword s27, s[20:21], 0x0
	s_add_u32 s20, s20, 4
	s_addc_u32 s21, s21, 0
	v_add_u32_e32 v5, v3, v5
	v_lshrrev_b32_e32 v5, s25, v5
	v_mul_lo_u32 v6, v5, s26
	s_add_i32 s24, s24, -1
	s_cmp_lg_u32 s24, 0
	v_sub_u32_e32 v3, v3, v6
	s_waitcnt lgkmcnt(0)
	v_mad_u64_u32 v[2:3], s[26:27], v3, s27, v[2:3]
	v_mov_b32_e32 v3, v5
	s_cbranch_scc1 .LBB167_244
.LBB167_245:
	s_mov_b64 s[20:21], 0
.LBB167_246:
	s_andn2_b64 vcc, exec, s[20:21]
	s_cbranch_vccnz .LBB167_249
; %bb.247:
	v_mul_hi_u32 v2, s37, v8
	s_andn2_b64 vcc, exec, s[62:63]
	v_add_u32_e32 v2, v8, v2
	v_lshrrev_b32_e32 v3, s38, v2
	v_mul_lo_u32 v2, v3, s36
	v_sub_u32_e32 v2, v8, v2
	v_mul_lo_u32 v2, v2, s58
	s_cbranch_vccnz .LBB167_249
; %bb.248:
	v_mul_hi_u32 v5, s60, v3
	v_add_u32_e32 v5, v3, v5
	v_lshrrev_b32_e32 v5, s61, v5
	v_mul_lo_u32 v5, v5, s39
	v_sub_u32_e32 v3, v3, v5
	v_mad_u64_u32 v[2:3], s[20:21], v3, s59, v[2:3]
.LBB167_249:
	v_mov_b32_e32 v3, s29
	s_and_b32 s26, s31, 0xff
	v_add_co_u32_e32 v6, vcc, s28, v2
	s_cmp_lt_i32 s26, 11
	v_addc_co_u32_e32 v7, vcc, 0, v3, vcc
	s_cbranch_scc1 .LBB167_256
; %bb.250:
	s_and_b32 s27, 0xffff, s26
	s_cmp_gt_i32 s27, 25
	s_cbranch_scc0 .LBB167_257
; %bb.251:
	s_cmp_gt_i32 s27, 28
	s_cbranch_scc0 .LBB167_258
; %bb.252:
	;; [unrolled: 3-line block ×4, first 2 shown]
	s_mov_b64 s[24:25], 0
	s_mov_b64 s[20:21], -1
	s_cmp_eq_u32 s27, 46
	s_mov_b64 s[22:23], 0
	s_cbranch_scc0 .LBB167_261
; %bb.255:
	global_store_dword v[6:7], v11, off
	s_mov_b64 s[22:23], -1
	s_mov_b64 s[20:21], 0
	s_branch .LBB167_261
.LBB167_256:
	s_mov_b64 s[24:25], -1
	s_mov_b64 s[22:23], 0
	s_mov_b64 s[20:21], s[72:73]
	s_branch .LBB167_306
.LBB167_257:
	s_mov_b64 s[24:25], -1
	s_mov_b64 s[22:23], 0
	s_mov_b64 s[20:21], s[72:73]
	s_branch .LBB167_283
.LBB167_258:
	s_mov_b64 s[24:25], -1
	s_mov_b64 s[22:23], 0
	s_mov_b64 s[20:21], s[72:73]
	s_branch .LBB167_269
.LBB167_259:
	s_mov_b64 s[24:25], -1
	s_mov_b64 s[22:23], 0
	s_mov_b64 s[20:21], s[72:73]
	s_branch .LBB167_265
.LBB167_260:
	s_mov_b64 s[24:25], -1
	s_mov_b64 s[22:23], 0
	s_mov_b64 s[20:21], s[72:73]
.LBB167_261:
	s_and_b64 vcc, exec, s[24:25]
	s_cbranch_vccz .LBB167_264
; %bb.262:
	s_cmp_eq_u32 s27, 44
	s_mov_b64 s[20:21], -1
	s_cbranch_scc0 .LBB167_264
; %bb.263:
	v_mov_b32_e32 v2, 0xffff
	v_cndmask_b32_e64 v2, v22, v2, s[16:17]
	s_mov_b64 s[22:23], -1
	s_mov_b64 s[20:21], 0
	global_store_byte v[6:7], v2, off
.LBB167_264:
	s_mov_b64 s[24:25], 0
.LBB167_265:
	s_and_b64 vcc, exec, s[24:25]
	s_cbranch_vccz .LBB167_268
; %bb.266:
	s_cmp_eq_u32 s27, 29
	s_mov_b64 s[20:21], -1
	s_cbranch_scc0 .LBB167_268
; %bb.267:
	v_mov_b32_e32 v2, s52
	v_mov_b32_e32 v3, s53
	global_store_dwordx2 v[6:7], v[2:3], off
	s_mov_b64 s[22:23], -1
	s_mov_b64 s[20:21], 0
.LBB167_268:
	s_mov_b64 s[24:25], 0
.LBB167_269:
	s_and_b64 vcc, exec, s[24:25]
	s_cbranch_vccz .LBB167_282
; %bb.270:
	s_cmp_lt_i32 s27, 27
	s_mov_b64 s[22:23], -1
	s_cbranch_scc1 .LBB167_276
; %bb.271:
	s_cmp_gt_i32 s27, 27
	s_cbranch_scc0 .LBB167_273
; %bb.272:
	v_mov_b32_e32 v2, s30
	s_mov_b64 s[22:23], 0
	global_store_dword v[6:7], v2, off
.LBB167_273:
	s_andn2_b64 vcc, exec, s[22:23]
	s_cbranch_vccnz .LBB167_275
; %bb.274:
	v_mov_b32_e32 v2, s30
	global_store_short v[6:7], v2, off
.LBB167_275:
	s_mov_b64 s[22:23], 0
.LBB167_276:
	s_andn2_b64 vcc, exec, s[22:23]
	s_cbranch_vccnz .LBB167_281
; %bb.277:
	s_andn2_b64 vcc, exec, s[14:15]
	v_mov_b32_e32 v2, 0x80
	s_cbranch_vccnz .LBB167_280
; %bb.278:
	s_or_b64 s[22:23], s[12:13], s[56:57]
	s_andn2_b64 vcc, exec, s[22:23]
	v_mov_b32_e32 v2, 0
	s_cbranch_vccnz .LBB167_280
; %bb.279:
	v_cndmask_b32_e64 v2, v21, v20, s[12:13]
.LBB167_280:
	global_store_byte v[6:7], v2, off
.LBB167_281:
	s_mov_b64 s[22:23], -1
.LBB167_282:
	s_mov_b64 s[24:25], 0
.LBB167_283:
	s_and_b64 vcc, exec, s[24:25]
	s_cbranch_vccz .LBB167_305
; %bb.284:
	s_cmp_gt_i32 s27, 22
	s_mov_b64 s[24:25], -1
	s_cbranch_scc0 .LBB167_297
; %bb.285:
	s_cmp_lt_i32 s27, 24
	s_mov_b64 s[22:23], -1
	s_cbranch_scc1 .LBB167_294
; %bb.286:
	s_cmp_gt_i32 s27, 24
	s_cbranch_scc0 .LBB167_291
; %bb.287:
	s_andn2_b64 vcc, exec, s[10:11]
	v_mov_b32_e32 v2, 0x80
	s_cbranch_vccnz .LBB167_290
; %bb.288:
	s_or_b64 s[22:23], s[8:9], s[54:55]
	s_andn2_b64 vcc, exec, s[22:23]
	v_mov_b32_e32 v2, 0
	s_cbranch_vccnz .LBB167_290
; %bb.289:
	v_cndmask_b32_e64 v2, v18, v17, s[8:9]
.LBB167_290:
	s_mov_b64 s[22:23], 0
	global_store_byte v[6:7], v2, off
.LBB167_291:
	s_and_b64 vcc, exec, s[22:23]
	s_cbranch_vccz .LBB167_293
; %bb.292:
	v_cndmask_b32_e64 v2, v15, v16, s[6:7]
	v_cndmask_b32_e64 v2, v2, v19, s[4:5]
	global_store_byte v[6:7], v2, off
.LBB167_293:
	s_mov_b64 s[22:23], 0
.LBB167_294:
	s_andn2_b64 vcc, exec, s[22:23]
	s_cbranch_vccnz .LBB167_296
; %bb.295:
	v_cndmask_b32_e64 v2, v12, v13, s[2:3]
	v_cndmask_b32_e64 v2, v2, v14, s[0:1]
	global_store_byte v[6:7], v2, off
.LBB167_296:
	s_mov_b64 s[24:25], 0
	s_mov_b64 s[22:23], -1
.LBB167_297:
	s_andn2_b64 vcc, exec, s[24:25]
	s_cbranch_vccnz .LBB167_305
; %bb.298:
	s_cmp_gt_i32 s27, 14
	s_mov_b64 s[24:25], -1
	s_cbranch_scc0 .LBB167_302
; %bb.299:
	s_cmp_eq_u32 s27, 15
	s_mov_b64 s[20:21], -1
	s_cbranch_scc0 .LBB167_301
; %bb.300:
	global_store_short v[6:7], v11, off
	s_mov_b64 s[22:23], -1
	s_mov_b64 s[20:21], 0
.LBB167_301:
	s_mov_b64 s[24:25], 0
.LBB167_302:
	s_and_b64 vcc, exec, s[24:25]
	s_cbranch_vccz .LBB167_305
; %bb.303:
	s_cmp_eq_u32 s27, 11
	s_mov_b64 s[20:21], -1
	s_cbranch_scc0 .LBB167_305
; %bb.304:
	s_mov_b64 s[22:23], -1
	s_mov_b64 s[20:21], 0
	global_store_byte v[6:7], v10, off
.LBB167_305:
	s_mov_b64 s[24:25], 0
.LBB167_306:
	s_and_b64 vcc, exec, s[24:25]
	s_cbranch_vccz .LBB167_345
; %bb.307:
	s_and_b32 s24, 0xffff, s26
	s_cmp_lt_i32 s24, 5
	s_mov_b64 s[22:23], -1
	s_cbranch_scc1 .LBB167_328
; %bb.308:
	s_cmp_lt_i32 s24, 8
	s_cbranch_scc1 .LBB167_318
; %bb.309:
	s_cmp_lt_i32 s24, 9
	s_cbranch_scc1 .LBB167_315
; %bb.310:
	s_cmp_gt_i32 s24, 9
	s_cbranch_scc0 .LBB167_312
; %bb.311:
	v_mov_b32_e32 v2, 0
	v_mov_b32_e32 v3, v2
	s_mov_b64 s[22:23], 0
	global_store_dwordx4 v[6:7], v[0:3], off
.LBB167_312:
	s_andn2_b64 vcc, exec, s[22:23]
	s_cbranch_vccnz .LBB167_314
; %bb.313:
	v_mov_b32_e32 v5, 0
	global_store_dwordx2 v[6:7], v[4:5], off
.LBB167_314:
	s_mov_b64 s[22:23], 0
.LBB167_315:
	s_andn2_b64 vcc, exec, s[22:23]
	s_cbranch_vccnz .LBB167_317
; %bb.316:
	global_store_dword v[6:7], v9, off
.LBB167_317:
	s_mov_b64 s[22:23], 0
.LBB167_318:
	s_andn2_b64 vcc, exec, s[22:23]
	s_cbranch_vccnz .LBB167_327
; %bb.319:
	s_cmp_lt_i32 s24, 6
	s_mov_b64 s[22:23], -1
	s_cbranch_scc1 .LBB167_325
; %bb.320:
	s_cmp_gt_i32 s24, 6
	s_cbranch_scc0 .LBB167_322
; %bb.321:
	s_mov_b64 s[22:23], 0
	global_store_dwordx2 v[6:7], v[0:1], off
.LBB167_322:
	s_andn2_b64 vcc, exec, s[22:23]
	s_cbranch_vccnz .LBB167_324
; %bb.323:
	global_store_dword v[6:7], v4, off
.LBB167_324:
	s_mov_b64 s[22:23], 0
.LBB167_325:
	s_andn2_b64 vcc, exec, s[22:23]
	s_cbranch_vccnz .LBB167_327
; %bb.326:
	global_store_short v[6:7], v9, off
.LBB167_327:
	s_mov_b64 s[22:23], 0
.LBB167_328:
	s_andn2_b64 vcc, exec, s[22:23]
	s_cbranch_vccnz .LBB167_344
; %bb.329:
	s_cmp_lt_i32 s24, 2
	s_mov_b64 s[22:23], -1
	s_cbranch_scc1 .LBB167_339
; %bb.330:
	s_cmp_lt_i32 s24, 3
	s_cbranch_scc1 .LBB167_336
; %bb.331:
	s_cmp_gt_i32 s24, 3
	s_cbranch_scc0 .LBB167_333
; %bb.332:
	v_mov_b32_e32 v2, s52
	v_mov_b32_e32 v3, s53
	s_mov_b64 s[22:23], 0
	global_store_dwordx2 v[6:7], v[2:3], off
.LBB167_333:
	s_andn2_b64 vcc, exec, s[22:23]
	s_cbranch_vccnz .LBB167_335
; %bb.334:
	v_mov_b32_e32 v2, s30
	global_store_dword v[6:7], v2, off
.LBB167_335:
	s_mov_b64 s[22:23], 0
.LBB167_336:
	s_andn2_b64 vcc, exec, s[22:23]
	s_cbranch_vccnz .LBB167_338
; %bb.337:
	v_mov_b32_e32 v2, s30
	global_store_short v[6:7], v2, off
.LBB167_338:
	s_mov_b64 s[22:23], 0
.LBB167_339:
	s_andn2_b64 vcc, exec, s[22:23]
	s_cbranch_vccnz .LBB167_344
; %bb.340:
	s_cmp_gt_i32 s24, 0
	s_mov_b64 s[22:23], -1
	s_cbranch_scc0 .LBB167_342
; %bb.341:
	v_mov_b32_e32 v2, s30
	s_mov_b64 s[22:23], 0
	global_store_byte v[6:7], v2, off
.LBB167_342:
	s_andn2_b64 vcc, exec, s[22:23]
	s_cbranch_vccnz .LBB167_344
; %bb.343:
	v_mov_b32_e32 v2, s30
	global_store_byte v[6:7], v2, off
.LBB167_344:
	s_mov_b64 s[22:23], -1
.LBB167_345:
	s_andn2_b64 vcc, exec, s[22:23]
	s_cbranch_vccnz .LBB167_347
; %bb.346:
	v_add_u32_e32 v8, 0x80, v8
	s_mov_b64 s[22:23], -1
	s_branch .LBB167_348
.LBB167_347:
	s_mov_b64 s[22:23], 0
                                        ; implicit-def: $vgpr8
.LBB167_348:
	s_andn2_b64 s[24:25], s[72:73], exec
	s_and_b64 s[20:21], s[20:21], exec
	s_or_b64 s[78:79], s[24:25], s[20:21]
	s_orn2_b64 s[22:23], s[22:23], exec
.LBB167_349:
	s_or_b64 exec, exec, s[76:77]
	s_mov_b64 s[20:21], 0
	s_mov_b64 s[26:27], 0
                                        ; implicit-def: $sgpr40
                                        ; implicit-def: $vgpr6_vgpr7
	s_and_saveexec_b64 s[76:77], s[22:23]
	s_cbranch_execz .LBB167_420
; %bb.350:
	v_cmp_gt_i32_e32 vcc, s83, v8
	s_mov_b64 s[22:23], 0
	s_mov_b64 s[24:25], s[78:79]
                                        ; implicit-def: $sgpr40
                                        ; implicit-def: $vgpr6_vgpr7
	s_and_saveexec_b64 s[80:81], vcc
	s_cbranch_execz .LBB167_419
; %bb.351:
	s_andn2_b64 vcc, exec, s[48:49]
	s_cbranch_vccnz .LBB167_356
; %bb.352:
	s_andn2_b64 vcc, exec, s[66:67]
	s_cbranch_vccnz .LBB167_357
; %bb.353:
	s_add_i32 s84, s84, 1
	s_cmp_eq_u32 s82, 2
	s_cbranch_scc1 .LBB167_358
; %bb.354:
	s_and_b32 s83, s84, 28
	s_mov_b32 s85, 0
	v_mov_b32_e32 v2, 0
	s_mov_b64 s[66:67], s[34:35]
	v_mov_b32_e32 v3, v8
.LBB167_355:                            ; =>This Inner Loop Header: Depth=1
	s_load_dwordx8 s[20:27], s[66:67], 0x4
	s_load_dwordx4 s[40:43], s[66:67], 0x24
	s_load_dwordx4 s[44:47], s[64:65], 0x0
	s_add_u32 s66, s66, 48
	s_addc_u32 s67, s67, 0
	s_waitcnt lgkmcnt(0)
	v_mul_hi_u32 v5, s21, v3
	s_add_i32 s85, s85, 4
	s_add_u32 s64, s64, 16
	s_addc_u32 s65, s65, 0
	v_add_u32_e32 v5, v3, v5
	v_lshrrev_b32_e32 v5, s22, v5
	v_mul_lo_u32 v6, v5, s20
	v_mul_hi_u32 v7, s24, v5
	s_cmp_eq_u32 s83, s85
	v_sub_u32_e32 v3, v3, v6
	v_add_u32_e32 v6, v5, v7
	v_lshrrev_b32_e32 v6, s25, v6
	v_mul_lo_u32 v7, v3, s44
	v_mul_hi_u32 v3, s27, v6
	v_mul_lo_u32 v24, v6, s23
	v_add_u32_e32 v3, v6, v3
	v_lshrrev_b32_e32 v23, s40, v3
	v_mul_hi_u32 v3, s42, v23
	v_sub_u32_e32 v5, v5, v24
	v_mul_lo_u32 v24, v23, s26
	v_mul_lo_u32 v5, v5, s45
	v_add_u32_e32 v3, v23, v3
	v_lshrrev_b32_e32 v3, s43, v3
	v_mul_lo_u32 v25, v3, s41
	v_sub_u32_e32 v6, v6, v24
	v_mul_lo_u32 v6, v6, s46
	v_add3_u32 v2, v7, v2, v5
	v_sub_u32_e32 v23, v23, v25
	v_mul_lo_u32 v23, v23, s47
	v_add3_u32 v2, v6, v2, v23
	s_cbranch_scc0 .LBB167_355
	s_branch .LBB167_359
.LBB167_356:
	s_mov_b64 s[20:21], -1
                                        ; implicit-def: $vgpr2
	s_branch .LBB167_363
.LBB167_357:
	v_mov_b32_e32 v2, 0
	s_branch .LBB167_362
.LBB167_358:
	v_mov_b32_e32 v2, 0
	s_mov_b32 s83, 0
	v_mov_b32_e32 v3, v8
.LBB167_359:
	s_and_b32 s24, s84, 3
	s_cmp_eq_u32 s24, 0
	s_cbranch_scc1 .LBB167_362
; %bb.360:
	s_lshl_b32 s20, s83, 2
	s_add_u32 s20, s34, s20
	s_addc_u32 s21, s35, 0
	s_add_u32 s20, s20, 0xc4
	s_addc_u32 s21, s21, 0
	s_mul_i32 s22, s83, 12
	s_add_u32 s22, s34, s22
	s_addc_u32 s23, s35, 0
.LBB167_361:                            ; =>This Inner Loop Header: Depth=1
	s_load_dwordx2 s[26:27], s[22:23], 0x4
	s_load_dword s25, s[22:23], 0xc
	s_add_u32 s22, s22, 12
	s_addc_u32 s23, s23, 0
	s_waitcnt lgkmcnt(0)
	v_mul_hi_u32 v5, s27, v3
	s_load_dword s27, s[20:21], 0x0
	s_add_u32 s20, s20, 4
	s_addc_u32 s21, s21, 0
	v_add_u32_e32 v5, v3, v5
	v_lshrrev_b32_e32 v5, s25, v5
	v_mul_lo_u32 v6, v5, s26
	s_add_i32 s24, s24, -1
	s_cmp_lg_u32 s24, 0
	v_sub_u32_e32 v3, v3, v6
	s_waitcnt lgkmcnt(0)
	v_mad_u64_u32 v[2:3], s[26:27], v3, s27, v[2:3]
	v_mov_b32_e32 v3, v5
	s_cbranch_scc1 .LBB167_361
.LBB167_362:
	s_mov_b64 s[20:21], 0
.LBB167_363:
	s_andn2_b64 vcc, exec, s[20:21]
	s_cbranch_vccnz .LBB167_366
; %bb.364:
	v_mul_hi_u32 v2, s37, v8
	s_andn2_b64 vcc, exec, s[62:63]
	v_add_u32_e32 v2, v8, v2
	v_lshrrev_b32_e32 v3, s38, v2
	v_mul_lo_u32 v2, v3, s36
	v_sub_u32_e32 v2, v8, v2
	v_mul_lo_u32 v2, v2, s58
	s_cbranch_vccnz .LBB167_366
; %bb.365:
	v_mul_hi_u32 v5, s60, v3
	v_add_u32_e32 v5, v3, v5
	v_lshrrev_b32_e32 v5, s61, v5
	v_mul_lo_u32 v5, v5, s39
	v_sub_u32_e32 v3, v3, v5
	v_mad_u64_u32 v[2:3], s[20:21], v3, s59, v[2:3]
.LBB167_366:
	v_mov_b32_e32 v3, s29
	s_and_b32 s40, s31, 0xff
	v_add_co_u32_e32 v6, vcc, s28, v2
	s_cmp_lt_i32 s40, 11
	v_addc_co_u32_e32 v7, vcc, 0, v3, vcc
	s_cbranch_scc1 .LBB167_416
; %bb.367:
	s_and_b32 s24, 0xffff, s40
	s_mov_b64 s[22:23], -1
	s_cmp_gt_i32 s24, 25
	s_mov_b64 s[20:21], s[78:79]
	s_cbranch_scc0 .LBB167_395
; %bb.368:
	s_cmp_gt_i32 s24, 28
	s_mov_b64 s[20:21], s[78:79]
	s_cbranch_scc0 .LBB167_382
; %bb.369:
	;; [unrolled: 4-line block ×4, first 2 shown]
	s_cmp_eq_u32 s24, 46
	s_mov_b64 s[20:21], -1
	s_cbranch_scc0 .LBB167_373
; %bb.372:
	global_store_dword v[6:7], v11, off
	s_mov_b64 s[20:21], 0
.LBB167_373:
	s_mov_b64 s[22:23], 0
.LBB167_374:
	s_and_b64 vcc, exec, s[22:23]
	s_cbranch_vccz .LBB167_377
; %bb.375:
	s_cmp_eq_u32 s24, 44
	s_mov_b64 s[20:21], -1
	s_cbranch_scc0 .LBB167_377
; %bb.376:
	v_mov_b32_e32 v2, 0xffff
	v_cndmask_b32_e64 v2, v22, v2, s[16:17]
	global_store_byte v[6:7], v2, off
	s_mov_b64 s[20:21], 0
.LBB167_377:
	s_mov_b64 s[22:23], 0
.LBB167_378:
	s_and_b64 vcc, exec, s[22:23]
	s_cbranch_vccz .LBB167_381
; %bb.379:
	s_cmp_eq_u32 s24, 29
	s_mov_b64 s[20:21], -1
	s_cbranch_scc0 .LBB167_381
; %bb.380:
	v_mov_b32_e32 v2, s52
	v_mov_b32_e32 v3, s53
	global_store_dwordx2 v[6:7], v[2:3], off
	s_mov_b64 s[20:21], 0
.LBB167_381:
	s_mov_b64 s[22:23], 0
.LBB167_382:
	s_and_b64 vcc, exec, s[22:23]
	s_cbranch_vccz .LBB167_394
; %bb.383:
	s_cmp_lt_i32 s24, 27
	s_mov_b64 s[16:17], -1
	s_cbranch_scc1 .LBB167_389
; %bb.384:
	s_cmp_gt_i32 s24, 27
	s_cbranch_scc0 .LBB167_386
; %bb.385:
	v_mov_b32_e32 v2, s30
	s_mov_b64 s[16:17], 0
	global_store_dword v[6:7], v2, off
.LBB167_386:
	s_andn2_b64 vcc, exec, s[16:17]
	s_cbranch_vccnz .LBB167_388
; %bb.387:
	v_mov_b32_e32 v2, s30
	global_store_short v[6:7], v2, off
.LBB167_388:
	s_mov_b64 s[16:17], 0
.LBB167_389:
	s_andn2_b64 vcc, exec, s[16:17]
	s_cbranch_vccnz .LBB167_394
; %bb.390:
	s_andn2_b64 vcc, exec, s[14:15]
	v_mov_b32_e32 v2, 0x80
	s_cbranch_vccnz .LBB167_393
; %bb.391:
	s_or_b64 s[14:15], s[12:13], s[56:57]
	s_andn2_b64 vcc, exec, s[14:15]
	v_mov_b32_e32 v2, 0
	s_cbranch_vccnz .LBB167_393
; %bb.392:
	v_cndmask_b32_e64 v2, v21, v20, s[12:13]
.LBB167_393:
	global_store_byte v[6:7], v2, off
.LBB167_394:
	s_mov_b64 s[22:23], 0
.LBB167_395:
	s_mov_b64 s[12:13], 0
	s_and_b64 vcc, exec, s[22:23]
	s_cbranch_vccz .LBB167_417
; %bb.396:
	s_cmp_gt_i32 s24, 22
	s_mov_b64 s[14:15], -1
	s_cbranch_scc0 .LBB167_409
; %bb.397:
	s_cmp_lt_i32 s24, 24
	s_cbranch_scc1 .LBB167_406
; %bb.398:
	s_cmp_gt_i32 s24, 24
	s_cbranch_scc0 .LBB167_403
; %bb.399:
	s_andn2_b64 vcc, exec, s[10:11]
	v_mov_b32_e32 v2, 0x80
	s_cbranch_vccnz .LBB167_402
; %bb.400:
	s_or_b64 s[10:11], s[8:9], s[54:55]
	s_andn2_b64 vcc, exec, s[10:11]
	v_mov_b32_e32 v2, 0
	s_cbranch_vccnz .LBB167_402
; %bb.401:
	v_cndmask_b32_e64 v2, v18, v17, s[8:9]
.LBB167_402:
	s_mov_b64 s[14:15], 0
	global_store_byte v[6:7], v2, off
.LBB167_403:
	s_and_b64 vcc, exec, s[14:15]
	s_cbranch_vccz .LBB167_405
; %bb.404:
	v_cndmask_b32_e64 v2, v15, v16, s[6:7]
	v_cndmask_b32_e64 v2, v2, v19, s[4:5]
	global_store_byte v[6:7], v2, off
.LBB167_405:
	s_mov_b64 s[14:15], 0
.LBB167_406:
	s_andn2_b64 vcc, exec, s[14:15]
	s_cbranch_vccnz .LBB167_408
; %bb.407:
	v_cndmask_b32_e64 v2, v12, v13, s[2:3]
	v_cndmask_b32_e64 v2, v2, v14, s[0:1]
	global_store_byte v[6:7], v2, off
.LBB167_408:
	s_mov_b64 s[14:15], 0
.LBB167_409:
	s_andn2_b64 vcc, exec, s[14:15]
	s_mov_b64 s[0:1], 0
	s_cbranch_vccnz .LBB167_418
; %bb.410:
	s_cmp_gt_i32 s24, 14
	s_mov_b64 s[2:3], -1
	s_cbranch_scc0 .LBB167_414
; %bb.411:
	s_cmp_eq_u32 s24, 15
	s_mov_b64 s[20:21], -1
	s_cbranch_scc0 .LBB167_413
; %bb.412:
	global_store_short v[6:7], v11, off
	s_mov_b64 s[20:21], 0
.LBB167_413:
	s_mov_b64 s[2:3], 0
.LBB167_414:
	s_and_b64 vcc, exec, s[2:3]
	s_cbranch_vccz .LBB167_418
; %bb.415:
	s_cmp_lg_u32 s24, 11
	s_cselect_b64 s[2:3], -1, 0
	s_andn2_b64 s[4:5], s[20:21], exec
	s_and_b64 s[2:3], s[2:3], exec
	s_mov_b64 s[0:1], -1
	s_or_b64 s[20:21], s[4:5], s[2:3]
	s_branch .LBB167_418
.LBB167_416:
	s_mov_b64 s[0:1], 0
	s_mov_b64 s[12:13], -1
	s_mov_b64 s[20:21], s[78:79]
	s_branch .LBB167_418
.LBB167_417:
	s_mov_b64 s[0:1], 0
.LBB167_418:
	s_and_b64 s[22:23], s[0:1], exec
	s_andn2_b64 s[0:1], s[78:79], exec
	s_and_b64 s[2:3], s[20:21], exec
	s_and_b64 s[26:27], s[12:13], exec
	s_or_b64 s[24:25], s[0:1], s[2:3]
.LBB167_419:
	s_or_b64 exec, exec, s[80:81]
	s_andn2_b64 s[0:1], s[78:79], exec
	s_and_b64 s[2:3], s[24:25], exec
	s_and_b64 s[26:27], s[26:27], exec
	;; [unrolled: 1-line block ×3, first 2 shown]
	s_or_b64 s[78:79], s[0:1], s[2:3]
.LBB167_420:
	s_or_b64 exec, exec, s[76:77]
	s_andn2_b64 s[0:1], s[72:73], exec
	s_and_b64 s[2:3], s[78:79], exec
	s_and_b64 s[24:25], s[26:27], exec
	;; [unrolled: 1-line block ×3, first 2 shown]
	s_or_b64 s[72:73], s[0:1], s[2:3]
.LBB167_421:
	s_or_b64 exec, exec, s[74:75]
	s_andn2_b64 s[0:1], s[68:69], exec
	s_and_b64 s[2:3], s[72:73], exec
	s_and_b64 s[20:21], s[24:25], exec
	;; [unrolled: 1-line block ×3, first 2 shown]
	s_or_b64 s[68:69], s[0:1], s[2:3]
	s_or_b64 exec, exec, s[70:71]
	s_mov_b64 s[0:1], 0
	s_and_saveexec_b64 s[2:3], s[68:69]
	s_cbranch_execz .LBB167_122
.LBB167_422:
	s_mov_b64 s[0:1], exec
	s_andn2_b64 s[74:75], s[74:75], exec
	s_trap 2
	s_or_b64 exec, exec, s[2:3]
	s_and_saveexec_b64 s[2:3], s[74:75]
	s_xor_b64 s[2:3], exec, s[2:3]
	s_cbranch_execnz .LBB167_123
.LBB167_423:
	s_or_b64 exec, exec, s[2:3]
	s_and_saveexec_b64 s[2:3], s[20:21]
	s_xor_b64 s[2:3], exec, s[2:3]
	s_cbranch_execz .LBB167_461
.LBB167_424:
	s_sext_i32_i16 s6, s40
	s_cmp_lt_i32 s6, 5
	s_mov_b64 s[4:5], -1
	s_cbranch_scc1 .LBB167_445
; %bb.425:
	s_cmp_lt_i32 s6, 8
	s_cbranch_scc1 .LBB167_435
; %bb.426:
	s_cmp_lt_i32 s6, 9
	s_cbranch_scc1 .LBB167_432
; %bb.427:
	s_cmp_gt_i32 s6, 9
	s_cbranch_scc0 .LBB167_429
; %bb.428:
	v_mov_b32_e32 v2, 0
	v_mov_b32_e32 v3, v2
	s_mov_b64 s[4:5], 0
	global_store_dwordx4 v[6:7], v[0:3], off
.LBB167_429:
	s_andn2_b64 vcc, exec, s[4:5]
	s_cbranch_vccnz .LBB167_431
; %bb.430:
	v_mov_b32_e32 v5, 0
	global_store_dwordx2 v[6:7], v[4:5], off
.LBB167_431:
	s_mov_b64 s[4:5], 0
.LBB167_432:
	s_andn2_b64 vcc, exec, s[4:5]
	s_cbranch_vccnz .LBB167_434
; %bb.433:
	global_store_dword v[6:7], v9, off
.LBB167_434:
	s_mov_b64 s[4:5], 0
.LBB167_435:
	s_andn2_b64 vcc, exec, s[4:5]
	s_cbranch_vccnz .LBB167_444
; %bb.436:
	s_sext_i32_i16 s6, s40
	s_cmp_lt_i32 s6, 6
	s_mov_b64 s[4:5], -1
	s_cbranch_scc1 .LBB167_442
; %bb.437:
	s_cmp_gt_i32 s6, 6
	s_cbranch_scc0 .LBB167_439
; %bb.438:
	s_mov_b64 s[4:5], 0
	global_store_dwordx2 v[6:7], v[0:1], off
.LBB167_439:
	s_andn2_b64 vcc, exec, s[4:5]
	s_cbranch_vccnz .LBB167_441
; %bb.440:
	global_store_dword v[6:7], v4, off
.LBB167_441:
	s_mov_b64 s[4:5], 0
.LBB167_442:
	s_andn2_b64 vcc, exec, s[4:5]
	s_cbranch_vccnz .LBB167_444
; %bb.443:
	global_store_short v[6:7], v9, off
.LBB167_444:
	s_mov_b64 s[4:5], 0
.LBB167_445:
	s_andn2_b64 vcc, exec, s[4:5]
	s_cbranch_vccnz .LBB167_461
; %bb.446:
	s_sext_i32_i16 s6, s40
	s_cmp_lt_i32 s6, 2
	s_mov_b64 s[4:5], -1
	s_cbranch_scc1 .LBB167_456
; %bb.447:
	s_cmp_lt_i32 s6, 3
	s_cbranch_scc1 .LBB167_453
; %bb.448:
	s_cmp_gt_i32 s6, 3
	s_cbranch_scc0 .LBB167_450
; %bb.449:
	v_mov_b32_e32 v0, s52
	v_mov_b32_e32 v1, s53
	s_mov_b64 s[4:5], 0
	global_store_dwordx2 v[6:7], v[0:1], off
.LBB167_450:
	s_andn2_b64 vcc, exec, s[4:5]
	s_cbranch_vccnz .LBB167_452
; %bb.451:
	v_mov_b32_e32 v0, s30
	global_store_dword v[6:7], v0, off
.LBB167_452:
	s_mov_b64 s[4:5], 0
.LBB167_453:
	s_andn2_b64 vcc, exec, s[4:5]
	s_cbranch_vccnz .LBB167_455
; %bb.454:
	v_mov_b32_e32 v0, s30
	global_store_short v[6:7], v0, off
.LBB167_455:
	s_mov_b64 s[4:5], 0
.LBB167_456:
	s_andn2_b64 vcc, exec, s[4:5]
	s_cbranch_vccnz .LBB167_461
; %bb.457:
	s_sext_i32_i16 s4, s40
	s_cmp_gt_i32 s4, 0
	s_mov_b64 s[4:5], -1
	s_cbranch_scc0 .LBB167_459
; %bb.458:
	v_mov_b32_e32 v0, s30
	s_mov_b64 s[4:5], 0
	global_store_byte v[6:7], v0, off
.LBB167_459:
	s_andn2_b64 vcc, exec, s[4:5]
	s_cbranch_vccnz .LBB167_461
; %bb.460:
	v_mov_b32_e32 v0, s30
	global_store_byte v[6:7], v0, off
.LBB167_461:
	s_or_b64 exec, exec, s[2:3]
	s_and_b64 s[20:21], s[0:1], exec
                                        ; implicit-def: $vgpr9
                                        ; implicit-def: $vgpr8
.LBB167_462:
	s_or_saveexec_b64 s[22:23], s[50:51]
	s_mov_b64 s[0:1], 0
                                        ; implicit-def: $sgpr3
                                        ; implicit-def: $vgpr0_vgpr1
                                        ; implicit-def: $sgpr2
	s_xor_b64 exec, exec, s[22:23]
	s_cbranch_execz .LBB167_945
; %bb.463:
	v_cndmask_b32_e64 v0, 0, 1, s[48:49]
	v_cmp_ne_u32_e64 s[0:1], 1, v0
	s_andn2_b64 vcc, exec, s[48:49]
	s_cbranch_vccnz .LBB167_469
; %bb.464:
	s_cmp_lg_u32 s33, 0
	s_mov_b32 s26, 0
	s_cbranch_scc0 .LBB167_470
; %bb.465:
	s_min_u32 s27, s82, 15
	s_add_i32 s27, s27, 1
	s_cmp_eq_u32 s82, 2
	s_cbranch_scc1 .LBB167_471
; %bb.466:
	s_and_b32 s26, s27, 28
	s_add_u32 s2, s34, 0xc4
	s_addc_u32 s3, s35, 0
	s_mov_b32 s28, 0
	v_mov_b32_e32 v6, 0
	s_mov_b64 s[24:25], s[34:35]
	v_mov_b32_e32 v0, v8
.LBB167_467:                            ; =>This Inner Loop Header: Depth=1
	s_load_dwordx8 s[4:11], s[24:25], 0x4
	s_load_dwordx4 s[12:15], s[24:25], 0x24
	s_load_dwordx4 s[16:19], s[2:3], 0x0
	s_add_u32 s24, s24, 48
	s_addc_u32 s25, s25, 0
	s_waitcnt lgkmcnt(0)
	v_mul_hi_u32 v1, s5, v0
	s_add_i32 s28, s28, 4
	s_add_u32 s2, s2, 16
	s_addc_u32 s3, s3, 0
	v_add_u32_e32 v1, v0, v1
	v_lshrrev_b32_e32 v1, s6, v1
	v_mul_lo_u32 v2, v1, s4
	v_mul_hi_u32 v3, s8, v1
	s_cmp_lg_u32 s26, s28
	v_sub_u32_e32 v0, v0, v2
	v_add_u32_e32 v2, v1, v3
	v_lshrrev_b32_e32 v2, s9, v2
	v_mul_lo_u32 v3, v0, s16
	v_mul_hi_u32 v0, s11, v2
	v_mul_lo_u32 v5, v2, s7
	v_add_u32_e32 v0, v2, v0
	v_lshrrev_b32_e32 v4, s12, v0
	v_mul_hi_u32 v0, s14, v4
	v_sub_u32_e32 v1, v1, v5
	v_mul_lo_u32 v5, v4, s10
	v_mul_lo_u32 v1, v1, s17
	v_add_u32_e32 v0, v4, v0
	v_lshrrev_b32_e32 v0, s15, v0
	v_mul_lo_u32 v7, v0, s13
	v_sub_u32_e32 v2, v2, v5
	v_mul_lo_u32 v2, v2, s18
	v_add3_u32 v1, v3, v6, v1
	v_sub_u32_e32 v4, v4, v7
	v_mul_lo_u32 v4, v4, s19
	v_add3_u32 v6, v2, v1, v4
	s_cbranch_scc1 .LBB167_467
; %bb.468:
	s_and_b32 s6, s27, 3
	s_cmp_eq_u32 s6, 0
	s_cbranch_scc0 .LBB167_472
	s_branch .LBB167_474
.LBB167_469:
                                        ; implicit-def: $vgpr6
	s_branch .LBB167_475
.LBB167_470:
	v_mov_b32_e32 v6, 0
	s_branch .LBB167_474
.LBB167_471:
	v_mov_b32_e32 v6, 0
	v_mov_b32_e32 v0, v8
	s_and_b32 s6, s27, 3
	s_cmp_eq_u32 s6, 0
	s_cbranch_scc1 .LBB167_474
.LBB167_472:
	s_lshl_b32 s2, s26, 2
	s_add_u32 s2, s34, s2
	s_addc_u32 s3, s35, 0
	s_add_u32 s2, s2, 0xc4
	s_addc_u32 s3, s3, 0
	s_mul_i32 s4, s26, 12
	s_add_u32 s4, s34, s4
	s_addc_u32 s5, s35, 0
.LBB167_473:                            ; =>This Inner Loop Header: Depth=1
	s_load_dwordx2 s[8:9], s[4:5], 0x4
	s_load_dword s7, s[4:5], 0xc
	s_add_u32 s4, s4, 12
	s_addc_u32 s5, s5, 0
	s_waitcnt lgkmcnt(0)
	v_mul_hi_u32 v1, s9, v0
	s_load_dword s9, s[2:3], 0x0
	s_add_u32 s2, s2, 4
	s_addc_u32 s3, s3, 0
	v_add_u32_e32 v1, v0, v1
	v_lshrrev_b32_e32 v1, s7, v1
	v_mul_lo_u32 v2, v1, s8
	s_add_i32 s6, s6, -1
	s_cmp_lg_u32 s6, 0
	v_sub_u32_e32 v0, v0, v2
	s_waitcnt lgkmcnt(0)
	v_mad_u64_u32 v[6:7], s[8:9], v0, s9, v[6:7]
	v_mov_b32_e32 v0, v1
	s_cbranch_scc1 .LBB167_473
.LBB167_474:
	s_cbranch_execnz .LBB167_477
.LBB167_475:
	s_load_dwordx4 s[4:7], s[34:35], 0x4
	s_load_dword s2, s[34:35], 0xc4
	s_cmp_lt_u32 s33, 2
	s_waitcnt lgkmcnt(0)
	v_mul_hi_u32 v0, s5, v8
	v_add_u32_e32 v0, v8, v0
	v_lshrrev_b32_e32 v0, s6, v0
	v_mul_lo_u32 v1, v0, s4
	v_sub_u32_e32 v1, v8, v1
	v_mul_lo_u32 v6, v1, s2
	s_cbranch_scc1 .LBB167_477
; %bb.476:
	s_load_dwordx4 s[4:7], s[34:35], 0x10
	s_load_dword s2, s[34:35], 0xc8
	s_waitcnt lgkmcnt(0)
	v_mul_hi_u32 v1, s5, v0
	v_add_u32_e32 v1, v0, v1
	v_lshrrev_b32_e32 v1, s6, v1
	v_mul_lo_u32 v1, v1, s4
	v_sub_u32_e32 v0, v0, v1
	v_mad_u64_u32 v[6:7], s[2:3], v0, s2, v[6:7]
.LBB167_477:
	s_and_b64 vcc, exec, s[0:1]
	v_add_u32_e32 v0, 0x80, v8
	s_cbranch_vccnz .LBB167_483
; %bb.478:
	s_cmp_lg_u32 s33, 0
	s_mov_b32 s26, 0
	s_cbranch_scc0 .LBB167_484
; %bb.479:
	s_min_u32 s27, s82, 15
	s_add_i32 s27, s27, 1
	s_cmp_eq_u32 s82, 2
	s_cbranch_scc1 .LBB167_485
; %bb.480:
	s_and_b32 s26, s27, 28
	s_add_u32 s2, s34, 0xc4
	s_addc_u32 s3, s35, 0
	s_mov_b32 s28, 0
	v_mov_b32_e32 v4, 0
	s_mov_b64 s[24:25], s[34:35]
	v_mov_b32_e32 v1, v0
.LBB167_481:                            ; =>This Inner Loop Header: Depth=1
	s_load_dwordx8 s[4:11], s[24:25], 0x4
	s_load_dwordx4 s[12:15], s[24:25], 0x24
	s_load_dwordx4 s[16:19], s[2:3], 0x0
	s_add_u32 s24, s24, 48
	s_addc_u32 s25, s25, 0
	s_waitcnt lgkmcnt(0)
	v_mul_hi_u32 v2, s5, v1
	s_add_i32 s28, s28, 4
	s_add_u32 s2, s2, 16
	s_addc_u32 s3, s3, 0
	v_add_u32_e32 v2, v1, v2
	v_lshrrev_b32_e32 v2, s6, v2
	v_mul_lo_u32 v3, v2, s4
	v_mul_hi_u32 v5, s8, v2
	s_cmp_lg_u32 s26, s28
	v_sub_u32_e32 v1, v1, v3
	v_add_u32_e32 v3, v2, v5
	v_lshrrev_b32_e32 v3, s9, v3
	v_mul_lo_u32 v5, v1, s16
	v_mul_hi_u32 v1, s11, v3
	v_mul_lo_u32 v10, v3, s7
	v_add_u32_e32 v1, v3, v1
	v_lshrrev_b32_e32 v7, s12, v1
	v_mul_hi_u32 v1, s14, v7
	v_sub_u32_e32 v2, v2, v10
	v_mul_lo_u32 v10, v7, s10
	v_mul_lo_u32 v2, v2, s17
	v_add_u32_e32 v1, v7, v1
	v_lshrrev_b32_e32 v1, s15, v1
	v_mul_lo_u32 v11, v1, s13
	v_sub_u32_e32 v3, v3, v10
	v_mul_lo_u32 v3, v3, s18
	v_add3_u32 v2, v5, v4, v2
	v_sub_u32_e32 v7, v7, v11
	v_mul_lo_u32 v7, v7, s19
	v_add3_u32 v4, v3, v2, v7
	s_cbranch_scc1 .LBB167_481
; %bb.482:
	s_and_b32 s6, s27, 3
	s_cmp_eq_u32 s6, 0
	s_cbranch_scc0 .LBB167_486
	s_branch .LBB167_488
.LBB167_483:
                                        ; implicit-def: $vgpr4
	s_branch .LBB167_489
.LBB167_484:
	v_mov_b32_e32 v4, 0
	s_branch .LBB167_488
.LBB167_485:
	v_mov_b32_e32 v4, 0
	v_mov_b32_e32 v1, v0
	s_and_b32 s6, s27, 3
	s_cmp_eq_u32 s6, 0
	s_cbranch_scc1 .LBB167_488
.LBB167_486:
	s_lshl_b32 s2, s26, 2
	s_add_u32 s2, s34, s2
	s_addc_u32 s3, s35, 0
	s_add_u32 s2, s2, 0xc4
	s_addc_u32 s3, s3, 0
	s_mul_i32 s4, s26, 12
	s_add_u32 s4, s34, s4
	s_addc_u32 s5, s35, 0
.LBB167_487:                            ; =>This Inner Loop Header: Depth=1
	s_load_dwordx2 s[8:9], s[4:5], 0x4
	s_load_dword s7, s[4:5], 0xc
	s_add_u32 s4, s4, 12
	s_addc_u32 s5, s5, 0
	s_waitcnt lgkmcnt(0)
	v_mul_hi_u32 v2, s9, v1
	s_load_dword s9, s[2:3], 0x0
	s_add_u32 s2, s2, 4
	s_addc_u32 s3, s3, 0
	v_add_u32_e32 v2, v1, v2
	v_lshrrev_b32_e32 v2, s7, v2
	v_mul_lo_u32 v3, v2, s8
	s_add_i32 s6, s6, -1
	s_cmp_lg_u32 s6, 0
	v_sub_u32_e32 v1, v1, v3
	s_waitcnt lgkmcnt(0)
	v_mad_u64_u32 v[4:5], s[8:9], v1, s9, v[4:5]
	v_mov_b32_e32 v1, v2
	s_cbranch_scc1 .LBB167_487
.LBB167_488:
	s_cbranch_execnz .LBB167_491
.LBB167_489:
	s_load_dwordx4 s[4:7], s[34:35], 0x4
	s_load_dword s2, s[34:35], 0xc4
	s_cmp_lt_u32 s33, 2
	s_waitcnt lgkmcnt(0)
	v_mul_hi_u32 v1, s5, v0
	v_add_u32_e32 v1, v0, v1
	v_lshrrev_b32_e32 v1, s6, v1
	v_mul_lo_u32 v2, v1, s4
	v_sub_u32_e32 v0, v0, v2
	v_mul_lo_u32 v4, v0, s2
	s_cbranch_scc1 .LBB167_491
; %bb.490:
	s_load_dwordx4 s[4:7], s[34:35], 0x10
	s_load_dword s2, s[34:35], 0xc8
	s_waitcnt lgkmcnt(0)
	v_mul_hi_u32 v0, s5, v1
	v_add_u32_e32 v0, v1, v0
	v_lshrrev_b32_e32 v0, s6, v0
	v_mul_lo_u32 v0, v0, s4
	v_sub_u32_e32 v0, v1, v0
	v_mad_u64_u32 v[4:5], s[2:3], v0, s2, v[4:5]
.LBB167_491:
	s_and_b64 vcc, exec, s[0:1]
	v_add_u32_e32 v0, 0x100, v8
	s_cbranch_vccnz .LBB167_497
; %bb.492:
	s_cmp_lg_u32 s33, 0
	s_mov_b32 s26, 0
	s_cbranch_scc0 .LBB167_498
; %bb.493:
	s_min_u32 s27, s82, 15
	s_add_i32 s27, s27, 1
	s_cmp_eq_u32 s82, 2
	s_cbranch_scc1 .LBB167_499
; %bb.494:
	s_and_b32 s26, s27, 28
	s_add_u32 s2, s34, 0xc4
	s_addc_u32 s3, s35, 0
	s_mov_b32 s28, 0
	v_mov_b32_e32 v2, 0
	s_mov_b64 s[24:25], s[34:35]
	v_mov_b32_e32 v1, v0
.LBB167_495:                            ; =>This Inner Loop Header: Depth=1
	s_load_dwordx8 s[4:11], s[24:25], 0x4
	s_load_dwordx4 s[12:15], s[24:25], 0x24
	s_load_dwordx4 s[16:19], s[2:3], 0x0
	s_add_u32 s24, s24, 48
	s_addc_u32 s25, s25, 0
	s_waitcnt lgkmcnt(0)
	v_mul_hi_u32 v3, s5, v1
	s_add_i32 s28, s28, 4
	s_add_u32 s2, s2, 16
	s_addc_u32 s3, s3, 0
	v_add_u32_e32 v3, v1, v3
	v_lshrrev_b32_e32 v3, s6, v3
	v_mul_lo_u32 v5, v3, s4
	v_mul_hi_u32 v7, s8, v3
	s_cmp_lg_u32 s26, s28
	v_sub_u32_e32 v1, v1, v5
	v_add_u32_e32 v5, v3, v7
	v_lshrrev_b32_e32 v5, s9, v5
	v_mul_lo_u32 v7, v1, s16
	v_mul_hi_u32 v1, s11, v5
	v_mul_lo_u32 v10, v5, s7
	v_add_u32_e32 v1, v5, v1
	v_lshrrev_b32_e32 v8, s12, v1
	v_mul_hi_u32 v1, s14, v8
	v_sub_u32_e32 v3, v3, v10
	v_mul_lo_u32 v10, v8, s10
	v_mul_lo_u32 v3, v3, s17
	v_add_u32_e32 v1, v8, v1
	v_lshrrev_b32_e32 v1, s15, v1
	v_mul_lo_u32 v11, v1, s13
	v_sub_u32_e32 v5, v5, v10
	v_mul_lo_u32 v5, v5, s18
	v_add3_u32 v2, v7, v2, v3
	v_sub_u32_e32 v8, v8, v11
	v_mul_lo_u32 v8, v8, s19
	v_add3_u32 v2, v5, v2, v8
	s_cbranch_scc1 .LBB167_495
; %bb.496:
	s_and_b32 s6, s27, 3
	s_cmp_eq_u32 s6, 0
	s_cbranch_scc0 .LBB167_500
	s_branch .LBB167_502
.LBB167_497:
                                        ; implicit-def: $vgpr2
	s_branch .LBB167_503
.LBB167_498:
	v_mov_b32_e32 v2, 0
	s_branch .LBB167_502
.LBB167_499:
	v_mov_b32_e32 v2, 0
	v_mov_b32_e32 v1, v0
	s_and_b32 s6, s27, 3
	s_cmp_eq_u32 s6, 0
	s_cbranch_scc1 .LBB167_502
.LBB167_500:
	s_lshl_b32 s2, s26, 2
	s_add_u32 s2, s34, s2
	s_addc_u32 s3, s35, 0
	s_add_u32 s2, s2, 0xc4
	s_addc_u32 s3, s3, 0
	s_mul_i32 s4, s26, 12
	s_add_u32 s4, s34, s4
	s_addc_u32 s5, s35, 0
.LBB167_501:                            ; =>This Inner Loop Header: Depth=1
	s_load_dwordx2 s[8:9], s[4:5], 0x4
	s_load_dword s7, s[4:5], 0xc
	s_add_u32 s4, s4, 12
	s_addc_u32 s5, s5, 0
	s_waitcnt lgkmcnt(0)
	v_mul_hi_u32 v3, s9, v1
	s_load_dword s9, s[2:3], 0x0
	s_add_u32 s2, s2, 4
	s_addc_u32 s3, s3, 0
	v_add_u32_e32 v3, v1, v3
	v_lshrrev_b32_e32 v5, s7, v3
	v_mul_lo_u32 v3, v5, s8
	s_add_i32 s6, s6, -1
	s_cmp_lg_u32 s6, 0
	v_sub_u32_e32 v1, v1, v3
	s_waitcnt lgkmcnt(0)
	v_mad_u64_u32 v[2:3], s[8:9], v1, s9, v[2:3]
	v_mov_b32_e32 v1, v5
	s_cbranch_scc1 .LBB167_501
.LBB167_502:
	s_cbranch_execnz .LBB167_505
.LBB167_503:
	s_load_dwordx4 s[4:7], s[34:35], 0x4
	s_load_dword s2, s[34:35], 0xc4
	s_cmp_lt_u32 s33, 2
	s_waitcnt lgkmcnt(0)
	v_mul_hi_u32 v1, s5, v0
	v_add_u32_e32 v1, v0, v1
	v_lshrrev_b32_e32 v1, s6, v1
	v_mul_lo_u32 v2, v1, s4
	v_sub_u32_e32 v0, v0, v2
	v_mul_lo_u32 v2, v0, s2
	s_cbranch_scc1 .LBB167_505
; %bb.504:
	s_load_dwordx4 s[4:7], s[34:35], 0x10
	s_load_dword s2, s[34:35], 0xc8
	s_waitcnt lgkmcnt(0)
	v_mul_hi_u32 v0, s5, v1
	v_add_u32_e32 v0, v1, v0
	v_lshrrev_b32_e32 v0, s6, v0
	v_mul_lo_u32 v0, v0, s4
	v_sub_u32_e32 v0, v1, v0
	v_mad_u64_u32 v[2:3], s[2:3], v0, s2, v[2:3]
.LBB167_505:
	s_and_b64 vcc, exec, s[0:1]
	s_cbranch_vccnz .LBB167_511
; %bb.506:
	s_cmp_lg_u32 s33, 0
	s_mov_b32 s24, 0
	s_cbranch_scc0 .LBB167_512
; %bb.507:
	s_min_u32 s25, s82, 15
	s_add_i32 s25, s25, 1
	s_cmp_eq_u32 s82, 2
	s_cbranch_scc1 .LBB167_513
; %bb.508:
	s_and_b32 s24, s25, 28
	s_add_u32 s16, s34, 0xc4
	s_addc_u32 s17, s35, 0
	s_mov_b32 s26, 0
	v_mov_b32_e32 v0, 0
	s_mov_b64 s[18:19], s[34:35]
	v_mov_b32_e32 v1, v9
.LBB167_509:                            ; =>This Inner Loop Header: Depth=1
	s_load_dwordx8 s[0:7], s[18:19], 0x4
	s_load_dwordx4 s[8:11], s[18:19], 0x24
	s_load_dwordx4 s[12:15], s[16:17], 0x0
	s_add_u32 s18, s18, 48
	s_addc_u32 s19, s19, 0
	s_waitcnt lgkmcnt(0)
	v_mul_hi_u32 v3, s1, v1
	s_add_i32 s26, s26, 4
	s_add_u32 s16, s16, 16
	s_addc_u32 s17, s17, 0
	v_add_u32_e32 v3, v1, v3
	v_lshrrev_b32_e32 v3, s2, v3
	v_mul_lo_u32 v5, v3, s0
	v_mul_hi_u32 v7, s4, v3
	s_cmp_lg_u32 s24, s26
	v_sub_u32_e32 v1, v1, v5
	v_add_u32_e32 v5, v3, v7
	v_lshrrev_b32_e32 v5, s5, v5
	v_mul_lo_u32 v7, v1, s12
	v_mul_hi_u32 v1, s7, v5
	v_mul_lo_u32 v10, v5, s3
	v_add_u32_e32 v1, v5, v1
	v_lshrrev_b32_e32 v8, s8, v1
	v_mul_hi_u32 v1, s10, v8
	v_sub_u32_e32 v3, v3, v10
	v_mul_lo_u32 v10, v8, s6
	v_mul_lo_u32 v3, v3, s13
	v_add_u32_e32 v1, v8, v1
	v_lshrrev_b32_e32 v1, s11, v1
	v_mul_lo_u32 v11, v1, s9
	v_sub_u32_e32 v5, v5, v10
	v_mul_lo_u32 v5, v5, s14
	v_add3_u32 v0, v7, v0, v3
	v_sub_u32_e32 v8, v8, v11
	v_mul_lo_u32 v8, v8, s15
	v_add3_u32 v0, v5, v0, v8
	s_cbranch_scc1 .LBB167_509
; %bb.510:
	s_and_b32 s4, s25, 3
	s_cmp_eq_u32 s4, 0
	s_cbranch_scc0 .LBB167_514
	s_branch .LBB167_516
.LBB167_511:
                                        ; implicit-def: $vgpr0
	s_branch .LBB167_517
.LBB167_512:
	v_mov_b32_e32 v0, 0
	s_branch .LBB167_516
.LBB167_513:
	v_mov_b32_e32 v0, 0
	v_mov_b32_e32 v1, v9
	s_and_b32 s4, s25, 3
	s_cmp_eq_u32 s4, 0
	s_cbranch_scc1 .LBB167_516
.LBB167_514:
	s_lshl_b32 s0, s24, 2
	s_add_u32 s0, s34, s0
	s_addc_u32 s1, s35, 0
	s_add_u32 s0, s0, 0xc4
	s_addc_u32 s1, s1, 0
	s_mul_i32 s2, s24, 12
	s_add_u32 s2, s34, s2
	s_addc_u32 s3, s35, 0
.LBB167_515:                            ; =>This Inner Loop Header: Depth=1
	s_load_dwordx2 s[6:7], s[2:3], 0x4
	s_load_dword s5, s[2:3], 0xc
	s_add_u32 s2, s2, 12
	s_addc_u32 s3, s3, 0
	s_waitcnt lgkmcnt(0)
	v_mul_hi_u32 v3, s7, v1
	s_load_dword s7, s[0:1], 0x0
	s_add_u32 s0, s0, 4
	s_addc_u32 s1, s1, 0
	v_add_u32_e32 v3, v1, v3
	v_lshrrev_b32_e32 v3, s5, v3
	v_mul_lo_u32 v5, v3, s6
	s_add_i32 s4, s4, -1
	s_cmp_lg_u32 s4, 0
	v_sub_u32_e32 v1, v1, v5
	s_waitcnt lgkmcnt(0)
	v_mad_u64_u32 v[0:1], s[6:7], v1, s7, v[0:1]
	v_mov_b32_e32 v1, v3
	s_cbranch_scc1 .LBB167_515
.LBB167_516:
	s_cbranch_execnz .LBB167_519
.LBB167_517:
	s_load_dwordx4 s[0:3], s[34:35], 0x4
	s_waitcnt lgkmcnt(0)
	s_load_dword s3, s[34:35], 0xc4
	s_cmp_lt_u32 s33, 2
	v_mul_hi_u32 v0, s1, v9
	v_add_u32_e32 v0, v9, v0
	v_lshrrev_b32_e32 v1, s2, v0
	v_mul_lo_u32 v0, v1, s0
	v_sub_u32_e32 v0, v9, v0
	s_waitcnt lgkmcnt(0)
	v_mul_lo_u32 v0, v0, s3
	s_cbranch_scc1 .LBB167_519
; %bb.518:
	s_load_dwordx4 s[0:3], s[34:35], 0x10
	s_waitcnt lgkmcnt(0)
	s_load_dword s3, s[34:35], 0xc8
	v_mul_hi_u32 v3, s1, v1
	v_add_u32_e32 v3, v1, v3
	v_lshrrev_b32_e32 v3, s2, v3
	v_mul_lo_u32 v3, v3, s0
	v_sub_u32_e32 v1, v1, v3
	s_waitcnt lgkmcnt(0)
	v_mad_u64_u32 v[0:1], s[0:1], v1, s3, v[0:1]
.LBB167_519:
	s_load_dwordx4 s[0:3], s[34:35], 0x108
	s_waitcnt lgkmcnt(0)
	v_mov_b32_e32 v1, s1
	s_and_b32 s3, s3, 0xff
	v_add_co_u32_e32 v5, vcc, s0, v6
	s_cmp_lt_i32 s3, 11
	v_addc_co_u32_e32 v6, vcc, 0, v1, vcc
	s_cbranch_scc1 .LBB167_547
; %bb.520:
	s_and_b32 s12, 0xffff, s3
	s_mov_b64 s[10:11], -1
	s_mov_b64 s[6:7], 0
	s_cmp_gt_i32 s12, 25
	s_mov_b64 s[8:9], 0
	s_mov_b64 s[4:5], 0
	s_cbranch_scc0 .LBB167_557
; %bb.521:
	s_cmp_gt_i32 s12, 28
	s_cbranch_scc0 .LBB167_536
; %bb.522:
	s_cmp_gt_i32 s12, 43
	;; [unrolled: 3-line block ×3, first 2 shown]
	s_cbranch_scc0 .LBB167_526
; %bb.524:
	s_mov_b64 s[4:5], -1
	s_mov_b64 s[10:11], 0
	s_cmp_eq_u32 s12, 46
	s_cbranch_scc0 .LBB167_526
; %bb.525:
	v_cvt_f32_u32_e32 v1, s2
	s_mov_b64 s[4:5], 0
	s_mov_b64 s[8:9], -1
	v_bfe_u32 v3, v1, 16, 1
	v_add_u32_e32 v1, v1, v3
	v_add_u32_e32 v1, 0x7fff, v1
	v_lshrrev_b32_e32 v1, 16, v1
	global_store_dword v[5:6], v1, off
.LBB167_526:
	s_and_b64 vcc, exec, s[10:11]
	s_cbranch_vccz .LBB167_531
; %bb.527:
	s_cmp_eq_u32 s12, 44
	s_mov_b64 s[4:5], -1
	s_cbranch_scc0 .LBB167_531
; %bb.528:
	v_cvt_f32_u32_e32 v1, s2
	v_readfirstlane_b32 s5, v1
	s_lshr_b32 s4, s5, 23
	s_cmpk_eq_i32 s4, 0xff
	v_mov_b32_e32 v1, 0xff
	s_cbranch_scc1 .LBB167_530
; %bb.529:
	s_bitcmp1_b32 s5, 22
	s_cselect_b64 s[8:9], -1, 0
	s_and_b32 s5, s5, 0x3fffff
	s_or_b32 s5, s4, s5
	s_cmp_lg_u32 s5, 0
	s_cselect_b64 s[10:11], -1, 0
	s_and_b64 s[8:9], s[8:9], s[10:11]
	v_cndmask_b32_e64 v1, 0, 1, s[8:9]
	v_add_u32_e32 v1, s4, v1
.LBB167_530:
	s_mov_b64 s[4:5], 0
	s_mov_b64 s[8:9], -1
	global_store_byte v[5:6], v1, off
.LBB167_531:
	s_mov_b64 s[10:11], 0
.LBB167_532:
	s_and_b64 vcc, exec, s[10:11]
	s_cbranch_vccz .LBB167_535
; %bb.533:
	s_cmp_eq_u32 s12, 29
	s_mov_b64 s[4:5], -1
	s_cbranch_scc0 .LBB167_535
; %bb.534:
	v_mov_b32_e32 v7, s2
	v_mov_b32_e32 v8, 0
	global_store_dwordx2 v[5:6], v[7:8], off
	s_mov_b64 s[4:5], 0
	s_mov_b64 s[8:9], -1
.LBB167_535:
	s_mov_b64 s[10:11], 0
.LBB167_536:
	s_and_b64 vcc, exec, s[10:11]
	s_cbranch_vccz .LBB167_556
; %bb.537:
	s_cmp_lt_i32 s12, 27
	s_mov_b64 s[8:9], -1
	s_cbranch_scc1 .LBB167_543
; %bb.538:
	s_cmp_gt_i32 s12, 27
	s_cbranch_scc0 .LBB167_540
; %bb.539:
	v_mov_b32_e32 v1, s2
	s_mov_b64 s[8:9], 0
	global_store_dword v[5:6], v1, off
.LBB167_540:
	s_andn2_b64 vcc, exec, s[8:9]
	s_cbranch_vccnz .LBB167_542
; %bb.541:
	v_mov_b32_e32 v1, s2
	global_store_short v[5:6], v1, off
.LBB167_542:
	s_mov_b64 s[8:9], 0
.LBB167_543:
	s_andn2_b64 vcc, exec, s[8:9]
	s_cbranch_vccnz .LBB167_555
; %bb.544:
	v_cvt_f32_u32_e32 v1, s2
	s_mov_b32 s9, 0x437fffff
	v_mov_b32_e32 v7, 0x80
	v_cmp_lt_u32_e32 vcc, s9, v1
	v_readfirstlane_b32 s8, v1
	s_cbranch_vccnz .LBB167_554
; %bb.545:
	s_cmp_gt_u32 s8, 0x3bffffff
	s_cbranch_scc0 .LBB167_549
; %bb.546:
	s_bfe_u32 s9, s8, 0x10014
	s_add_i32 s8, s8, s9
	s_add_i32 s8, s8, 0x487ffff
	s_lshr_b32 s13, s8, 20
	s_mov_b64 s[10:11], 0
	s_mov_b64 s[8:9], -1
	s_branch .LBB167_550
.LBB167_547:
	s_mov_b64 s[8:9], 0
	s_mov_b64 s[4:5], s[20:21]
	s_cbranch_execnz .LBB167_607
.LBB167_548:
	s_andn2_b64 vcc, exec, s[8:9]
	s_cbranch_vccz .LBB167_645
	s_branch .LBB167_943
.LBB167_549:
	s_mov_b64 s[10:11], -1
	s_mov_b64 s[8:9], 0
                                        ; implicit-def: $sgpr13
.LBB167_550:
	s_andn2_b64 vcc, exec, s[10:11]
	v_mov_b32_e32 v3, s13
	s_cbranch_vccnz .LBB167_552
; %bb.551:
	v_add_f32_e32 v1, 0x46000000, v1
	v_and_b32_e32 v3, 0xff, v1
	v_cmp_ne_u32_e64 s[8:9], 0, v3
.LBB167_552:
	s_andn2_b64 vcc, exec, s[8:9]
	v_mov_b32_e32 v7, 0
	s_cbranch_vccnz .LBB167_554
; %bb.553:
	v_mov_b32_e32 v7, v3
.LBB167_554:
	global_store_byte v[5:6], v7, off
.LBB167_555:
	s_mov_b64 s[8:9], -1
.LBB167_556:
	s_mov_b64 s[10:11], 0
.LBB167_557:
	s_and_b64 vcc, exec, s[10:11]
	s_cbranch_vccz .LBB167_603
; %bb.558:
	s_cmp_gt_i32 s12, 22
	s_mov_b64 s[6:7], -1
	s_cbranch_scc0 .LBB167_596
; %bb.559:
	s_cmp_lt_i32 s12, 24
	s_cbranch_scc1 .LBB167_583
; %bb.560:
	s_cmp_gt_i32 s12, 24
	s_cbranch_scc0 .LBB167_570
; %bb.561:
	v_cvt_f32_u32_e32 v1, s2
	s_mov_b32 s7, 0x477fffff
	v_mov_b32_e32 v7, 0x80
	v_cmp_lt_u32_e32 vcc, s7, v1
	v_readfirstlane_b32 s6, v1
	s_cbranch_vccnz .LBB167_569
; %bb.562:
	s_cmp_gt_u32 s6, 0x37ffffff
	s_cbranch_scc0 .LBB167_564
; %bb.563:
	s_bfe_u32 s7, s6, 0x10015
	s_add_i32 s6, s6, s7
	s_add_i32 s6, s6, 0x88fffff
	s_lshr_b32 s10, s6, 21
	s_mov_b64 s[8:9], 0
	s_mov_b64 s[6:7], -1
	s_branch .LBB167_565
.LBB167_564:
	s_mov_b64 s[8:9], -1
	s_mov_b64 s[6:7], 0
                                        ; implicit-def: $sgpr10
.LBB167_565:
	s_andn2_b64 vcc, exec, s[8:9]
	v_mov_b32_e32 v3, s10
	s_cbranch_vccnz .LBB167_567
; %bb.566:
	v_add_f32_e32 v1, 0x42800000, v1
	v_and_b32_e32 v3, 0xff, v1
	v_cmp_ne_u32_e64 s[6:7], 0, v3
.LBB167_567:
	s_andn2_b64 vcc, exec, s[6:7]
	v_mov_b32_e32 v7, 0
	s_cbranch_vccnz .LBB167_569
; %bb.568:
	v_mov_b32_e32 v7, v3
.LBB167_569:
	s_mov_b64 s[6:7], 0
	global_store_byte v[5:6], v7, off
.LBB167_570:
	s_and_b64 vcc, exec, s[6:7]
	s_cbranch_vccz .LBB167_582
; %bb.571:
	v_cvt_f32_u32_e32 v1, s2
	s_mov_b32 s6, 0x43f00000
	v_cmp_gt_u32_e32 vcc, s6, v1
	v_readfirstlane_b32 s8, v1
	s_cbranch_vccz .LBB167_574
; %bb.572:
	s_cmp_gt_u32 s8, 0x3c7fffff
	s_cbranch_scc0 .LBB167_575
; %bb.573:
	s_bfe_u32 s6, s8, 0x10014
	s_add_i32 s6, s8, s6
	s_add_i32 s6, s6, 0x407ffff
	s_lshr_b32 s7, s6, 20
	s_and_b32 s6, s6, 0xff00000
	s_cmp_lg_u32 s6, 0x7f00000
	s_cselect_b32 s9, s7, 0x7e
	s_mov_b64 s[6:7], 0
	s_branch .LBB167_576
.LBB167_574:
	s_mov_b64 s[6:7], -1
                                        ; implicit-def: $vgpr3
	s_branch .LBB167_579
.LBB167_575:
	s_mov_b64 s[6:7], -1
                                        ; implicit-def: $sgpr9
.LBB167_576:
	s_andn2_b64 vcc, exec, s[6:7]
	v_mov_b32_e32 v3, s9
	s_cbranch_vccnz .LBB167_578
; %bb.577:
	v_add_f32_e32 v3, 0x46800000, v1
.LBB167_578:
	s_mov_b64 s[6:7], 0
.LBB167_579:
	s_andn2_b64 vcc, exec, s[6:7]
	s_cbranch_vccnz .LBB167_581
; %bb.580:
	s_cmp_gt_u32 s8, 0x7f800000
	s_movk_i32 s6, 0x7f
	s_cselect_b32 s6, s6, 0x7e
	v_mov_b32_e32 v3, s6
.LBB167_581:
	global_store_byte v[5:6], v3, off
.LBB167_582:
	s_mov_b64 s[6:7], 0
.LBB167_583:
	s_andn2_b64 vcc, exec, s[6:7]
	s_cbranch_vccnz .LBB167_595
; %bb.584:
	v_cvt_f32_u32_e32 v1, s2
	s_mov_b32 s6, 0x47800000
	v_cmp_gt_u32_e32 vcc, s6, v1
	v_readfirstlane_b32 s8, v1
	s_cbranch_vccz .LBB167_587
; %bb.585:
	s_cmp_gt_u32 s8, 0x387fffff
	s_cbranch_scc0 .LBB167_588
; %bb.586:
	s_bfe_u32 s6, s8, 0x10015
	s_add_i32 s6, s8, s6
	s_add_i32 s6, s6, 0x80fffff
	s_lshr_b32 s9, s6, 21
	s_mov_b64 s[6:7], 0
	s_branch .LBB167_589
.LBB167_587:
	s_mov_b64 s[6:7], -1
                                        ; implicit-def: $vgpr3
	s_branch .LBB167_592
.LBB167_588:
	s_mov_b64 s[6:7], -1
                                        ; implicit-def: $sgpr9
.LBB167_589:
	s_andn2_b64 vcc, exec, s[6:7]
	v_mov_b32_e32 v3, s9
	s_cbranch_vccnz .LBB167_591
; %bb.590:
	v_add_f32_e32 v3, 0x43000000, v1
.LBB167_591:
	s_mov_b64 s[6:7], 0
.LBB167_592:
	s_andn2_b64 vcc, exec, s[6:7]
	s_cbranch_vccnz .LBB167_594
; %bb.593:
	s_cmp_gt_u32 s8, 0x7f800000
	s_movk_i32 s6, 0x7f
	s_cselect_b32 s6, s6, 0x7c
	v_mov_b32_e32 v3, s6
.LBB167_594:
	global_store_byte v[5:6], v3, off
.LBB167_595:
	s_mov_b64 s[6:7], 0
	s_mov_b64 s[8:9], -1
.LBB167_596:
	s_andn2_b64 vcc, exec, s[6:7]
	s_mov_b64 s[6:7], 0
	s_cbranch_vccnz .LBB167_603
; %bb.597:
	s_cmp_gt_i32 s12, 14
	s_mov_b64 s[10:11], -1
	s_cbranch_scc0 .LBB167_601
; %bb.598:
	s_cmp_eq_u32 s12, 15
	s_mov_b64 s[4:5], -1
	s_cbranch_scc0 .LBB167_600
; %bb.599:
	v_cvt_f32_u32_e32 v1, s2
	s_mov_b64 s[4:5], 0
	s_mov_b64 s[8:9], -1
	v_bfe_u32 v3, v1, 16, 1
	v_add_u32_e32 v1, v1, v3
	v_add_u32_e32 v1, 0x7fff, v1
	global_store_short_d16_hi v[5:6], v1, off
.LBB167_600:
	s_mov_b64 s[10:11], 0
.LBB167_601:
	s_and_b64 vcc, exec, s[10:11]
	s_cbranch_vccz .LBB167_603
; %bb.602:
	s_cmp_lg_u32 s12, 11
	s_mov_b64 s[6:7], -1
	s_cselect_b64 s[4:5], -1, 0
.LBB167_603:
	s_and_b64 vcc, exec, s[4:5]
	s_mov_b64 s[4:5], s[20:21]
	s_cbranch_vccnz .LBB167_675
; %bb.604:
	s_andn2_b64 vcc, exec, s[6:7]
	s_cbranch_vccnz .LBB167_606
.LBB167_605:
	s_cmp_lg_u32 s2, 0
	s_cselect_b64 s[6:7], -1, 0
	v_cndmask_b32_e64 v1, 0, 1, s[6:7]
	global_store_byte v[5:6], v1, off
	s_mov_b64 s[8:9], -1
.LBB167_606:
	s_branch .LBB167_548
.LBB167_607:
	s_and_b32 s8, 0xffff, s3
	s_cmp_lt_i32 s8, 5
	s_mov_b64 s[6:7], -1
	s_cbranch_scc1 .LBB167_628
; %bb.608:
	s_cmp_lt_i32 s8, 8
	s_cbranch_scc1 .LBB167_618
; %bb.609:
	s_cmp_lt_i32 s8, 9
	s_cbranch_scc1 .LBB167_615
; %bb.610:
	s_cmp_gt_i32 s8, 9
	s_cbranch_scc0 .LBB167_612
; %bb.611:
	v_cvt_f64_u32_e32 v[7:8], s2
	v_mov_b32_e32 v9, 0
	v_mov_b32_e32 v10, v9
	s_mov_b64 s[6:7], 0
	global_store_dwordx4 v[5:6], v[7:10], off
.LBB167_612:
	s_andn2_b64 vcc, exec, s[6:7]
	s_cbranch_vccnz .LBB167_614
; %bb.613:
	v_cvt_f32_u32_e32 v7, s2
	v_mov_b32_e32 v8, 0
	global_store_dwordx2 v[5:6], v[7:8], off
.LBB167_614:
	s_mov_b64 s[6:7], 0
.LBB167_615:
	s_andn2_b64 vcc, exec, s[6:7]
	s_cbranch_vccnz .LBB167_617
; %bb.616:
	v_cvt_f32_u32_e32 v1, s2
	v_cvt_f16_f32_e32 v1, v1
	global_store_dword v[5:6], v1, off
.LBB167_617:
	s_mov_b64 s[6:7], 0
.LBB167_618:
	s_andn2_b64 vcc, exec, s[6:7]
	s_cbranch_vccnz .LBB167_627
; %bb.619:
	s_cmp_lt_i32 s8, 6
	s_mov_b64 s[6:7], -1
	s_cbranch_scc1 .LBB167_625
; %bb.620:
	s_cmp_gt_i32 s8, 6
	s_cbranch_scc0 .LBB167_622
; %bb.621:
	v_cvt_f64_u32_e32 v[7:8], s2
	s_mov_b64 s[6:7], 0
	global_store_dwordx2 v[5:6], v[7:8], off
.LBB167_622:
	s_andn2_b64 vcc, exec, s[6:7]
	s_cbranch_vccnz .LBB167_624
; %bb.623:
	v_cvt_f32_u32_e32 v1, s2
	global_store_dword v[5:6], v1, off
.LBB167_624:
	s_mov_b64 s[6:7], 0
.LBB167_625:
	s_andn2_b64 vcc, exec, s[6:7]
	s_cbranch_vccnz .LBB167_627
; %bb.626:
	v_cvt_f32_u32_e32 v1, s2
	v_cvt_f16_f32_e32 v1, v1
	global_store_short v[5:6], v1, off
.LBB167_627:
	s_mov_b64 s[6:7], 0
.LBB167_628:
	s_andn2_b64 vcc, exec, s[6:7]
	s_cbranch_vccnz .LBB167_644
; %bb.629:
	s_cmp_lt_i32 s8, 2
	s_mov_b64 s[6:7], -1
	s_cbranch_scc1 .LBB167_639
; %bb.630:
	s_cmp_lt_i32 s8, 3
	s_cbranch_scc1 .LBB167_636
; %bb.631:
	s_cmp_gt_i32 s8, 3
	s_cbranch_scc0 .LBB167_633
; %bb.632:
	v_mov_b32_e32 v7, s2
	v_mov_b32_e32 v8, 0
	global_store_dwordx2 v[5:6], v[7:8], off
	s_mov_b64 s[6:7], 0
.LBB167_633:
	s_andn2_b64 vcc, exec, s[6:7]
	s_cbranch_vccnz .LBB167_635
; %bb.634:
	v_mov_b32_e32 v1, s2
	global_store_dword v[5:6], v1, off
.LBB167_635:
	s_mov_b64 s[6:7], 0
.LBB167_636:
	s_andn2_b64 vcc, exec, s[6:7]
	s_cbranch_vccnz .LBB167_638
; %bb.637:
	v_mov_b32_e32 v1, s2
	global_store_short v[5:6], v1, off
.LBB167_638:
	s_mov_b64 s[6:7], 0
.LBB167_639:
	s_andn2_b64 vcc, exec, s[6:7]
	s_cbranch_vccnz .LBB167_644
; %bb.640:
	s_cmp_gt_i32 s8, 0
	s_mov_b64 s[6:7], -1
	s_cbranch_scc0 .LBB167_642
; %bb.641:
	v_mov_b32_e32 v1, s2
	global_store_byte v[5:6], v1, off
	s_mov_b64 s[6:7], 0
.LBB167_642:
	s_andn2_b64 vcc, exec, s[6:7]
	s_cbranch_vccnz .LBB167_644
; %bb.643:
	v_mov_b32_e32 v1, s2
	global_store_byte v[5:6], v1, off
.LBB167_644:
.LBB167_645:
	v_mov_b32_e32 v1, s1
	s_and_b32 s14, 0xffff, s3
	v_add_co_u32_e32 v3, vcc, s0, v4
	s_cmp_lt_i32 s14, 11
	v_addc_co_u32_e32 v4, vcc, 0, v1, vcc
	s_cbranch_scc1 .LBB167_673
; %bb.646:
	s_mov_b64 s[12:13], -1
	s_mov_b64 s[8:9], 0
	s_cmp_gt_i32 s14, 25
	s_mov_b64 s[10:11], 0
	s_mov_b64 s[6:7], 0
	s_cbranch_scc0 .LBB167_684
; %bb.647:
	s_cmp_gt_i32 s14, 28
	s_cbranch_scc0 .LBB167_662
; %bb.648:
	s_cmp_gt_i32 s14, 43
	;; [unrolled: 3-line block ×3, first 2 shown]
	s_cbranch_scc0 .LBB167_652
; %bb.650:
	s_mov_b64 s[6:7], -1
	s_mov_b64 s[12:13], 0
	s_cmp_eq_u32 s14, 46
	s_cbranch_scc0 .LBB167_652
; %bb.651:
	v_cvt_f32_u32_e32 v1, s2
	s_mov_b64 s[6:7], 0
	s_mov_b64 s[10:11], -1
	v_bfe_u32 v5, v1, 16, 1
	v_add_u32_e32 v1, v1, v5
	v_add_u32_e32 v1, 0x7fff, v1
	v_lshrrev_b32_e32 v1, 16, v1
	global_store_dword v[3:4], v1, off
.LBB167_652:
	s_and_b64 vcc, exec, s[12:13]
	s_cbranch_vccz .LBB167_657
; %bb.653:
	s_cmp_eq_u32 s14, 44
	s_mov_b64 s[6:7], -1
	s_cbranch_scc0 .LBB167_657
; %bb.654:
	v_cvt_f32_u32_e32 v1, s2
	v_readfirstlane_b32 s7, v1
	s_lshr_b32 s6, s7, 23
	s_cmpk_eq_i32 s6, 0xff
	v_mov_b32_e32 v1, 0xff
	s_cbranch_scc1 .LBB167_656
; %bb.655:
	s_bitcmp1_b32 s7, 22
	s_cselect_b64 s[10:11], -1, 0
	s_and_b32 s7, s7, 0x3fffff
	s_or_b32 s7, s6, s7
	s_cmp_lg_u32 s7, 0
	s_cselect_b64 s[12:13], -1, 0
	s_and_b64 s[10:11], s[10:11], s[12:13]
	v_cndmask_b32_e64 v1, 0, 1, s[10:11]
	v_add_u32_e32 v1, s6, v1
.LBB167_656:
	s_mov_b64 s[6:7], 0
	s_mov_b64 s[10:11], -1
	global_store_byte v[3:4], v1, off
.LBB167_657:
	s_mov_b64 s[12:13], 0
.LBB167_658:
	s_and_b64 vcc, exec, s[12:13]
	s_cbranch_vccz .LBB167_661
; %bb.659:
	s_cmp_eq_u32 s14, 29
	s_mov_b64 s[6:7], -1
	s_cbranch_scc0 .LBB167_661
; %bb.660:
	v_mov_b32_e32 v5, s2
	v_mov_b32_e32 v6, 0
	global_store_dwordx2 v[3:4], v[5:6], off
	s_mov_b64 s[6:7], 0
	s_mov_b64 s[10:11], -1
.LBB167_661:
	s_mov_b64 s[12:13], 0
.LBB167_662:
	s_and_b64 vcc, exec, s[12:13]
	s_cbranch_vccz .LBB167_683
; %bb.663:
	s_cmp_lt_i32 s14, 27
	s_mov_b64 s[10:11], -1
	s_cbranch_scc1 .LBB167_669
; %bb.664:
	s_cmp_gt_i32 s14, 27
	s_cbranch_scc0 .LBB167_666
; %bb.665:
	v_mov_b32_e32 v1, s2
	s_mov_b64 s[10:11], 0
	global_store_dword v[3:4], v1, off
.LBB167_666:
	s_andn2_b64 vcc, exec, s[10:11]
	s_cbranch_vccnz .LBB167_668
; %bb.667:
	v_mov_b32_e32 v1, s2
	global_store_short v[3:4], v1, off
.LBB167_668:
	s_mov_b64 s[10:11], 0
.LBB167_669:
	s_andn2_b64 vcc, exec, s[10:11]
	s_cbranch_vccnz .LBB167_682
; %bb.670:
	v_cvt_f32_u32_e32 v1, s2
	s_mov_b32 s11, 0x437fffff
	v_mov_b32_e32 v6, 0x80
	v_cmp_lt_u32_e32 vcc, s11, v1
	v_readfirstlane_b32 s10, v1
	s_cbranch_vccnz .LBB167_681
; %bb.671:
	s_cmp_gt_u32 s10, 0x3bffffff
	s_cbranch_scc0 .LBB167_676
; %bb.672:
	s_bfe_u32 s11, s10, 0x10014
	s_add_i32 s10, s10, s11
	s_add_i32 s10, s10, 0x487ffff
	s_lshr_b32 s15, s10, 20
	s_mov_b64 s[12:13], 0
	s_mov_b64 s[10:11], -1
	s_branch .LBB167_677
.LBB167_673:
	s_mov_b64 s[10:11], 0
	s_cbranch_execnz .LBB167_734
.LBB167_674:
	s_andn2_b64 vcc, exec, s[10:11]
	s_cbranch_vccz .LBB167_772
	s_branch .LBB167_943
.LBB167_675:
	s_or_b64 s[4:5], s[20:21], exec
	s_trap 2
	s_cbranch_execz .LBB167_605
	s_branch .LBB167_606
.LBB167_676:
	s_mov_b64 s[12:13], -1
	s_mov_b64 s[10:11], 0
                                        ; implicit-def: $sgpr15
.LBB167_677:
	s_andn2_b64 vcc, exec, s[12:13]
	v_mov_b32_e32 v5, s15
	s_cbranch_vccnz .LBB167_679
; %bb.678:
	v_add_f32_e32 v1, 0x46000000, v1
	v_and_b32_e32 v5, 0xff, v1
	v_cmp_ne_u32_e64 s[10:11], 0, v5
.LBB167_679:
	s_andn2_b64 vcc, exec, s[10:11]
	v_mov_b32_e32 v6, 0
	s_cbranch_vccnz .LBB167_681
; %bb.680:
	v_mov_b32_e32 v6, v5
.LBB167_681:
	global_store_byte v[3:4], v6, off
.LBB167_682:
	s_mov_b64 s[10:11], -1
.LBB167_683:
	s_mov_b64 s[12:13], 0
.LBB167_684:
	s_and_b64 vcc, exec, s[12:13]
	s_cbranch_vccz .LBB167_730
; %bb.685:
	s_cmp_gt_i32 s14, 22
	s_mov_b64 s[8:9], -1
	s_cbranch_scc0 .LBB167_723
; %bb.686:
	s_cmp_lt_i32 s14, 24
	s_cbranch_scc1 .LBB167_710
; %bb.687:
	s_cmp_gt_i32 s14, 24
	s_cbranch_scc0 .LBB167_697
; %bb.688:
	v_cvt_f32_u32_e32 v1, s2
	s_mov_b32 s9, 0x477fffff
	v_mov_b32_e32 v6, 0x80
	v_cmp_lt_u32_e32 vcc, s9, v1
	v_readfirstlane_b32 s8, v1
	s_cbranch_vccnz .LBB167_696
; %bb.689:
	s_cmp_gt_u32 s8, 0x37ffffff
	s_cbranch_scc0 .LBB167_691
; %bb.690:
	s_bfe_u32 s9, s8, 0x10015
	s_add_i32 s8, s8, s9
	s_add_i32 s8, s8, 0x88fffff
	s_lshr_b32 s12, s8, 21
	s_mov_b64 s[10:11], 0
	s_mov_b64 s[8:9], -1
	s_branch .LBB167_692
.LBB167_691:
	s_mov_b64 s[10:11], -1
	s_mov_b64 s[8:9], 0
                                        ; implicit-def: $sgpr12
.LBB167_692:
	s_andn2_b64 vcc, exec, s[10:11]
	v_mov_b32_e32 v5, s12
	s_cbranch_vccnz .LBB167_694
; %bb.693:
	v_add_f32_e32 v1, 0x42800000, v1
	v_and_b32_e32 v5, 0xff, v1
	v_cmp_ne_u32_e64 s[8:9], 0, v5
.LBB167_694:
	s_andn2_b64 vcc, exec, s[8:9]
	v_mov_b32_e32 v6, 0
	s_cbranch_vccnz .LBB167_696
; %bb.695:
	v_mov_b32_e32 v6, v5
.LBB167_696:
	s_mov_b64 s[8:9], 0
	global_store_byte v[3:4], v6, off
.LBB167_697:
	s_and_b64 vcc, exec, s[8:9]
	s_cbranch_vccz .LBB167_709
; %bb.698:
	v_cvt_f32_u32_e32 v1, s2
	s_mov_b32 s8, 0x43f00000
	v_cmp_gt_u32_e32 vcc, s8, v1
	v_readfirstlane_b32 s10, v1
	s_cbranch_vccz .LBB167_701
; %bb.699:
	s_cmp_gt_u32 s10, 0x3c7fffff
	s_cbranch_scc0 .LBB167_702
; %bb.700:
	s_bfe_u32 s8, s10, 0x10014
	s_add_i32 s8, s10, s8
	s_add_i32 s8, s8, 0x407ffff
	s_lshr_b32 s9, s8, 20
	s_and_b32 s8, s8, 0xff00000
	s_cmp_lg_u32 s8, 0x7f00000
	s_cselect_b32 s11, s9, 0x7e
	s_mov_b64 s[8:9], 0
	s_branch .LBB167_703
.LBB167_701:
	s_mov_b64 s[8:9], -1
                                        ; implicit-def: $vgpr5
	s_branch .LBB167_706
.LBB167_702:
	s_mov_b64 s[8:9], -1
                                        ; implicit-def: $sgpr11
.LBB167_703:
	s_andn2_b64 vcc, exec, s[8:9]
	v_mov_b32_e32 v5, s11
	s_cbranch_vccnz .LBB167_705
; %bb.704:
	v_add_f32_e32 v5, 0x46800000, v1
.LBB167_705:
	s_mov_b64 s[8:9], 0
.LBB167_706:
	s_andn2_b64 vcc, exec, s[8:9]
	s_cbranch_vccnz .LBB167_708
; %bb.707:
	s_cmp_gt_u32 s10, 0x7f800000
	s_movk_i32 s8, 0x7f
	s_cselect_b32 s8, s8, 0x7e
	v_mov_b32_e32 v5, s8
.LBB167_708:
	global_store_byte v[3:4], v5, off
.LBB167_709:
	s_mov_b64 s[8:9], 0
.LBB167_710:
	s_andn2_b64 vcc, exec, s[8:9]
	s_cbranch_vccnz .LBB167_722
; %bb.711:
	v_cvt_f32_u32_e32 v1, s2
	s_mov_b32 s8, 0x47800000
	v_cmp_gt_u32_e32 vcc, s8, v1
	v_readfirstlane_b32 s10, v1
	s_cbranch_vccz .LBB167_714
; %bb.712:
	s_cmp_gt_u32 s10, 0x387fffff
	s_cbranch_scc0 .LBB167_715
; %bb.713:
	s_bfe_u32 s8, s10, 0x10015
	s_add_i32 s8, s10, s8
	s_add_i32 s8, s8, 0x80fffff
	s_lshr_b32 s11, s8, 21
	s_mov_b64 s[8:9], 0
	s_branch .LBB167_716
.LBB167_714:
	s_mov_b64 s[8:9], -1
                                        ; implicit-def: $vgpr5
	s_branch .LBB167_719
.LBB167_715:
	s_mov_b64 s[8:9], -1
                                        ; implicit-def: $sgpr11
.LBB167_716:
	s_andn2_b64 vcc, exec, s[8:9]
	v_mov_b32_e32 v5, s11
	s_cbranch_vccnz .LBB167_718
; %bb.717:
	v_add_f32_e32 v5, 0x43000000, v1
.LBB167_718:
	s_mov_b64 s[8:9], 0
.LBB167_719:
	s_andn2_b64 vcc, exec, s[8:9]
	s_cbranch_vccnz .LBB167_721
; %bb.720:
	s_cmp_gt_u32 s10, 0x7f800000
	s_movk_i32 s8, 0x7f
	s_cselect_b32 s8, s8, 0x7c
	v_mov_b32_e32 v5, s8
.LBB167_721:
	global_store_byte v[3:4], v5, off
.LBB167_722:
	s_mov_b64 s[8:9], 0
	s_mov_b64 s[10:11], -1
.LBB167_723:
	s_andn2_b64 vcc, exec, s[8:9]
	s_mov_b64 s[8:9], 0
	s_cbranch_vccnz .LBB167_730
; %bb.724:
	s_cmp_gt_i32 s14, 14
	s_mov_b64 s[12:13], -1
	s_cbranch_scc0 .LBB167_728
; %bb.725:
	s_cmp_eq_u32 s14, 15
	s_mov_b64 s[6:7], -1
	s_cbranch_scc0 .LBB167_727
; %bb.726:
	v_cvt_f32_u32_e32 v1, s2
	s_mov_b64 s[6:7], 0
	s_mov_b64 s[10:11], -1
	v_bfe_u32 v5, v1, 16, 1
	v_add_u32_e32 v1, v1, v5
	v_add_u32_e32 v1, 0x7fff, v1
	global_store_short_d16_hi v[3:4], v1, off
.LBB167_727:
	s_mov_b64 s[12:13], 0
.LBB167_728:
	s_and_b64 vcc, exec, s[12:13]
	s_cbranch_vccz .LBB167_730
; %bb.729:
	s_cmp_lg_u32 s14, 11
	s_mov_b64 s[8:9], -1
	s_cselect_b64 s[6:7], -1, 0
.LBB167_730:
	s_and_b64 vcc, exec, s[6:7]
	s_cbranch_vccnz .LBB167_832
; %bb.731:
	s_andn2_b64 vcc, exec, s[8:9]
	s_cbranch_vccnz .LBB167_733
.LBB167_732:
	s_cmp_lg_u32 s2, 0
	s_cselect_b64 s[6:7], -1, 0
	v_cndmask_b32_e64 v1, 0, 1, s[6:7]
	s_mov_b64 s[10:11], -1
	global_store_byte v[3:4], v1, off
.LBB167_733:
	s_branch .LBB167_674
.LBB167_734:
	s_cmp_lt_i32 s14, 5
	s_mov_b64 s[6:7], -1
	s_cbranch_scc1 .LBB167_755
; %bb.735:
	s_cmp_lt_i32 s14, 8
	s_cbranch_scc1 .LBB167_745
; %bb.736:
	s_cmp_lt_i32 s14, 9
	s_cbranch_scc1 .LBB167_742
; %bb.737:
	s_cmp_gt_i32 s14, 9
	s_cbranch_scc0 .LBB167_739
; %bb.738:
	v_cvt_f64_u32_e32 v[5:6], s2
	v_mov_b32_e32 v7, 0
	v_mov_b32_e32 v8, v7
	s_mov_b64 s[6:7], 0
	global_store_dwordx4 v[3:4], v[5:8], off
.LBB167_739:
	s_andn2_b64 vcc, exec, s[6:7]
	s_cbranch_vccnz .LBB167_741
; %bb.740:
	v_cvt_f32_u32_e32 v5, s2
	v_mov_b32_e32 v6, 0
	global_store_dwordx2 v[3:4], v[5:6], off
.LBB167_741:
	s_mov_b64 s[6:7], 0
.LBB167_742:
	s_andn2_b64 vcc, exec, s[6:7]
	s_cbranch_vccnz .LBB167_744
; %bb.743:
	v_cvt_f32_u32_e32 v1, s2
	v_cvt_f16_f32_e32 v1, v1
	global_store_dword v[3:4], v1, off
.LBB167_744:
	s_mov_b64 s[6:7], 0
.LBB167_745:
	s_andn2_b64 vcc, exec, s[6:7]
	s_cbranch_vccnz .LBB167_754
; %bb.746:
	s_cmp_lt_i32 s14, 6
	s_mov_b64 s[6:7], -1
	s_cbranch_scc1 .LBB167_752
; %bb.747:
	s_cmp_gt_i32 s14, 6
	s_cbranch_scc0 .LBB167_749
; %bb.748:
	v_cvt_f64_u32_e32 v[5:6], s2
	s_mov_b64 s[6:7], 0
	global_store_dwordx2 v[3:4], v[5:6], off
.LBB167_749:
	s_andn2_b64 vcc, exec, s[6:7]
	s_cbranch_vccnz .LBB167_751
; %bb.750:
	v_cvt_f32_u32_e32 v1, s2
	global_store_dword v[3:4], v1, off
.LBB167_751:
	s_mov_b64 s[6:7], 0
.LBB167_752:
	s_andn2_b64 vcc, exec, s[6:7]
	s_cbranch_vccnz .LBB167_754
; %bb.753:
	v_cvt_f32_u32_e32 v1, s2
	v_cvt_f16_f32_e32 v1, v1
	global_store_short v[3:4], v1, off
.LBB167_754:
	s_mov_b64 s[6:7], 0
.LBB167_755:
	s_andn2_b64 vcc, exec, s[6:7]
	s_cbranch_vccnz .LBB167_771
; %bb.756:
	s_cmp_lt_i32 s14, 2
	s_mov_b64 s[6:7], -1
	s_cbranch_scc1 .LBB167_766
; %bb.757:
	s_cmp_lt_i32 s14, 3
	s_cbranch_scc1 .LBB167_763
; %bb.758:
	s_cmp_gt_i32 s14, 3
	s_cbranch_scc0 .LBB167_760
; %bb.759:
	v_mov_b32_e32 v5, s2
	v_mov_b32_e32 v6, 0
	global_store_dwordx2 v[3:4], v[5:6], off
	s_mov_b64 s[6:7], 0
.LBB167_760:
	s_andn2_b64 vcc, exec, s[6:7]
	s_cbranch_vccnz .LBB167_762
; %bb.761:
	v_mov_b32_e32 v1, s2
	global_store_dword v[3:4], v1, off
.LBB167_762:
	s_mov_b64 s[6:7], 0
.LBB167_763:
	s_andn2_b64 vcc, exec, s[6:7]
	s_cbranch_vccnz .LBB167_765
; %bb.764:
	v_mov_b32_e32 v1, s2
	global_store_short v[3:4], v1, off
.LBB167_765:
	s_mov_b64 s[6:7], 0
.LBB167_766:
	s_andn2_b64 vcc, exec, s[6:7]
	s_cbranch_vccnz .LBB167_771
; %bb.767:
	s_cmp_gt_i32 s14, 0
	s_mov_b64 s[6:7], -1
	s_cbranch_scc0 .LBB167_769
; %bb.768:
	v_mov_b32_e32 v1, s2
	global_store_byte v[3:4], v1, off
	s_mov_b64 s[6:7], 0
.LBB167_769:
	s_andn2_b64 vcc, exec, s[6:7]
	s_cbranch_vccnz .LBB167_771
; %bb.770:
	v_mov_b32_e32 v1, s2
	global_store_byte v[3:4], v1, off
.LBB167_771:
.LBB167_772:
	v_mov_b32_e32 v3, s1
	v_add_co_u32_e32 v1, vcc, s0, v2
	s_cmp_lt_i32 s14, 11
	v_addc_co_u32_e32 v2, vcc, 0, v3, vcc
	s_cbranch_scc1 .LBB167_800
; %bb.773:
	s_mov_b64 s[12:13], -1
	s_mov_b64 s[8:9], 0
	s_cmp_gt_i32 s14, 25
	s_mov_b64 s[10:11], 0
	s_mov_b64 s[6:7], 0
	s_cbranch_scc0 .LBB167_841
; %bb.774:
	s_cmp_gt_i32 s14, 28
	s_cbranch_scc0 .LBB167_789
; %bb.775:
	s_cmp_gt_i32 s14, 43
	;; [unrolled: 3-line block ×3, first 2 shown]
	s_cbranch_scc0 .LBB167_779
; %bb.777:
	s_mov_b64 s[6:7], -1
	s_mov_b64 s[12:13], 0
	s_cmp_eq_u32 s14, 46
	s_cbranch_scc0 .LBB167_779
; %bb.778:
	v_cvt_f32_u32_e32 v3, s2
	s_mov_b64 s[6:7], 0
	s_mov_b64 s[10:11], -1
	v_bfe_u32 v4, v3, 16, 1
	v_add_u32_e32 v3, v3, v4
	v_add_u32_e32 v3, 0x7fff, v3
	v_lshrrev_b32_e32 v3, 16, v3
	global_store_dword v[1:2], v3, off
.LBB167_779:
	s_and_b64 vcc, exec, s[12:13]
	s_cbranch_vccz .LBB167_784
; %bb.780:
	s_cmp_eq_u32 s14, 44
	s_mov_b64 s[6:7], -1
	s_cbranch_scc0 .LBB167_784
; %bb.781:
	v_cvt_f32_u32_e32 v3, s2
	v_readfirstlane_b32 s7, v3
	s_lshr_b32 s6, s7, 23
	s_cmpk_eq_i32 s6, 0xff
	v_mov_b32_e32 v3, 0xff
	s_cbranch_scc1 .LBB167_783
; %bb.782:
	s_bitcmp1_b32 s7, 22
	s_cselect_b64 s[10:11], -1, 0
	s_and_b32 s7, s7, 0x3fffff
	s_or_b32 s7, s6, s7
	s_cmp_lg_u32 s7, 0
	s_cselect_b64 s[12:13], -1, 0
	s_and_b64 s[10:11], s[10:11], s[12:13]
	v_cndmask_b32_e64 v3, 0, 1, s[10:11]
	v_add_u32_e32 v3, s6, v3
.LBB167_783:
	s_mov_b64 s[6:7], 0
	s_mov_b64 s[10:11], -1
	global_store_byte v[1:2], v3, off
.LBB167_784:
	s_mov_b64 s[12:13], 0
.LBB167_785:
	s_and_b64 vcc, exec, s[12:13]
	s_cbranch_vccz .LBB167_788
; %bb.786:
	s_cmp_eq_u32 s14, 29
	s_mov_b64 s[6:7], -1
	s_cbranch_scc0 .LBB167_788
; %bb.787:
	v_mov_b32_e32 v3, s2
	v_mov_b32_e32 v4, 0
	global_store_dwordx2 v[1:2], v[3:4], off
	s_mov_b64 s[6:7], 0
	s_mov_b64 s[10:11], -1
.LBB167_788:
	s_mov_b64 s[12:13], 0
.LBB167_789:
	s_and_b64 vcc, exec, s[12:13]
	s_cbranch_vccz .LBB167_840
; %bb.790:
	s_cmp_lt_i32 s14, 27
	s_mov_b64 s[10:11], -1
	s_cbranch_scc1 .LBB167_796
; %bb.791:
	s_cmp_gt_i32 s14, 27
	s_cbranch_scc0 .LBB167_793
; %bb.792:
	v_mov_b32_e32 v3, s2
	s_mov_b64 s[10:11], 0
	global_store_dword v[1:2], v3, off
.LBB167_793:
	s_andn2_b64 vcc, exec, s[10:11]
	s_cbranch_vccnz .LBB167_795
; %bb.794:
	v_mov_b32_e32 v3, s2
	global_store_short v[1:2], v3, off
.LBB167_795:
	s_mov_b64 s[10:11], 0
.LBB167_796:
	s_andn2_b64 vcc, exec, s[10:11]
	s_cbranch_vccnz .LBB167_839
; %bb.797:
	v_cvt_f32_u32_e32 v3, s2
	s_mov_b32 s11, 0x437fffff
	v_mov_b32_e32 v5, 0x80
	v_cmp_lt_u32_e32 vcc, s11, v3
	v_readfirstlane_b32 s10, v3
	s_cbranch_vccnz .LBB167_838
; %bb.798:
	s_cmp_gt_u32 s10, 0x3bffffff
	s_cbranch_scc0 .LBB167_833
; %bb.799:
	s_bfe_u32 s11, s10, 0x10014
	s_add_i32 s10, s10, s11
	s_add_i32 s10, s10, 0x487ffff
	s_lshr_b32 s15, s10, 20
	s_mov_b64 s[12:13], 0
	s_mov_b64 s[10:11], -1
	s_branch .LBB167_834
.LBB167_800:
	s_mov_b64 s[10:11], 0
	s_cbranch_execnz .LBB167_905
.LBB167_801:
	s_andn2_b64 vcc, exec, s[10:11]
	s_cbranch_vccnz .LBB167_943
.LBB167_802:
	v_mov_b32_e32 v1, s1
	v_add_co_u32_e32 v0, vcc, s0, v0
	s_cmp_lt_i32 s14, 11
	v_addc_co_u32_e32 v1, vcc, 0, v1, vcc
	s_cbranch_scc1 .LBB167_831
; %bb.803:
	s_mov_b64 s[8:9], -1
	s_mov_b64 s[6:7], 0
	s_cmp_gt_i32 s14, 25
	s_mov_b64 s[0:1], 0
	s_cbranch_scc0 .LBB167_855
; %bb.804:
	s_cmp_gt_i32 s14, 28
	s_cbranch_scc0 .LBB167_820
; %bb.805:
	s_cmp_gt_i32 s14, 43
	;; [unrolled: 3-line block ×3, first 2 shown]
	s_cbranch_scc0 .LBB167_810
; %bb.807:
	s_cmp_eq_u32 s14, 46
	s_mov_b64 s[0:1], -1
	s_cbranch_scc0 .LBB167_809
; %bb.808:
	v_cvt_f32_u32_e32 v2, s2
	s_mov_b64 s[0:1], 0
	v_bfe_u32 v3, v2, 16, 1
	v_add_u32_e32 v2, v2, v3
	v_add_u32_e32 v2, 0x7fff, v2
	v_lshrrev_b32_e32 v2, 16, v2
	global_store_dword v[0:1], v2, off
.LBB167_809:
	s_mov_b64 s[8:9], 0
.LBB167_810:
	s_and_b64 vcc, exec, s[8:9]
	s_cbranch_vccz .LBB167_815
; %bb.811:
	s_cmp_eq_u32 s14, 44
	s_mov_b64 s[0:1], -1
	s_cbranch_scc0 .LBB167_815
; %bb.812:
	v_cvt_f32_u32_e32 v2, s2
	v_readfirstlane_b32 s1, v2
	s_lshr_b32 s0, s1, 23
	s_cmpk_eq_i32 s0, 0xff
	v_mov_b32_e32 v2, 0xff
	s_cbranch_scc1 .LBB167_814
; %bb.813:
	s_bitcmp1_b32 s1, 22
	s_cselect_b64 s[8:9], -1, 0
	s_and_b32 s1, s1, 0x3fffff
	s_or_b32 s1, s0, s1
	s_cmp_lg_u32 s1, 0
	s_cselect_b64 s[10:11], -1, 0
	s_and_b64 s[8:9], s[8:9], s[10:11]
	v_cndmask_b32_e64 v2, 0, 1, s[8:9]
	v_add_u32_e32 v2, s0, v2
.LBB167_814:
	s_mov_b64 s[0:1], 0
	global_store_byte v[0:1], v2, off
.LBB167_815:
	s_mov_b64 s[8:9], 0
.LBB167_816:
	s_and_b64 vcc, exec, s[8:9]
	s_cbranch_vccz .LBB167_819
; %bb.817:
	s_cmp_eq_u32 s14, 29
	s_mov_b64 s[0:1], -1
	s_cbranch_scc0 .LBB167_819
; %bb.818:
	v_mov_b32_e32 v2, s2
	v_mov_b32_e32 v3, 0
	global_store_dwordx2 v[0:1], v[2:3], off
	s_mov_b64 s[0:1], 0
.LBB167_819:
	s_mov_b64 s[8:9], 0
.LBB167_820:
	s_and_b64 vcc, exec, s[8:9]
	s_cbranch_vccz .LBB167_854
; %bb.821:
	s_cmp_lt_i32 s14, 27
	s_mov_b64 s[8:9], -1
	s_cbranch_scc1 .LBB167_827
; %bb.822:
	s_cmp_gt_i32 s14, 27
	s_cbranch_scc0 .LBB167_824
; %bb.823:
	v_mov_b32_e32 v2, s2
	global_store_dword v[0:1], v2, off
	s_mov_b64 s[8:9], 0
.LBB167_824:
	s_andn2_b64 vcc, exec, s[8:9]
	s_cbranch_vccnz .LBB167_826
; %bb.825:
	v_mov_b32_e32 v2, s2
	global_store_short v[0:1], v2, off
.LBB167_826:
	s_mov_b64 s[8:9], 0
.LBB167_827:
	s_andn2_b64 vcc, exec, s[8:9]
	s_cbranch_vccnz .LBB167_854
; %bb.828:
	v_cvt_f32_u32_e32 v2, s2
	s_mov_b32 s9, 0x437fffff
	v_mov_b32_e32 v4, 0x80
	v_cmp_lt_u32_e32 vcc, s9, v2
	v_readfirstlane_b32 s8, v2
	s_cbranch_vccnz .LBB167_853
; %bb.829:
	s_cmp_gt_u32 s8, 0x3bffffff
	s_cbranch_scc0 .LBB167_848
; %bb.830:
	s_bfe_u32 s9, s8, 0x10014
	s_add_i32 s8, s8, s9
	s_add_i32 s8, s8, 0x487ffff
	s_lshr_b32 s12, s8, 20
	s_mov_b64 s[10:11], 0
	s_mov_b64 s[8:9], -1
	s_branch .LBB167_849
.LBB167_831:
	s_mov_b64 s[6:7], 0
	s_mov_b64 s[0:1], -1
	s_branch .LBB167_944
.LBB167_832:
	s_trap 2
	s_or_b64 s[4:5], s[4:5], exec
	s_cbranch_execz .LBB167_732
	s_branch .LBB167_733
.LBB167_833:
	s_mov_b64 s[12:13], -1
	s_mov_b64 s[10:11], 0
                                        ; implicit-def: $sgpr15
.LBB167_834:
	s_andn2_b64 vcc, exec, s[12:13]
	v_mov_b32_e32 v4, s15
	s_cbranch_vccnz .LBB167_836
; %bb.835:
	v_add_f32_e32 v3, 0x46000000, v3
	v_and_b32_e32 v4, 0xff, v3
	v_cmp_ne_u32_e64 s[10:11], 0, v4
.LBB167_836:
	s_andn2_b64 vcc, exec, s[10:11]
	v_mov_b32_e32 v5, 0
	s_cbranch_vccnz .LBB167_838
; %bb.837:
	v_mov_b32_e32 v5, v4
.LBB167_838:
	global_store_byte v[1:2], v5, off
.LBB167_839:
	s_mov_b64 s[10:11], -1
.LBB167_840:
	s_mov_b64 s[12:13], 0
.LBB167_841:
	s_and_b64 vcc, exec, s[12:13]
	s_cbranch_vccz .LBB167_901
; %bb.842:
	s_cmp_gt_i32 s14, 22
	s_mov_b64 s[8:9], -1
	s_cbranch_scc0 .LBB167_894
; %bb.843:
	s_cmp_lt_i32 s14, 24
	s_cbranch_scc1 .LBB167_881
; %bb.844:
	s_cmp_gt_i32 s14, 24
	s_cbranch_scc0 .LBB167_868
; %bb.845:
	v_cvt_f32_u32_e32 v3, s2
	s_mov_b32 s9, 0x477fffff
	v_mov_b32_e32 v5, 0x80
	v_cmp_lt_u32_e32 vcc, s9, v3
	v_readfirstlane_b32 s8, v3
	s_cbranch_vccnz .LBB167_867
; %bb.846:
	s_cmp_gt_u32 s8, 0x37ffffff
	s_cbranch_scc0 .LBB167_862
; %bb.847:
	s_bfe_u32 s9, s8, 0x10015
	s_add_i32 s8, s8, s9
	s_add_i32 s8, s8, 0x88fffff
	s_lshr_b32 s12, s8, 21
	s_mov_b64 s[10:11], 0
	s_mov_b64 s[8:9], -1
	s_branch .LBB167_863
.LBB167_848:
	s_mov_b64 s[10:11], -1
	s_mov_b64 s[8:9], 0
                                        ; implicit-def: $sgpr12
.LBB167_849:
	s_andn2_b64 vcc, exec, s[10:11]
	v_mov_b32_e32 v3, s12
	s_cbranch_vccnz .LBB167_851
; %bb.850:
	v_add_f32_e32 v2, 0x46000000, v2
	v_and_b32_e32 v3, 0xff, v2
	v_cmp_ne_u32_e64 s[8:9], 0, v3
.LBB167_851:
	s_andn2_b64 vcc, exec, s[8:9]
	v_mov_b32_e32 v4, 0
	s_cbranch_vccnz .LBB167_853
; %bb.852:
	v_mov_b32_e32 v4, v3
.LBB167_853:
	global_store_byte v[0:1], v4, off
.LBB167_854:
	s_mov_b64 s[8:9], 0
.LBB167_855:
	s_and_b64 vcc, exec, s[8:9]
	s_cbranch_vccz .LBB167_1028
; %bb.856:
	s_cmp_gt_i32 s14, 22
	s_mov_b64 s[6:7], -1
	s_cbranch_scc0 .LBB167_1021
; %bb.857:
	s_cmp_lt_i32 s14, 24
	s_cbranch_scc1 .LBB167_1008
; %bb.858:
	s_cmp_gt_i32 s14, 24
	s_cbranch_scc0 .LBB167_995
; %bb.859:
	v_cvt_f32_u32_e32 v2, s2
	s_mov_b32 s7, 0x477fffff
	v_mov_b32_e32 v4, 0x80
	v_cmp_lt_u32_e32 vcc, s7, v2
	v_readfirstlane_b32 s6, v2
	s_cbranch_vccnz .LBB167_994
; %bb.860:
	s_cmp_gt_u32 s6, 0x37ffffff
	s_cbranch_scc0 .LBB167_989
; %bb.861:
	s_bfe_u32 s7, s6, 0x10015
	s_add_i32 s6, s6, s7
	s_add_i32 s6, s6, 0x88fffff
	s_lshr_b32 s10, s6, 21
	s_mov_b64 s[8:9], 0
	s_mov_b64 s[6:7], -1
	s_branch .LBB167_990
.LBB167_862:
	s_mov_b64 s[10:11], -1
	s_mov_b64 s[8:9], 0
                                        ; implicit-def: $sgpr12
.LBB167_863:
	s_andn2_b64 vcc, exec, s[10:11]
	v_mov_b32_e32 v4, s12
	s_cbranch_vccnz .LBB167_865
; %bb.864:
	v_add_f32_e32 v3, 0x42800000, v3
	v_and_b32_e32 v4, 0xff, v3
	v_cmp_ne_u32_e64 s[8:9], 0, v4
.LBB167_865:
	s_andn2_b64 vcc, exec, s[8:9]
	v_mov_b32_e32 v5, 0
	s_cbranch_vccnz .LBB167_867
; %bb.866:
	v_mov_b32_e32 v5, v4
.LBB167_867:
	s_mov_b64 s[8:9], 0
	global_store_byte v[1:2], v5, off
.LBB167_868:
	s_and_b64 vcc, exec, s[8:9]
	s_cbranch_vccz .LBB167_880
; %bb.869:
	v_cvt_f32_u32_e32 v3, s2
	s_mov_b32 s8, 0x43f00000
	v_cmp_gt_u32_e32 vcc, s8, v3
	v_readfirstlane_b32 s10, v3
	s_cbranch_vccz .LBB167_872
; %bb.870:
	s_cmp_gt_u32 s10, 0x3c7fffff
	s_cbranch_scc0 .LBB167_873
; %bb.871:
	s_bfe_u32 s8, s10, 0x10014
	s_add_i32 s8, s10, s8
	s_add_i32 s8, s8, 0x407ffff
	s_lshr_b32 s9, s8, 20
	s_and_b32 s8, s8, 0xff00000
	s_cmp_lg_u32 s8, 0x7f00000
	s_cselect_b32 s11, s9, 0x7e
	s_mov_b64 s[8:9], 0
	s_branch .LBB167_874
.LBB167_872:
	s_mov_b64 s[8:9], -1
                                        ; implicit-def: $vgpr4
	s_branch .LBB167_877
.LBB167_873:
	s_mov_b64 s[8:9], -1
                                        ; implicit-def: $sgpr11
.LBB167_874:
	s_andn2_b64 vcc, exec, s[8:9]
	v_mov_b32_e32 v4, s11
	s_cbranch_vccnz .LBB167_876
; %bb.875:
	v_add_f32_e32 v4, 0x46800000, v3
.LBB167_876:
	s_mov_b64 s[8:9], 0
.LBB167_877:
	s_andn2_b64 vcc, exec, s[8:9]
	s_cbranch_vccnz .LBB167_879
; %bb.878:
	s_cmp_gt_u32 s10, 0x7f800000
	s_movk_i32 s8, 0x7f
	s_cselect_b32 s8, s8, 0x7e
	v_mov_b32_e32 v4, s8
.LBB167_879:
	global_store_byte v[1:2], v4, off
.LBB167_880:
	s_mov_b64 s[8:9], 0
.LBB167_881:
	s_andn2_b64 vcc, exec, s[8:9]
	s_cbranch_vccnz .LBB167_893
; %bb.882:
	v_cvt_f32_u32_e32 v3, s2
	s_mov_b32 s8, 0x47800000
	v_cmp_gt_u32_e32 vcc, s8, v3
	v_readfirstlane_b32 s10, v3
	s_cbranch_vccz .LBB167_885
; %bb.883:
	s_cmp_gt_u32 s10, 0x387fffff
	s_cbranch_scc0 .LBB167_886
; %bb.884:
	s_bfe_u32 s8, s10, 0x10015
	s_add_i32 s8, s10, s8
	s_add_i32 s8, s8, 0x80fffff
	s_lshr_b32 s11, s8, 21
	s_mov_b64 s[8:9], 0
	s_branch .LBB167_887
.LBB167_885:
	s_mov_b64 s[8:9], -1
                                        ; implicit-def: $vgpr4
	s_branch .LBB167_890
.LBB167_886:
	s_mov_b64 s[8:9], -1
                                        ; implicit-def: $sgpr11
.LBB167_887:
	s_andn2_b64 vcc, exec, s[8:9]
	v_mov_b32_e32 v4, s11
	s_cbranch_vccnz .LBB167_889
; %bb.888:
	v_add_f32_e32 v4, 0x43000000, v3
.LBB167_889:
	s_mov_b64 s[8:9], 0
.LBB167_890:
	s_andn2_b64 vcc, exec, s[8:9]
	s_cbranch_vccnz .LBB167_892
; %bb.891:
	s_cmp_gt_u32 s10, 0x7f800000
	s_movk_i32 s8, 0x7f
	s_cselect_b32 s8, s8, 0x7c
	v_mov_b32_e32 v4, s8
.LBB167_892:
	global_store_byte v[1:2], v4, off
.LBB167_893:
	s_mov_b64 s[8:9], 0
	s_mov_b64 s[10:11], -1
.LBB167_894:
	s_andn2_b64 vcc, exec, s[8:9]
	s_mov_b64 s[8:9], 0
	s_cbranch_vccnz .LBB167_901
; %bb.895:
	s_cmp_gt_i32 s14, 14
	s_mov_b64 s[12:13], -1
	s_cbranch_scc0 .LBB167_899
; %bb.896:
	s_cmp_eq_u32 s14, 15
	s_mov_b64 s[6:7], -1
	s_cbranch_scc0 .LBB167_898
; %bb.897:
	v_cvt_f32_u32_e32 v3, s2
	s_mov_b64 s[6:7], 0
	s_mov_b64 s[10:11], -1
	v_bfe_u32 v4, v3, 16, 1
	v_add_u32_e32 v3, v3, v4
	v_add_u32_e32 v3, 0x7fff, v3
	global_store_short_d16_hi v[1:2], v3, off
.LBB167_898:
	s_mov_b64 s[12:13], 0
.LBB167_899:
	s_and_b64 vcc, exec, s[12:13]
	s_cbranch_vccz .LBB167_901
; %bb.900:
	s_cmp_lg_u32 s14, 11
	s_mov_b64 s[8:9], -1
	s_cselect_b64 s[6:7], -1, 0
.LBB167_901:
	s_and_b64 vcc, exec, s[6:7]
	s_cbranch_vccnz .LBB167_988
; %bb.902:
	s_andn2_b64 vcc, exec, s[8:9]
	s_cbranch_vccnz .LBB167_904
.LBB167_903:
	s_cmp_lg_u32 s2, 0
	s_cselect_b64 s[6:7], -1, 0
	v_cndmask_b32_e64 v3, 0, 1, s[6:7]
	s_mov_b64 s[10:11], -1
	global_store_byte v[1:2], v3, off
.LBB167_904:
	s_branch .LBB167_801
.LBB167_905:
	s_cmp_lt_i32 s14, 5
	s_mov_b64 s[6:7], -1
	s_cbranch_scc1 .LBB167_926
; %bb.906:
	s_cmp_lt_i32 s14, 8
	s_cbranch_scc1 .LBB167_916
; %bb.907:
	s_cmp_lt_i32 s14, 9
	s_cbranch_scc1 .LBB167_913
; %bb.908:
	s_cmp_gt_i32 s14, 9
	s_cbranch_scc0 .LBB167_910
; %bb.909:
	v_cvt_f64_u32_e32 v[3:4], s2
	v_mov_b32_e32 v5, 0
	v_mov_b32_e32 v6, v5
	s_mov_b64 s[6:7], 0
	global_store_dwordx4 v[1:2], v[3:6], off
.LBB167_910:
	s_andn2_b64 vcc, exec, s[6:7]
	s_cbranch_vccnz .LBB167_912
; %bb.911:
	v_cvt_f32_u32_e32 v3, s2
	v_mov_b32_e32 v4, 0
	global_store_dwordx2 v[1:2], v[3:4], off
.LBB167_912:
	s_mov_b64 s[6:7], 0
.LBB167_913:
	s_andn2_b64 vcc, exec, s[6:7]
	s_cbranch_vccnz .LBB167_915
; %bb.914:
	v_cvt_f32_u32_e32 v3, s2
	v_cvt_f16_f32_e32 v3, v3
	global_store_dword v[1:2], v3, off
.LBB167_915:
	s_mov_b64 s[6:7], 0
.LBB167_916:
	s_andn2_b64 vcc, exec, s[6:7]
	s_cbranch_vccnz .LBB167_925
; %bb.917:
	s_cmp_lt_i32 s14, 6
	s_mov_b64 s[6:7], -1
	s_cbranch_scc1 .LBB167_923
; %bb.918:
	s_cmp_gt_i32 s14, 6
	s_cbranch_scc0 .LBB167_920
; %bb.919:
	v_cvt_f64_u32_e32 v[3:4], s2
	s_mov_b64 s[6:7], 0
	global_store_dwordx2 v[1:2], v[3:4], off
.LBB167_920:
	s_andn2_b64 vcc, exec, s[6:7]
	s_cbranch_vccnz .LBB167_922
; %bb.921:
	v_cvt_f32_u32_e32 v3, s2
	global_store_dword v[1:2], v3, off
.LBB167_922:
	s_mov_b64 s[6:7], 0
.LBB167_923:
	s_andn2_b64 vcc, exec, s[6:7]
	s_cbranch_vccnz .LBB167_925
; %bb.924:
	v_cvt_f32_u32_e32 v3, s2
	v_cvt_f16_f32_e32 v3, v3
	global_store_short v[1:2], v3, off
.LBB167_925:
	s_mov_b64 s[6:7], 0
.LBB167_926:
	s_andn2_b64 vcc, exec, s[6:7]
	s_cbranch_vccnz .LBB167_942
; %bb.927:
	s_cmp_lt_i32 s14, 2
	s_mov_b64 s[6:7], -1
	s_cbranch_scc1 .LBB167_937
; %bb.928:
	s_cmp_lt_i32 s14, 3
	s_cbranch_scc1 .LBB167_934
; %bb.929:
	s_cmp_gt_i32 s14, 3
	s_cbranch_scc0 .LBB167_931
; %bb.930:
	v_mov_b32_e32 v3, s2
	v_mov_b32_e32 v4, 0
	global_store_dwordx2 v[1:2], v[3:4], off
	s_mov_b64 s[6:7], 0
.LBB167_931:
	s_andn2_b64 vcc, exec, s[6:7]
	s_cbranch_vccnz .LBB167_933
; %bb.932:
	v_mov_b32_e32 v3, s2
	global_store_dword v[1:2], v3, off
.LBB167_933:
	s_mov_b64 s[6:7], 0
.LBB167_934:
	s_andn2_b64 vcc, exec, s[6:7]
	s_cbranch_vccnz .LBB167_936
; %bb.935:
	v_mov_b32_e32 v3, s2
	global_store_short v[1:2], v3, off
.LBB167_936:
	s_mov_b64 s[6:7], 0
.LBB167_937:
	s_andn2_b64 vcc, exec, s[6:7]
	s_cbranch_vccnz .LBB167_942
; %bb.938:
	s_cmp_gt_i32 s14, 0
	s_mov_b64 s[6:7], -1
	s_cbranch_scc0 .LBB167_940
; %bb.939:
	v_mov_b32_e32 v3, s2
	global_store_byte v[1:2], v3, off
	s_mov_b64 s[6:7], 0
.LBB167_940:
	s_andn2_b64 vcc, exec, s[6:7]
	s_cbranch_vccnz .LBB167_942
; %bb.941:
	v_mov_b32_e32 v3, s2
	global_store_byte v[1:2], v3, off
.LBB167_942:
	s_branch .LBB167_802
.LBB167_943:
	s_mov_b64 s[0:1], 0
	s_mov_b64 s[6:7], 0
                                        ; implicit-def: $sgpr3
                                        ; implicit-def: $vgpr0_vgpr1
.LBB167_944:
	s_and_b64 s[18:19], s[6:7], exec
	s_andn2_b64 s[6:7], s[20:21], exec
	s_and_b64 s[4:5], s[4:5], exec
	s_and_b64 s[0:1], s[0:1], exec
	s_or_b64 s[20:21], s[6:7], s[4:5]
.LBB167_945:
	s_or_b64 exec, exec, s[22:23]
	s_and_saveexec_b64 s[4:5], s[20:21]
	s_cbranch_execz .LBB167_948
; %bb.946:
	; divergent unreachable
	s_or_b64 exec, exec, s[4:5]
	s_and_saveexec_b64 s[4:5], s[18:19]
	s_xor_b64 s[4:5], exec, s[4:5]
	s_cbranch_execnz .LBB167_949
.LBB167_947:
	s_or_b64 exec, exec, s[4:5]
	s_and_saveexec_b64 s[4:5], s[0:1]
	s_cbranch_execnz .LBB167_950
	s_branch .LBB167_987
.LBB167_948:
	s_or_b64 exec, exec, s[4:5]
	s_and_saveexec_b64 s[4:5], s[18:19]
	s_xor_b64 s[4:5], exec, s[4:5]
	s_cbranch_execz .LBB167_947
.LBB167_949:
	s_cmp_lg_u32 s2, 0
	s_cselect_b64 s[6:7], -1, 0
	v_cndmask_b32_e64 v2, 0, 1, s[6:7]
	global_store_byte v[0:1], v2, off
	s_or_b64 exec, exec, s[4:5]
	s_and_saveexec_b64 s[4:5], s[0:1]
	s_cbranch_execz .LBB167_987
.LBB167_950:
	s_sext_i32_i16 s4, s3
	s_cmp_lt_i32 s4, 5
	s_mov_b64 s[0:1], -1
	s_cbranch_scc1 .LBB167_971
; %bb.951:
	s_cmp_lt_i32 s4, 8
	s_cbranch_scc1 .LBB167_961
; %bb.952:
	s_cmp_lt_i32 s4, 9
	s_cbranch_scc1 .LBB167_958
; %bb.953:
	s_cmp_gt_i32 s4, 9
	s_cbranch_scc0 .LBB167_955
; %bb.954:
	v_cvt_f64_u32_e32 v[2:3], s2
	v_mov_b32_e32 v4, 0
	v_mov_b32_e32 v5, v4
	s_mov_b64 s[0:1], 0
	global_store_dwordx4 v[0:1], v[2:5], off
.LBB167_955:
	s_andn2_b64 vcc, exec, s[0:1]
	s_cbranch_vccnz .LBB167_957
; %bb.956:
	v_cvt_f32_u32_e32 v2, s2
	v_mov_b32_e32 v3, 0
	global_store_dwordx2 v[0:1], v[2:3], off
.LBB167_957:
	s_mov_b64 s[0:1], 0
.LBB167_958:
	s_andn2_b64 vcc, exec, s[0:1]
	s_cbranch_vccnz .LBB167_960
; %bb.959:
	v_cvt_f32_u32_e32 v2, s2
	v_cvt_f16_f32_e32 v2, v2
	global_store_dword v[0:1], v2, off
.LBB167_960:
	s_mov_b64 s[0:1], 0
.LBB167_961:
	s_andn2_b64 vcc, exec, s[0:1]
	s_cbranch_vccnz .LBB167_970
; %bb.962:
	s_sext_i32_i16 s4, s3
	s_cmp_lt_i32 s4, 6
	s_mov_b64 s[0:1], -1
	s_cbranch_scc1 .LBB167_968
; %bb.963:
	s_cmp_gt_i32 s4, 6
	s_cbranch_scc0 .LBB167_965
; %bb.964:
	v_cvt_f64_u32_e32 v[2:3], s2
	s_mov_b64 s[0:1], 0
	global_store_dwordx2 v[0:1], v[2:3], off
.LBB167_965:
	s_andn2_b64 vcc, exec, s[0:1]
	s_cbranch_vccnz .LBB167_967
; %bb.966:
	v_cvt_f32_u32_e32 v2, s2
	global_store_dword v[0:1], v2, off
.LBB167_967:
	s_mov_b64 s[0:1], 0
.LBB167_968:
	s_andn2_b64 vcc, exec, s[0:1]
	s_cbranch_vccnz .LBB167_970
; %bb.969:
	v_cvt_f32_u32_e32 v2, s2
	v_cvt_f16_f32_e32 v2, v2
	global_store_short v[0:1], v2, off
.LBB167_970:
	s_mov_b64 s[0:1], 0
.LBB167_971:
	s_andn2_b64 vcc, exec, s[0:1]
	s_cbranch_vccnz .LBB167_987
; %bb.972:
	s_sext_i32_i16 s4, s3
	s_cmp_lt_i32 s4, 2
	s_mov_b64 s[0:1], -1
	s_cbranch_scc1 .LBB167_982
; %bb.973:
	s_cmp_lt_i32 s4, 3
	s_cbranch_scc1 .LBB167_979
; %bb.974:
	s_cmp_gt_i32 s4, 3
	s_cbranch_scc0 .LBB167_976
; %bb.975:
	v_mov_b32_e32 v2, s2
	v_mov_b32_e32 v3, 0
	global_store_dwordx2 v[0:1], v[2:3], off
	s_mov_b64 s[0:1], 0
.LBB167_976:
	s_andn2_b64 vcc, exec, s[0:1]
	s_cbranch_vccnz .LBB167_978
; %bb.977:
	v_mov_b32_e32 v2, s2
	global_store_dword v[0:1], v2, off
.LBB167_978:
	s_mov_b64 s[0:1], 0
.LBB167_979:
	s_andn2_b64 vcc, exec, s[0:1]
	s_cbranch_vccnz .LBB167_981
; %bb.980:
	v_mov_b32_e32 v2, s2
	global_store_short v[0:1], v2, off
.LBB167_981:
	s_mov_b64 s[0:1], 0
.LBB167_982:
	s_andn2_b64 vcc, exec, s[0:1]
	s_cbranch_vccnz .LBB167_987
; %bb.983:
	s_sext_i32_i16 s0, s3
	s_cmp_gt_i32 s0, 0
	s_mov_b64 s[0:1], -1
	s_cbranch_scc0 .LBB167_985
; %bb.984:
	v_mov_b32_e32 v2, s2
	global_store_byte v[0:1], v2, off
	s_mov_b64 s[0:1], 0
.LBB167_985:
	s_andn2_b64 vcc, exec, s[0:1]
	s_cbranch_vccnz .LBB167_987
; %bb.986:
	v_mov_b32_e32 v2, s2
	global_store_byte v[0:1], v2, off
	s_endpgm
.LBB167_987:
	s_endpgm
.LBB167_988:
	s_trap 2
	s_or_b64 s[4:5], s[4:5], exec
	s_cbranch_execz .LBB167_903
	s_branch .LBB167_904
.LBB167_989:
	s_mov_b64 s[8:9], -1
	s_mov_b64 s[6:7], 0
                                        ; implicit-def: $sgpr10
.LBB167_990:
	s_andn2_b64 vcc, exec, s[8:9]
	v_mov_b32_e32 v3, s10
	s_cbranch_vccnz .LBB167_992
; %bb.991:
	v_add_f32_e32 v2, 0x42800000, v2
	v_and_b32_e32 v3, 0xff, v2
	v_cmp_ne_u32_e64 s[6:7], 0, v3
.LBB167_992:
	s_andn2_b64 vcc, exec, s[6:7]
	v_mov_b32_e32 v4, 0
	s_cbranch_vccnz .LBB167_994
; %bb.993:
	v_mov_b32_e32 v4, v3
.LBB167_994:
	s_mov_b64 s[6:7], 0
	global_store_byte v[0:1], v4, off
.LBB167_995:
	s_and_b64 vcc, exec, s[6:7]
	s_cbranch_vccz .LBB167_1007
; %bb.996:
	v_cvt_f32_u32_e32 v2, s2
	s_mov_b32 s6, 0x43f00000
	v_cmp_gt_u32_e32 vcc, s6, v2
	v_readfirstlane_b32 s8, v2
	s_cbranch_vccz .LBB167_999
; %bb.997:
	s_cmp_gt_u32 s8, 0x3c7fffff
	s_cbranch_scc0 .LBB167_1000
; %bb.998:
	s_bfe_u32 s6, s8, 0x10014
	s_add_i32 s6, s8, s6
	s_add_i32 s6, s6, 0x407ffff
	s_lshr_b32 s7, s6, 20
	s_and_b32 s6, s6, 0xff00000
	s_cmp_lg_u32 s6, 0x7f00000
	s_cselect_b32 s9, s7, 0x7e
	s_mov_b64 s[6:7], 0
	s_branch .LBB167_1001
.LBB167_999:
	s_mov_b64 s[6:7], -1
                                        ; implicit-def: $vgpr3
	s_branch .LBB167_1004
.LBB167_1000:
	s_mov_b64 s[6:7], -1
                                        ; implicit-def: $sgpr9
.LBB167_1001:
	s_andn2_b64 vcc, exec, s[6:7]
	v_mov_b32_e32 v3, s9
	s_cbranch_vccnz .LBB167_1003
; %bb.1002:
	v_add_f32_e32 v3, 0x46800000, v2
.LBB167_1003:
	s_mov_b64 s[6:7], 0
.LBB167_1004:
	s_andn2_b64 vcc, exec, s[6:7]
	s_cbranch_vccnz .LBB167_1006
; %bb.1005:
	s_cmp_gt_u32 s8, 0x7f800000
	s_movk_i32 s6, 0x7f
	s_cselect_b32 s6, s6, 0x7e
	v_mov_b32_e32 v3, s6
.LBB167_1006:
	global_store_byte v[0:1], v3, off
.LBB167_1007:
	s_mov_b64 s[6:7], 0
.LBB167_1008:
	s_andn2_b64 vcc, exec, s[6:7]
	s_cbranch_vccnz .LBB167_1020
; %bb.1009:
	v_cvt_f32_u32_e32 v2, s2
	s_mov_b32 s6, 0x47800000
	v_cmp_gt_u32_e32 vcc, s6, v2
	v_readfirstlane_b32 s8, v2
	s_cbranch_vccz .LBB167_1012
; %bb.1010:
	s_cmp_gt_u32 s8, 0x387fffff
	s_cbranch_scc0 .LBB167_1013
; %bb.1011:
	s_bfe_u32 s6, s8, 0x10015
	s_add_i32 s6, s8, s6
	s_add_i32 s6, s6, 0x80fffff
	s_lshr_b32 s9, s6, 21
	s_mov_b64 s[6:7], 0
	s_branch .LBB167_1014
.LBB167_1012:
	s_mov_b64 s[6:7], -1
                                        ; implicit-def: $vgpr3
	s_branch .LBB167_1017
.LBB167_1013:
	s_mov_b64 s[6:7], -1
                                        ; implicit-def: $sgpr9
.LBB167_1014:
	s_andn2_b64 vcc, exec, s[6:7]
	v_mov_b32_e32 v3, s9
	s_cbranch_vccnz .LBB167_1016
; %bb.1015:
	v_add_f32_e32 v3, 0x43000000, v2
.LBB167_1016:
	s_mov_b64 s[6:7], 0
.LBB167_1017:
	s_andn2_b64 vcc, exec, s[6:7]
	s_cbranch_vccnz .LBB167_1019
; %bb.1018:
	s_cmp_gt_u32 s8, 0x7f800000
	s_movk_i32 s6, 0x7f
	s_cselect_b32 s6, s6, 0x7c
	v_mov_b32_e32 v3, s6
.LBB167_1019:
	global_store_byte v[0:1], v3, off
.LBB167_1020:
	s_mov_b64 s[6:7], 0
.LBB167_1021:
	s_andn2_b64 vcc, exec, s[6:7]
	s_mov_b64 s[6:7], 0
	s_cbranch_vccnz .LBB167_1028
; %bb.1022:
	s_cmp_gt_i32 s14, 14
	s_mov_b64 s[8:9], -1
	s_cbranch_scc0 .LBB167_1026
; %bb.1023:
	s_cmp_eq_u32 s14, 15
	s_mov_b64 s[0:1], -1
	s_cbranch_scc0 .LBB167_1025
; %bb.1024:
	v_cvt_f32_u32_e32 v2, s2
	s_mov_b64 s[0:1], 0
	v_bfe_u32 v3, v2, 16, 1
	v_add_u32_e32 v2, v2, v3
	v_add_u32_e32 v2, 0x7fff, v2
	global_store_short_d16_hi v[0:1], v2, off
.LBB167_1025:
	s_mov_b64 s[8:9], 0
.LBB167_1026:
	s_and_b64 vcc, exec, s[8:9]
	s_cbranch_vccz .LBB167_1028
; %bb.1027:
	s_cmp_lg_u32 s14, 11
	s_mov_b64 s[6:7], -1
	s_cselect_b64 s[0:1], -1, 0
.LBB167_1028:
	s_and_b64 vcc, exec, s[0:1]
	s_cbranch_vccnz .LBB167_1030
.LBB167_1029:
	s_mov_b64 s[0:1], 0
	s_branch .LBB167_944
.LBB167_1030:
	s_mov_b64 s[6:7], 0
	s_or_b64 s[4:5], s[4:5], exec
	s_trap 2
	s_branch .LBB167_1029
	.section	.rodata,"a",@progbits
	.p2align	6, 0x0
	.amdhsa_kernel _ZN2at6native32elementwise_kernel_manual_unrollILi128ELi4EZNS0_15gpu_kernel_implINS0_11FillFunctorIjEEEEvRNS_18TensorIteratorBaseERKT_EUlibE0_EEviT1_
		.amdhsa_group_segment_fixed_size 0
		.amdhsa_private_segment_fixed_size 0
		.amdhsa_kernarg_size 288
		.amdhsa_user_sgpr_count 6
		.amdhsa_user_sgpr_private_segment_buffer 1
		.amdhsa_user_sgpr_dispatch_ptr 0
		.amdhsa_user_sgpr_queue_ptr 0
		.amdhsa_user_sgpr_kernarg_segment_ptr 1
		.amdhsa_user_sgpr_dispatch_id 0
		.amdhsa_user_sgpr_flat_scratch_init 0
		.amdhsa_user_sgpr_private_segment_size 0
		.amdhsa_uses_dynamic_stack 0
		.amdhsa_system_sgpr_private_segment_wavefront_offset 0
		.amdhsa_system_sgpr_workgroup_id_x 1
		.amdhsa_system_sgpr_workgroup_id_y 0
		.amdhsa_system_sgpr_workgroup_id_z 0
		.amdhsa_system_sgpr_workgroup_info 0
		.amdhsa_system_vgpr_workitem_id 0
		.amdhsa_next_free_vgpr 26
		.amdhsa_next_free_sgpr 88
		.amdhsa_reserve_vcc 1
		.amdhsa_reserve_flat_scratch 0
		.amdhsa_float_round_mode_32 0
		.amdhsa_float_round_mode_16_64 0
		.amdhsa_float_denorm_mode_32 3
		.amdhsa_float_denorm_mode_16_64 3
		.amdhsa_dx10_clamp 1
		.amdhsa_ieee_mode 1
		.amdhsa_fp16_overflow 0
		.amdhsa_exception_fp_ieee_invalid_op 0
		.amdhsa_exception_fp_denorm_src 0
		.amdhsa_exception_fp_ieee_div_zero 0
		.amdhsa_exception_fp_ieee_overflow 0
		.amdhsa_exception_fp_ieee_underflow 0
		.amdhsa_exception_fp_ieee_inexact 0
		.amdhsa_exception_int_div_zero 0
	.end_amdhsa_kernel
	.section	.text._ZN2at6native32elementwise_kernel_manual_unrollILi128ELi4EZNS0_15gpu_kernel_implINS0_11FillFunctorIjEEEEvRNS_18TensorIteratorBaseERKT_EUlibE0_EEviT1_,"axG",@progbits,_ZN2at6native32elementwise_kernel_manual_unrollILi128ELi4EZNS0_15gpu_kernel_implINS0_11FillFunctorIjEEEEvRNS_18TensorIteratorBaseERKT_EUlibE0_EEviT1_,comdat
.Lfunc_end167:
	.size	_ZN2at6native32elementwise_kernel_manual_unrollILi128ELi4EZNS0_15gpu_kernel_implINS0_11FillFunctorIjEEEEvRNS_18TensorIteratorBaseERKT_EUlibE0_EEviT1_, .Lfunc_end167-_ZN2at6native32elementwise_kernel_manual_unrollILi128ELi4EZNS0_15gpu_kernel_implINS0_11FillFunctorIjEEEEvRNS_18TensorIteratorBaseERKT_EUlibE0_EEviT1_
                                        ; -- End function
	.set _ZN2at6native32elementwise_kernel_manual_unrollILi128ELi4EZNS0_15gpu_kernel_implINS0_11FillFunctorIjEEEEvRNS_18TensorIteratorBaseERKT_EUlibE0_EEviT1_.num_vgpr, 26
	.set _ZN2at6native32elementwise_kernel_manual_unrollILi128ELi4EZNS0_15gpu_kernel_implINS0_11FillFunctorIjEEEEvRNS_18TensorIteratorBaseERKT_EUlibE0_EEviT1_.num_agpr, 0
	.set _ZN2at6native32elementwise_kernel_manual_unrollILi128ELi4EZNS0_15gpu_kernel_implINS0_11FillFunctorIjEEEEvRNS_18TensorIteratorBaseERKT_EUlibE0_EEviT1_.numbered_sgpr, 88
	.set _ZN2at6native32elementwise_kernel_manual_unrollILi128ELi4EZNS0_15gpu_kernel_implINS0_11FillFunctorIjEEEEvRNS_18TensorIteratorBaseERKT_EUlibE0_EEviT1_.num_named_barrier, 0
	.set _ZN2at6native32elementwise_kernel_manual_unrollILi128ELi4EZNS0_15gpu_kernel_implINS0_11FillFunctorIjEEEEvRNS_18TensorIteratorBaseERKT_EUlibE0_EEviT1_.private_seg_size, 0
	.set _ZN2at6native32elementwise_kernel_manual_unrollILi128ELi4EZNS0_15gpu_kernel_implINS0_11FillFunctorIjEEEEvRNS_18TensorIteratorBaseERKT_EUlibE0_EEviT1_.uses_vcc, 1
	.set _ZN2at6native32elementwise_kernel_manual_unrollILi128ELi4EZNS0_15gpu_kernel_implINS0_11FillFunctorIjEEEEvRNS_18TensorIteratorBaseERKT_EUlibE0_EEviT1_.uses_flat_scratch, 0
	.set _ZN2at6native32elementwise_kernel_manual_unrollILi128ELi4EZNS0_15gpu_kernel_implINS0_11FillFunctorIjEEEEvRNS_18TensorIteratorBaseERKT_EUlibE0_EEviT1_.has_dyn_sized_stack, 0
	.set _ZN2at6native32elementwise_kernel_manual_unrollILi128ELi4EZNS0_15gpu_kernel_implINS0_11FillFunctorIjEEEEvRNS_18TensorIteratorBaseERKT_EUlibE0_EEviT1_.has_recursion, 0
	.set _ZN2at6native32elementwise_kernel_manual_unrollILi128ELi4EZNS0_15gpu_kernel_implINS0_11FillFunctorIjEEEEvRNS_18TensorIteratorBaseERKT_EUlibE0_EEviT1_.has_indirect_call, 0
	.section	.AMDGPU.csdata,"",@progbits
; Kernel info:
; codeLenInByte = 16264
; TotalNumSgprs: 92
; NumVgprs: 26
; ScratchSize: 0
; MemoryBound: 0
; FloatMode: 240
; IeeeMode: 1
; LDSByteSize: 0 bytes/workgroup (compile time only)
; SGPRBlocks: 11
; VGPRBlocks: 6
; NumSGPRsForWavesPerEU: 92
; NumVGPRsForWavesPerEU: 26
; Occupancy: 8
; WaveLimiterHint : 1
; COMPUTE_PGM_RSRC2:SCRATCH_EN: 0
; COMPUTE_PGM_RSRC2:USER_SGPR: 6
; COMPUTE_PGM_RSRC2:TRAP_HANDLER: 0
; COMPUTE_PGM_RSRC2:TGID_X_EN: 1
; COMPUTE_PGM_RSRC2:TGID_Y_EN: 0
; COMPUTE_PGM_RSRC2:TGID_Z_EN: 0
; COMPUTE_PGM_RSRC2:TIDIG_COMP_CNT: 0
	.section	.text._ZN2at6native29vectorized_elementwise_kernelILi16ENS0_11FillFunctorImEESt5arrayIPcLm1EEEEviT0_T1_,"axG",@progbits,_ZN2at6native29vectorized_elementwise_kernelILi16ENS0_11FillFunctorImEESt5arrayIPcLm1EEEEviT0_T1_,comdat
	.protected	_ZN2at6native29vectorized_elementwise_kernelILi16ENS0_11FillFunctorImEESt5arrayIPcLm1EEEEviT0_T1_ ; -- Begin function _ZN2at6native29vectorized_elementwise_kernelILi16ENS0_11FillFunctorImEESt5arrayIPcLm1EEEEviT0_T1_
	.globl	_ZN2at6native29vectorized_elementwise_kernelILi16ENS0_11FillFunctorImEESt5arrayIPcLm1EEEEviT0_T1_
	.p2align	8
	.type	_ZN2at6native29vectorized_elementwise_kernelILi16ENS0_11FillFunctorImEESt5arrayIPcLm1EEEEviT0_T1_,@function
_ZN2at6native29vectorized_elementwise_kernelILi16ENS0_11FillFunctorImEESt5arrayIPcLm1EEEEviT0_T1_: ; @_ZN2at6native29vectorized_elementwise_kernelILi16ENS0_11FillFunctorImEESt5arrayIPcLm1EEEEviT0_T1_
; %bb.0:
	s_load_dword s7, s[4:5], 0x0
	s_load_dwordx4 s[0:3], s[4:5], 0x8
	s_lshl_b32 s4, s6, 10
	s_waitcnt lgkmcnt(0)
	s_sub_i32 s8, s7, s4
	s_cmpk_gt_i32 s8, 0x3ff
	s_mov_b64 s[6:7], -1
	s_cbranch_scc0 .LBB168_2
; %bb.1:
	s_ashr_i32 s5, s4, 31
	s_lshl_b64 s[6:7], s[4:5], 3
	s_mov_b32 s12, s0
	s_add_u32 s6, s2, s6
	s_mov_b32 s13, s1
	s_mov_b32 s14, s0
	;; [unrolled: 1-line block ×3, first 2 shown]
	v_mov_b32_e32 v1, s12
	s_addc_u32 s7, s3, s7
	v_lshlrev_b32_e32 v5, 5, v0
	v_mov_b32_e32 v2, s13
	v_mov_b32_e32 v3, s14
	;; [unrolled: 1-line block ×3, first 2 shown]
	global_store_dwordx4 v5, v[1:4], s[6:7]
	global_store_dwordx4 v5, v[1:4], s[6:7] offset:16
	s_mov_b64 s[6:7], 0
.LBB168_2:
	s_andn2_b64 vcc, exec, s[6:7]
	s_cbranch_vccnz .LBB168_8
; %bb.3:
	v_or_b32_e32 v9, 0x100, v0
	v_mov_b32_e32 v1, s1
	v_mov_b32_e32 v10, s0
	v_cmp_gt_i32_e64 s[0:1], s8, v9
	v_or_b32_e32 v2, 0x200, v0
	v_cndmask_b32_e64 v6, 0, v1, s[0:1]
	v_cndmask_b32_e64 v5, 0, v10, s[0:1]
	v_cmp_gt_i32_e64 s[0:1], s8, v2
	v_or_b32_e32 v2, 0x300, v0
	v_cmp_gt_i32_e32 vcc, s8, v0
	v_cndmask_b32_e64 v4, 0, v1, s[0:1]
	v_cndmask_b32_e64 v3, 0, v10, s[0:1]
	v_cmp_gt_i32_e64 s[0:1], s8, v2
	v_cndmask_b32_e32 v8, 0, v1, vcc
	v_cndmask_b32_e32 v7, 0, v10, vcc
	v_cndmask_b32_e64 v2, 0, v1, s[0:1]
	v_cndmask_b32_e64 v1, 0, v10, s[0:1]
	s_and_saveexec_b64 s[0:1], vcc
	s_cbranch_execnz .LBB168_9
; %bb.4:
	s_or_b64 exec, exec, s[0:1]
	v_cmp_gt_i32_e32 vcc, s8, v0
	s_and_saveexec_b64 s[0:1], vcc
	s_cbranch_execnz .LBB168_10
.LBB168_5:
	s_or_b64 exec, exec, s[0:1]
	v_cmp_gt_i32_e32 vcc, s8, v0
	s_and_saveexec_b64 s[0:1], vcc
	s_cbranch_execnz .LBB168_11
.LBB168_6:
	s_or_b64 exec, exec, s[0:1]
	v_cmp_gt_i32_e32 vcc, s8, v0
	s_and_saveexec_b64 s[0:1], vcc
	s_cbranch_execz .LBB168_8
.LBB168_7:
	v_add_u32_e32 v3, s4, v0
	v_mov_b32_e32 v4, 0
	v_lshlrev_b64 v[3:4], 3, v[3:4]
	v_mov_b32_e32 v0, s3
	v_add_co_u32_e32 v3, vcc, s2, v3
	v_addc_co_u32_e32 v4, vcc, v0, v4, vcc
	global_store_dwordx2 v[3:4], v[1:2], off
.LBB168_8:
	s_endpgm
.LBB168_9:
	v_or_b32_e32 v10, s4, v0
	v_mov_b32_e32 v11, 0
	v_lshlrev_b64 v[10:11], 3, v[10:11]
	v_mov_b32_e32 v0, s3
	v_add_co_u32_e32 v10, vcc, s2, v10
	v_addc_co_u32_e32 v11, vcc, v0, v11, vcc
	v_mov_b32_e32 v0, v9
	global_store_dwordx2 v[10:11], v[7:8], off
	s_or_b64 exec, exec, s[0:1]
	v_cmp_gt_i32_e32 vcc, s8, v0
	s_and_saveexec_b64 s[0:1], vcc
	s_cbranch_execz .LBB168_5
.LBB168_10:
	v_add_u32_e32 v7, s4, v0
	v_mov_b32_e32 v8, 0
	v_lshlrev_b64 v[7:8], 3, v[7:8]
	v_mov_b32_e32 v9, s3
	v_add_co_u32_e32 v7, vcc, s2, v7
	v_addc_co_u32_e32 v8, vcc, v9, v8, vcc
	v_add_u32_e32 v0, 0x100, v0
	global_store_dwordx2 v[7:8], v[5:6], off
	s_or_b64 exec, exec, s[0:1]
	v_cmp_gt_i32_e32 vcc, s8, v0
	s_and_saveexec_b64 s[0:1], vcc
	s_cbranch_execz .LBB168_6
.LBB168_11:
	v_add_u32_e32 v5, s4, v0
	v_mov_b32_e32 v6, 0
	v_lshlrev_b64 v[5:6], 3, v[5:6]
	v_mov_b32_e32 v7, s3
	v_add_co_u32_e32 v5, vcc, s2, v5
	v_addc_co_u32_e32 v6, vcc, v7, v6, vcc
	v_add_u32_e32 v0, 0x100, v0
	global_store_dwordx2 v[5:6], v[3:4], off
	s_or_b64 exec, exec, s[0:1]
	v_cmp_gt_i32_e32 vcc, s8, v0
	s_and_saveexec_b64 s[0:1], vcc
	s_cbranch_execnz .LBB168_7
	s_branch .LBB168_8
	.section	.rodata,"a",@progbits
	.p2align	6, 0x0
	.amdhsa_kernel _ZN2at6native29vectorized_elementwise_kernelILi16ENS0_11FillFunctorImEESt5arrayIPcLm1EEEEviT0_T1_
		.amdhsa_group_segment_fixed_size 0
		.amdhsa_private_segment_fixed_size 0
		.amdhsa_kernarg_size 24
		.amdhsa_user_sgpr_count 6
		.amdhsa_user_sgpr_private_segment_buffer 1
		.amdhsa_user_sgpr_dispatch_ptr 0
		.amdhsa_user_sgpr_queue_ptr 0
		.amdhsa_user_sgpr_kernarg_segment_ptr 1
		.amdhsa_user_sgpr_dispatch_id 0
		.amdhsa_user_sgpr_flat_scratch_init 0
		.amdhsa_user_sgpr_private_segment_size 0
		.amdhsa_uses_dynamic_stack 0
		.amdhsa_system_sgpr_private_segment_wavefront_offset 0
		.amdhsa_system_sgpr_workgroup_id_x 1
		.amdhsa_system_sgpr_workgroup_id_y 0
		.amdhsa_system_sgpr_workgroup_id_z 0
		.amdhsa_system_sgpr_workgroup_info 0
		.amdhsa_system_vgpr_workitem_id 0
		.amdhsa_next_free_vgpr 12
		.amdhsa_next_free_sgpr 16
		.amdhsa_reserve_vcc 1
		.amdhsa_reserve_flat_scratch 0
		.amdhsa_float_round_mode_32 0
		.amdhsa_float_round_mode_16_64 0
		.amdhsa_float_denorm_mode_32 3
		.amdhsa_float_denorm_mode_16_64 3
		.amdhsa_dx10_clamp 1
		.amdhsa_ieee_mode 1
		.amdhsa_fp16_overflow 0
		.amdhsa_exception_fp_ieee_invalid_op 0
		.amdhsa_exception_fp_denorm_src 0
		.amdhsa_exception_fp_ieee_div_zero 0
		.amdhsa_exception_fp_ieee_overflow 0
		.amdhsa_exception_fp_ieee_underflow 0
		.amdhsa_exception_fp_ieee_inexact 0
		.amdhsa_exception_int_div_zero 0
	.end_amdhsa_kernel
	.section	.text._ZN2at6native29vectorized_elementwise_kernelILi16ENS0_11FillFunctorImEESt5arrayIPcLm1EEEEviT0_T1_,"axG",@progbits,_ZN2at6native29vectorized_elementwise_kernelILi16ENS0_11FillFunctorImEESt5arrayIPcLm1EEEEviT0_T1_,comdat
.Lfunc_end168:
	.size	_ZN2at6native29vectorized_elementwise_kernelILi16ENS0_11FillFunctorImEESt5arrayIPcLm1EEEEviT0_T1_, .Lfunc_end168-_ZN2at6native29vectorized_elementwise_kernelILi16ENS0_11FillFunctorImEESt5arrayIPcLm1EEEEviT0_T1_
                                        ; -- End function
	.set _ZN2at6native29vectorized_elementwise_kernelILi16ENS0_11FillFunctorImEESt5arrayIPcLm1EEEEviT0_T1_.num_vgpr, 12
	.set _ZN2at6native29vectorized_elementwise_kernelILi16ENS0_11FillFunctorImEESt5arrayIPcLm1EEEEviT0_T1_.num_agpr, 0
	.set _ZN2at6native29vectorized_elementwise_kernelILi16ENS0_11FillFunctorImEESt5arrayIPcLm1EEEEviT0_T1_.numbered_sgpr, 16
	.set _ZN2at6native29vectorized_elementwise_kernelILi16ENS0_11FillFunctorImEESt5arrayIPcLm1EEEEviT0_T1_.num_named_barrier, 0
	.set _ZN2at6native29vectorized_elementwise_kernelILi16ENS0_11FillFunctorImEESt5arrayIPcLm1EEEEviT0_T1_.private_seg_size, 0
	.set _ZN2at6native29vectorized_elementwise_kernelILi16ENS0_11FillFunctorImEESt5arrayIPcLm1EEEEviT0_T1_.uses_vcc, 1
	.set _ZN2at6native29vectorized_elementwise_kernelILi16ENS0_11FillFunctorImEESt5arrayIPcLm1EEEEviT0_T1_.uses_flat_scratch, 0
	.set _ZN2at6native29vectorized_elementwise_kernelILi16ENS0_11FillFunctorImEESt5arrayIPcLm1EEEEviT0_T1_.has_dyn_sized_stack, 0
	.set _ZN2at6native29vectorized_elementwise_kernelILi16ENS0_11FillFunctorImEESt5arrayIPcLm1EEEEviT0_T1_.has_recursion, 0
	.set _ZN2at6native29vectorized_elementwise_kernelILi16ENS0_11FillFunctorImEESt5arrayIPcLm1EEEEviT0_T1_.has_indirect_call, 0
	.section	.AMDGPU.csdata,"",@progbits
; Kernel info:
; codeLenInByte = 512
; TotalNumSgprs: 20
; NumVgprs: 12
; ScratchSize: 0
; MemoryBound: 0
; FloatMode: 240
; IeeeMode: 1
; LDSByteSize: 0 bytes/workgroup (compile time only)
; SGPRBlocks: 2
; VGPRBlocks: 2
; NumSGPRsForWavesPerEU: 20
; NumVGPRsForWavesPerEU: 12
; Occupancy: 10
; WaveLimiterHint : 0
; COMPUTE_PGM_RSRC2:SCRATCH_EN: 0
; COMPUTE_PGM_RSRC2:USER_SGPR: 6
; COMPUTE_PGM_RSRC2:TRAP_HANDLER: 0
; COMPUTE_PGM_RSRC2:TGID_X_EN: 1
; COMPUTE_PGM_RSRC2:TGID_Y_EN: 0
; COMPUTE_PGM_RSRC2:TGID_Z_EN: 0
; COMPUTE_PGM_RSRC2:TIDIG_COMP_CNT: 0
	.section	.text._ZN2at6native29vectorized_elementwise_kernelILi8ENS0_11FillFunctorImEESt5arrayIPcLm1EEEEviT0_T1_,"axG",@progbits,_ZN2at6native29vectorized_elementwise_kernelILi8ENS0_11FillFunctorImEESt5arrayIPcLm1EEEEviT0_T1_,comdat
	.protected	_ZN2at6native29vectorized_elementwise_kernelILi8ENS0_11FillFunctorImEESt5arrayIPcLm1EEEEviT0_T1_ ; -- Begin function _ZN2at6native29vectorized_elementwise_kernelILi8ENS0_11FillFunctorImEESt5arrayIPcLm1EEEEviT0_T1_
	.globl	_ZN2at6native29vectorized_elementwise_kernelILi8ENS0_11FillFunctorImEESt5arrayIPcLm1EEEEviT0_T1_
	.p2align	8
	.type	_ZN2at6native29vectorized_elementwise_kernelILi8ENS0_11FillFunctorImEESt5arrayIPcLm1EEEEviT0_T1_,@function
_ZN2at6native29vectorized_elementwise_kernelILi8ENS0_11FillFunctorImEESt5arrayIPcLm1EEEEviT0_T1_: ; @_ZN2at6native29vectorized_elementwise_kernelILi8ENS0_11FillFunctorImEESt5arrayIPcLm1EEEEviT0_T1_
; %bb.0:
	s_load_dword s7, s[4:5], 0x0
	s_load_dwordx4 s[0:3], s[4:5], 0x8
	s_lshl_b32 s4, s6, 10
	s_waitcnt lgkmcnt(0)
	s_sub_i32 s8, s7, s4
	s_cmpk_gt_i32 s8, 0x3ff
	s_mov_b64 s[6:7], -1
	s_cbranch_scc0 .LBB169_2
; %bb.1:
	s_ashr_i32 s5, s4, 31
	s_lshl_b64 s[6:7], s[4:5], 3
	s_mov_b32 s12, s0
	s_add_u32 s6, s2, s6
	s_mov_b32 s13, s1
	s_mov_b32 s14, s0
	;; [unrolled: 1-line block ×3, first 2 shown]
	v_mov_b32_e32 v1, s12
	s_addc_u32 s7, s3, s7
	v_lshlrev_b32_e32 v5, 5, v0
	v_mov_b32_e32 v2, s13
	v_mov_b32_e32 v3, s14
	;; [unrolled: 1-line block ×3, first 2 shown]
	global_store_dwordx4 v5, v[1:4], s[6:7]
	global_store_dwordx4 v5, v[1:4], s[6:7] offset:16
	s_mov_b64 s[6:7], 0
.LBB169_2:
	s_andn2_b64 vcc, exec, s[6:7]
	s_cbranch_vccnz .LBB169_8
; %bb.3:
	v_or_b32_e32 v9, 0x100, v0
	v_mov_b32_e32 v1, s1
	v_mov_b32_e32 v10, s0
	v_cmp_gt_i32_e64 s[0:1], s8, v9
	v_or_b32_e32 v2, 0x200, v0
	v_cndmask_b32_e64 v6, 0, v1, s[0:1]
	v_cndmask_b32_e64 v5, 0, v10, s[0:1]
	v_cmp_gt_i32_e64 s[0:1], s8, v2
	v_or_b32_e32 v2, 0x300, v0
	v_cmp_gt_i32_e32 vcc, s8, v0
	v_cndmask_b32_e64 v4, 0, v1, s[0:1]
	v_cndmask_b32_e64 v3, 0, v10, s[0:1]
	v_cmp_gt_i32_e64 s[0:1], s8, v2
	v_cndmask_b32_e32 v8, 0, v1, vcc
	v_cndmask_b32_e32 v7, 0, v10, vcc
	v_cndmask_b32_e64 v2, 0, v1, s[0:1]
	v_cndmask_b32_e64 v1, 0, v10, s[0:1]
	s_and_saveexec_b64 s[0:1], vcc
	s_cbranch_execnz .LBB169_9
; %bb.4:
	s_or_b64 exec, exec, s[0:1]
	v_cmp_gt_i32_e32 vcc, s8, v0
	s_and_saveexec_b64 s[0:1], vcc
	s_cbranch_execnz .LBB169_10
.LBB169_5:
	s_or_b64 exec, exec, s[0:1]
	v_cmp_gt_i32_e32 vcc, s8, v0
	s_and_saveexec_b64 s[0:1], vcc
	s_cbranch_execnz .LBB169_11
.LBB169_6:
	s_or_b64 exec, exec, s[0:1]
	v_cmp_gt_i32_e32 vcc, s8, v0
	s_and_saveexec_b64 s[0:1], vcc
	s_cbranch_execz .LBB169_8
.LBB169_7:
	v_add_u32_e32 v3, s4, v0
	v_mov_b32_e32 v4, 0
	v_lshlrev_b64 v[3:4], 3, v[3:4]
	v_mov_b32_e32 v0, s3
	v_add_co_u32_e32 v3, vcc, s2, v3
	v_addc_co_u32_e32 v4, vcc, v0, v4, vcc
	global_store_dwordx2 v[3:4], v[1:2], off
.LBB169_8:
	s_endpgm
.LBB169_9:
	v_or_b32_e32 v10, s4, v0
	v_mov_b32_e32 v11, 0
	v_lshlrev_b64 v[10:11], 3, v[10:11]
	v_mov_b32_e32 v0, s3
	v_add_co_u32_e32 v10, vcc, s2, v10
	v_addc_co_u32_e32 v11, vcc, v0, v11, vcc
	v_mov_b32_e32 v0, v9
	global_store_dwordx2 v[10:11], v[7:8], off
	s_or_b64 exec, exec, s[0:1]
	v_cmp_gt_i32_e32 vcc, s8, v0
	s_and_saveexec_b64 s[0:1], vcc
	s_cbranch_execz .LBB169_5
.LBB169_10:
	v_add_u32_e32 v7, s4, v0
	v_mov_b32_e32 v8, 0
	v_lshlrev_b64 v[7:8], 3, v[7:8]
	v_mov_b32_e32 v9, s3
	v_add_co_u32_e32 v7, vcc, s2, v7
	v_addc_co_u32_e32 v8, vcc, v9, v8, vcc
	v_add_u32_e32 v0, 0x100, v0
	global_store_dwordx2 v[7:8], v[5:6], off
	s_or_b64 exec, exec, s[0:1]
	v_cmp_gt_i32_e32 vcc, s8, v0
	s_and_saveexec_b64 s[0:1], vcc
	s_cbranch_execz .LBB169_6
.LBB169_11:
	v_add_u32_e32 v5, s4, v0
	v_mov_b32_e32 v6, 0
	v_lshlrev_b64 v[5:6], 3, v[5:6]
	v_mov_b32_e32 v7, s3
	v_add_co_u32_e32 v5, vcc, s2, v5
	v_addc_co_u32_e32 v6, vcc, v7, v6, vcc
	v_add_u32_e32 v0, 0x100, v0
	global_store_dwordx2 v[5:6], v[3:4], off
	s_or_b64 exec, exec, s[0:1]
	v_cmp_gt_i32_e32 vcc, s8, v0
	s_and_saveexec_b64 s[0:1], vcc
	s_cbranch_execnz .LBB169_7
	s_branch .LBB169_8
	.section	.rodata,"a",@progbits
	.p2align	6, 0x0
	.amdhsa_kernel _ZN2at6native29vectorized_elementwise_kernelILi8ENS0_11FillFunctorImEESt5arrayIPcLm1EEEEviT0_T1_
		.amdhsa_group_segment_fixed_size 0
		.amdhsa_private_segment_fixed_size 0
		.amdhsa_kernarg_size 24
		.amdhsa_user_sgpr_count 6
		.amdhsa_user_sgpr_private_segment_buffer 1
		.amdhsa_user_sgpr_dispatch_ptr 0
		.amdhsa_user_sgpr_queue_ptr 0
		.amdhsa_user_sgpr_kernarg_segment_ptr 1
		.amdhsa_user_sgpr_dispatch_id 0
		.amdhsa_user_sgpr_flat_scratch_init 0
		.amdhsa_user_sgpr_private_segment_size 0
		.amdhsa_uses_dynamic_stack 0
		.amdhsa_system_sgpr_private_segment_wavefront_offset 0
		.amdhsa_system_sgpr_workgroup_id_x 1
		.amdhsa_system_sgpr_workgroup_id_y 0
		.amdhsa_system_sgpr_workgroup_id_z 0
		.amdhsa_system_sgpr_workgroup_info 0
		.amdhsa_system_vgpr_workitem_id 0
		.amdhsa_next_free_vgpr 12
		.amdhsa_next_free_sgpr 16
		.amdhsa_reserve_vcc 1
		.amdhsa_reserve_flat_scratch 0
		.amdhsa_float_round_mode_32 0
		.amdhsa_float_round_mode_16_64 0
		.amdhsa_float_denorm_mode_32 3
		.amdhsa_float_denorm_mode_16_64 3
		.amdhsa_dx10_clamp 1
		.amdhsa_ieee_mode 1
		.amdhsa_fp16_overflow 0
		.amdhsa_exception_fp_ieee_invalid_op 0
		.amdhsa_exception_fp_denorm_src 0
		.amdhsa_exception_fp_ieee_div_zero 0
		.amdhsa_exception_fp_ieee_overflow 0
		.amdhsa_exception_fp_ieee_underflow 0
		.amdhsa_exception_fp_ieee_inexact 0
		.amdhsa_exception_int_div_zero 0
	.end_amdhsa_kernel
	.section	.text._ZN2at6native29vectorized_elementwise_kernelILi8ENS0_11FillFunctorImEESt5arrayIPcLm1EEEEviT0_T1_,"axG",@progbits,_ZN2at6native29vectorized_elementwise_kernelILi8ENS0_11FillFunctorImEESt5arrayIPcLm1EEEEviT0_T1_,comdat
.Lfunc_end169:
	.size	_ZN2at6native29vectorized_elementwise_kernelILi8ENS0_11FillFunctorImEESt5arrayIPcLm1EEEEviT0_T1_, .Lfunc_end169-_ZN2at6native29vectorized_elementwise_kernelILi8ENS0_11FillFunctorImEESt5arrayIPcLm1EEEEviT0_T1_
                                        ; -- End function
	.set _ZN2at6native29vectorized_elementwise_kernelILi8ENS0_11FillFunctorImEESt5arrayIPcLm1EEEEviT0_T1_.num_vgpr, 12
	.set _ZN2at6native29vectorized_elementwise_kernelILi8ENS0_11FillFunctorImEESt5arrayIPcLm1EEEEviT0_T1_.num_agpr, 0
	.set _ZN2at6native29vectorized_elementwise_kernelILi8ENS0_11FillFunctorImEESt5arrayIPcLm1EEEEviT0_T1_.numbered_sgpr, 16
	.set _ZN2at6native29vectorized_elementwise_kernelILi8ENS0_11FillFunctorImEESt5arrayIPcLm1EEEEviT0_T1_.num_named_barrier, 0
	.set _ZN2at6native29vectorized_elementwise_kernelILi8ENS0_11FillFunctorImEESt5arrayIPcLm1EEEEviT0_T1_.private_seg_size, 0
	.set _ZN2at6native29vectorized_elementwise_kernelILi8ENS0_11FillFunctorImEESt5arrayIPcLm1EEEEviT0_T1_.uses_vcc, 1
	.set _ZN2at6native29vectorized_elementwise_kernelILi8ENS0_11FillFunctorImEESt5arrayIPcLm1EEEEviT0_T1_.uses_flat_scratch, 0
	.set _ZN2at6native29vectorized_elementwise_kernelILi8ENS0_11FillFunctorImEESt5arrayIPcLm1EEEEviT0_T1_.has_dyn_sized_stack, 0
	.set _ZN2at6native29vectorized_elementwise_kernelILi8ENS0_11FillFunctorImEESt5arrayIPcLm1EEEEviT0_T1_.has_recursion, 0
	.set _ZN2at6native29vectorized_elementwise_kernelILi8ENS0_11FillFunctorImEESt5arrayIPcLm1EEEEviT0_T1_.has_indirect_call, 0
	.section	.AMDGPU.csdata,"",@progbits
; Kernel info:
; codeLenInByte = 512
; TotalNumSgprs: 20
; NumVgprs: 12
; ScratchSize: 0
; MemoryBound: 0
; FloatMode: 240
; IeeeMode: 1
; LDSByteSize: 0 bytes/workgroup (compile time only)
; SGPRBlocks: 2
; VGPRBlocks: 2
; NumSGPRsForWavesPerEU: 20
; NumVGPRsForWavesPerEU: 12
; Occupancy: 10
; WaveLimiterHint : 0
; COMPUTE_PGM_RSRC2:SCRATCH_EN: 0
; COMPUTE_PGM_RSRC2:USER_SGPR: 6
; COMPUTE_PGM_RSRC2:TRAP_HANDLER: 0
; COMPUTE_PGM_RSRC2:TGID_X_EN: 1
; COMPUTE_PGM_RSRC2:TGID_Y_EN: 0
; COMPUTE_PGM_RSRC2:TGID_Z_EN: 0
; COMPUTE_PGM_RSRC2:TIDIG_COMP_CNT: 0
	.section	.text._ZN2at6native29vectorized_elementwise_kernelILi4ENS0_11FillFunctorImEESt5arrayIPcLm1EEEEviT0_T1_,"axG",@progbits,_ZN2at6native29vectorized_elementwise_kernelILi4ENS0_11FillFunctorImEESt5arrayIPcLm1EEEEviT0_T1_,comdat
	.protected	_ZN2at6native29vectorized_elementwise_kernelILi4ENS0_11FillFunctorImEESt5arrayIPcLm1EEEEviT0_T1_ ; -- Begin function _ZN2at6native29vectorized_elementwise_kernelILi4ENS0_11FillFunctorImEESt5arrayIPcLm1EEEEviT0_T1_
	.globl	_ZN2at6native29vectorized_elementwise_kernelILi4ENS0_11FillFunctorImEESt5arrayIPcLm1EEEEviT0_T1_
	.p2align	8
	.type	_ZN2at6native29vectorized_elementwise_kernelILi4ENS0_11FillFunctorImEESt5arrayIPcLm1EEEEviT0_T1_,@function
_ZN2at6native29vectorized_elementwise_kernelILi4ENS0_11FillFunctorImEESt5arrayIPcLm1EEEEviT0_T1_: ; @_ZN2at6native29vectorized_elementwise_kernelILi4ENS0_11FillFunctorImEESt5arrayIPcLm1EEEEviT0_T1_
; %bb.0:
	s_load_dword s7, s[4:5], 0x0
	s_load_dwordx4 s[0:3], s[4:5], 0x8
	s_lshl_b32 s4, s6, 10
	s_waitcnt lgkmcnt(0)
	s_sub_i32 s8, s7, s4
	s_cmpk_gt_i32 s8, 0x3ff
	s_mov_b64 s[6:7], -1
	s_cbranch_scc0 .LBB170_2
; %bb.1:
	s_ashr_i32 s5, s4, 31
	s_lshl_b64 s[6:7], s[4:5], 3
	s_mov_b32 s12, s0
	s_add_u32 s6, s2, s6
	s_mov_b32 s13, s1
	s_mov_b32 s14, s0
	;; [unrolled: 1-line block ×3, first 2 shown]
	v_mov_b32_e32 v1, s12
	s_addc_u32 s7, s3, s7
	v_lshlrev_b32_e32 v5, 5, v0
	v_mov_b32_e32 v2, s13
	v_mov_b32_e32 v3, s14
	;; [unrolled: 1-line block ×3, first 2 shown]
	global_store_dwordx4 v5, v[1:4], s[6:7]
	global_store_dwordx4 v5, v[1:4], s[6:7] offset:16
	s_mov_b64 s[6:7], 0
.LBB170_2:
	s_andn2_b64 vcc, exec, s[6:7]
	s_cbranch_vccnz .LBB170_8
; %bb.3:
	v_or_b32_e32 v9, 0x100, v0
	v_mov_b32_e32 v1, s1
	v_mov_b32_e32 v10, s0
	v_cmp_gt_i32_e64 s[0:1], s8, v9
	v_or_b32_e32 v2, 0x200, v0
	v_cndmask_b32_e64 v6, 0, v1, s[0:1]
	v_cndmask_b32_e64 v5, 0, v10, s[0:1]
	v_cmp_gt_i32_e64 s[0:1], s8, v2
	v_or_b32_e32 v2, 0x300, v0
	v_cmp_gt_i32_e32 vcc, s8, v0
	v_cndmask_b32_e64 v4, 0, v1, s[0:1]
	v_cndmask_b32_e64 v3, 0, v10, s[0:1]
	v_cmp_gt_i32_e64 s[0:1], s8, v2
	v_cndmask_b32_e32 v8, 0, v1, vcc
	v_cndmask_b32_e32 v7, 0, v10, vcc
	v_cndmask_b32_e64 v2, 0, v1, s[0:1]
	v_cndmask_b32_e64 v1, 0, v10, s[0:1]
	s_and_saveexec_b64 s[0:1], vcc
	s_cbranch_execnz .LBB170_9
; %bb.4:
	s_or_b64 exec, exec, s[0:1]
	v_cmp_gt_i32_e32 vcc, s8, v0
	s_and_saveexec_b64 s[0:1], vcc
	s_cbranch_execnz .LBB170_10
.LBB170_5:
	s_or_b64 exec, exec, s[0:1]
	v_cmp_gt_i32_e32 vcc, s8, v0
	s_and_saveexec_b64 s[0:1], vcc
	s_cbranch_execnz .LBB170_11
.LBB170_6:
	s_or_b64 exec, exec, s[0:1]
	v_cmp_gt_i32_e32 vcc, s8, v0
	s_and_saveexec_b64 s[0:1], vcc
	s_cbranch_execz .LBB170_8
.LBB170_7:
	v_add_u32_e32 v3, s4, v0
	v_mov_b32_e32 v4, 0
	v_lshlrev_b64 v[3:4], 3, v[3:4]
	v_mov_b32_e32 v0, s3
	v_add_co_u32_e32 v3, vcc, s2, v3
	v_addc_co_u32_e32 v4, vcc, v0, v4, vcc
	global_store_dwordx2 v[3:4], v[1:2], off
.LBB170_8:
	s_endpgm
.LBB170_9:
	v_or_b32_e32 v10, s4, v0
	v_mov_b32_e32 v11, 0
	v_lshlrev_b64 v[10:11], 3, v[10:11]
	v_mov_b32_e32 v0, s3
	v_add_co_u32_e32 v10, vcc, s2, v10
	v_addc_co_u32_e32 v11, vcc, v0, v11, vcc
	v_mov_b32_e32 v0, v9
	global_store_dwordx2 v[10:11], v[7:8], off
	s_or_b64 exec, exec, s[0:1]
	v_cmp_gt_i32_e32 vcc, s8, v0
	s_and_saveexec_b64 s[0:1], vcc
	s_cbranch_execz .LBB170_5
.LBB170_10:
	v_add_u32_e32 v7, s4, v0
	v_mov_b32_e32 v8, 0
	v_lshlrev_b64 v[7:8], 3, v[7:8]
	v_mov_b32_e32 v9, s3
	v_add_co_u32_e32 v7, vcc, s2, v7
	v_addc_co_u32_e32 v8, vcc, v9, v8, vcc
	v_add_u32_e32 v0, 0x100, v0
	global_store_dwordx2 v[7:8], v[5:6], off
	s_or_b64 exec, exec, s[0:1]
	v_cmp_gt_i32_e32 vcc, s8, v0
	s_and_saveexec_b64 s[0:1], vcc
	s_cbranch_execz .LBB170_6
.LBB170_11:
	v_add_u32_e32 v5, s4, v0
	v_mov_b32_e32 v6, 0
	v_lshlrev_b64 v[5:6], 3, v[5:6]
	v_mov_b32_e32 v7, s3
	v_add_co_u32_e32 v5, vcc, s2, v5
	v_addc_co_u32_e32 v6, vcc, v7, v6, vcc
	v_add_u32_e32 v0, 0x100, v0
	global_store_dwordx2 v[5:6], v[3:4], off
	s_or_b64 exec, exec, s[0:1]
	v_cmp_gt_i32_e32 vcc, s8, v0
	s_and_saveexec_b64 s[0:1], vcc
	s_cbranch_execnz .LBB170_7
	s_branch .LBB170_8
	.section	.rodata,"a",@progbits
	.p2align	6, 0x0
	.amdhsa_kernel _ZN2at6native29vectorized_elementwise_kernelILi4ENS0_11FillFunctorImEESt5arrayIPcLm1EEEEviT0_T1_
		.amdhsa_group_segment_fixed_size 0
		.amdhsa_private_segment_fixed_size 0
		.amdhsa_kernarg_size 24
		.amdhsa_user_sgpr_count 6
		.amdhsa_user_sgpr_private_segment_buffer 1
		.amdhsa_user_sgpr_dispatch_ptr 0
		.amdhsa_user_sgpr_queue_ptr 0
		.amdhsa_user_sgpr_kernarg_segment_ptr 1
		.amdhsa_user_sgpr_dispatch_id 0
		.amdhsa_user_sgpr_flat_scratch_init 0
		.amdhsa_user_sgpr_private_segment_size 0
		.amdhsa_uses_dynamic_stack 0
		.amdhsa_system_sgpr_private_segment_wavefront_offset 0
		.amdhsa_system_sgpr_workgroup_id_x 1
		.amdhsa_system_sgpr_workgroup_id_y 0
		.amdhsa_system_sgpr_workgroup_id_z 0
		.amdhsa_system_sgpr_workgroup_info 0
		.amdhsa_system_vgpr_workitem_id 0
		.amdhsa_next_free_vgpr 12
		.amdhsa_next_free_sgpr 16
		.amdhsa_reserve_vcc 1
		.amdhsa_reserve_flat_scratch 0
		.amdhsa_float_round_mode_32 0
		.amdhsa_float_round_mode_16_64 0
		.amdhsa_float_denorm_mode_32 3
		.amdhsa_float_denorm_mode_16_64 3
		.amdhsa_dx10_clamp 1
		.amdhsa_ieee_mode 1
		.amdhsa_fp16_overflow 0
		.amdhsa_exception_fp_ieee_invalid_op 0
		.amdhsa_exception_fp_denorm_src 0
		.amdhsa_exception_fp_ieee_div_zero 0
		.amdhsa_exception_fp_ieee_overflow 0
		.amdhsa_exception_fp_ieee_underflow 0
		.amdhsa_exception_fp_ieee_inexact 0
		.amdhsa_exception_int_div_zero 0
	.end_amdhsa_kernel
	.section	.text._ZN2at6native29vectorized_elementwise_kernelILi4ENS0_11FillFunctorImEESt5arrayIPcLm1EEEEviT0_T1_,"axG",@progbits,_ZN2at6native29vectorized_elementwise_kernelILi4ENS0_11FillFunctorImEESt5arrayIPcLm1EEEEviT0_T1_,comdat
.Lfunc_end170:
	.size	_ZN2at6native29vectorized_elementwise_kernelILi4ENS0_11FillFunctorImEESt5arrayIPcLm1EEEEviT0_T1_, .Lfunc_end170-_ZN2at6native29vectorized_elementwise_kernelILi4ENS0_11FillFunctorImEESt5arrayIPcLm1EEEEviT0_T1_
                                        ; -- End function
	.set _ZN2at6native29vectorized_elementwise_kernelILi4ENS0_11FillFunctorImEESt5arrayIPcLm1EEEEviT0_T1_.num_vgpr, 12
	.set _ZN2at6native29vectorized_elementwise_kernelILi4ENS0_11FillFunctorImEESt5arrayIPcLm1EEEEviT0_T1_.num_agpr, 0
	.set _ZN2at6native29vectorized_elementwise_kernelILi4ENS0_11FillFunctorImEESt5arrayIPcLm1EEEEviT0_T1_.numbered_sgpr, 16
	.set _ZN2at6native29vectorized_elementwise_kernelILi4ENS0_11FillFunctorImEESt5arrayIPcLm1EEEEviT0_T1_.num_named_barrier, 0
	.set _ZN2at6native29vectorized_elementwise_kernelILi4ENS0_11FillFunctorImEESt5arrayIPcLm1EEEEviT0_T1_.private_seg_size, 0
	.set _ZN2at6native29vectorized_elementwise_kernelILi4ENS0_11FillFunctorImEESt5arrayIPcLm1EEEEviT0_T1_.uses_vcc, 1
	.set _ZN2at6native29vectorized_elementwise_kernelILi4ENS0_11FillFunctorImEESt5arrayIPcLm1EEEEviT0_T1_.uses_flat_scratch, 0
	.set _ZN2at6native29vectorized_elementwise_kernelILi4ENS0_11FillFunctorImEESt5arrayIPcLm1EEEEviT0_T1_.has_dyn_sized_stack, 0
	.set _ZN2at6native29vectorized_elementwise_kernelILi4ENS0_11FillFunctorImEESt5arrayIPcLm1EEEEviT0_T1_.has_recursion, 0
	.set _ZN2at6native29vectorized_elementwise_kernelILi4ENS0_11FillFunctorImEESt5arrayIPcLm1EEEEviT0_T1_.has_indirect_call, 0
	.section	.AMDGPU.csdata,"",@progbits
; Kernel info:
; codeLenInByte = 512
; TotalNumSgprs: 20
; NumVgprs: 12
; ScratchSize: 0
; MemoryBound: 0
; FloatMode: 240
; IeeeMode: 1
; LDSByteSize: 0 bytes/workgroup (compile time only)
; SGPRBlocks: 2
; VGPRBlocks: 2
; NumSGPRsForWavesPerEU: 20
; NumVGPRsForWavesPerEU: 12
; Occupancy: 10
; WaveLimiterHint : 0
; COMPUTE_PGM_RSRC2:SCRATCH_EN: 0
; COMPUTE_PGM_RSRC2:USER_SGPR: 6
; COMPUTE_PGM_RSRC2:TRAP_HANDLER: 0
; COMPUTE_PGM_RSRC2:TGID_X_EN: 1
; COMPUTE_PGM_RSRC2:TGID_Y_EN: 0
; COMPUTE_PGM_RSRC2:TGID_Z_EN: 0
; COMPUTE_PGM_RSRC2:TIDIG_COMP_CNT: 0
	.section	.text._ZN2at6native29vectorized_elementwise_kernelILi2ENS0_11FillFunctorImEESt5arrayIPcLm1EEEEviT0_T1_,"axG",@progbits,_ZN2at6native29vectorized_elementwise_kernelILi2ENS0_11FillFunctorImEESt5arrayIPcLm1EEEEviT0_T1_,comdat
	.protected	_ZN2at6native29vectorized_elementwise_kernelILi2ENS0_11FillFunctorImEESt5arrayIPcLm1EEEEviT0_T1_ ; -- Begin function _ZN2at6native29vectorized_elementwise_kernelILi2ENS0_11FillFunctorImEESt5arrayIPcLm1EEEEviT0_T1_
	.globl	_ZN2at6native29vectorized_elementwise_kernelILi2ENS0_11FillFunctorImEESt5arrayIPcLm1EEEEviT0_T1_
	.p2align	8
	.type	_ZN2at6native29vectorized_elementwise_kernelILi2ENS0_11FillFunctorImEESt5arrayIPcLm1EEEEviT0_T1_,@function
_ZN2at6native29vectorized_elementwise_kernelILi2ENS0_11FillFunctorImEESt5arrayIPcLm1EEEEviT0_T1_: ; @_ZN2at6native29vectorized_elementwise_kernelILi2ENS0_11FillFunctorImEESt5arrayIPcLm1EEEEviT0_T1_
; %bb.0:
	s_load_dword s7, s[4:5], 0x0
	s_load_dwordx4 s[0:3], s[4:5], 0x8
	s_lshl_b32 s4, s6, 10
	s_waitcnt lgkmcnt(0)
	s_sub_i32 s8, s7, s4
	s_cmpk_gt_i32 s8, 0x3ff
	s_mov_b64 s[6:7], -1
	s_cbranch_scc0 .LBB171_2
; %bb.1:
	s_ashr_i32 s5, s4, 31
	s_lshl_b64 s[6:7], s[4:5], 3
	s_add_u32 s6, s2, s6
	s_addc_u32 s7, s3, s7
	v_lshlrev_b32_e32 v5, 4, v0
	v_mov_b32_e32 v1, s7
	v_add_co_u32_e32 v6, vcc, s6, v5
	s_mov_b32 s12, s0
	v_addc_co_u32_e32 v7, vcc, 0, v1, vcc
	s_mov_b32 s13, s1
	s_mov_b32 s14, s0
	;; [unrolled: 1-line block ×3, first 2 shown]
	v_mov_b32_e32 v1, s12
	v_mov_b32_e32 v2, s13
	;; [unrolled: 1-line block ×4, first 2 shown]
	global_store_dwordx4 v5, v[1:4], s[6:7]
	v_add_co_u32_e32 v5, vcc, 0x1000, v6
	v_addc_co_u32_e32 v6, vcc, 0, v7, vcc
	global_store_dwordx4 v[5:6], v[1:4], off
	s_mov_b64 s[6:7], 0
.LBB171_2:
	s_andn2_b64 vcc, exec, s[6:7]
	s_cbranch_vccnz .LBB171_8
; %bb.3:
	v_or_b32_e32 v9, 0x100, v0
	v_mov_b32_e32 v1, s1
	v_mov_b32_e32 v10, s0
	v_cmp_gt_i32_e64 s[0:1], s8, v9
	v_or_b32_e32 v2, 0x200, v0
	v_cndmask_b32_e64 v6, 0, v1, s[0:1]
	v_cndmask_b32_e64 v5, 0, v10, s[0:1]
	v_cmp_gt_i32_e64 s[0:1], s8, v2
	v_or_b32_e32 v2, 0x300, v0
	v_cmp_gt_i32_e32 vcc, s8, v0
	v_cndmask_b32_e64 v4, 0, v1, s[0:1]
	v_cndmask_b32_e64 v3, 0, v10, s[0:1]
	v_cmp_gt_i32_e64 s[0:1], s8, v2
	v_cndmask_b32_e32 v8, 0, v1, vcc
	v_cndmask_b32_e32 v7, 0, v10, vcc
	v_cndmask_b32_e64 v2, 0, v1, s[0:1]
	v_cndmask_b32_e64 v1, 0, v10, s[0:1]
	s_and_saveexec_b64 s[0:1], vcc
	s_cbranch_execnz .LBB171_9
; %bb.4:
	s_or_b64 exec, exec, s[0:1]
	v_cmp_gt_i32_e32 vcc, s8, v0
	s_and_saveexec_b64 s[0:1], vcc
	s_cbranch_execnz .LBB171_10
.LBB171_5:
	s_or_b64 exec, exec, s[0:1]
	v_cmp_gt_i32_e32 vcc, s8, v0
	s_and_saveexec_b64 s[0:1], vcc
	s_cbranch_execnz .LBB171_11
.LBB171_6:
	s_or_b64 exec, exec, s[0:1]
	v_cmp_gt_i32_e32 vcc, s8, v0
	s_and_saveexec_b64 s[0:1], vcc
	s_cbranch_execz .LBB171_8
.LBB171_7:
	v_add_u32_e32 v3, s4, v0
	v_mov_b32_e32 v4, 0
	v_lshlrev_b64 v[3:4], 3, v[3:4]
	v_mov_b32_e32 v0, s3
	v_add_co_u32_e32 v3, vcc, s2, v3
	v_addc_co_u32_e32 v4, vcc, v0, v4, vcc
	global_store_dwordx2 v[3:4], v[1:2], off
.LBB171_8:
	s_endpgm
.LBB171_9:
	v_or_b32_e32 v10, s4, v0
	v_mov_b32_e32 v11, 0
	v_lshlrev_b64 v[10:11], 3, v[10:11]
	v_mov_b32_e32 v0, s3
	v_add_co_u32_e32 v10, vcc, s2, v10
	v_addc_co_u32_e32 v11, vcc, v0, v11, vcc
	v_mov_b32_e32 v0, v9
	global_store_dwordx2 v[10:11], v[7:8], off
	s_or_b64 exec, exec, s[0:1]
	v_cmp_gt_i32_e32 vcc, s8, v0
	s_and_saveexec_b64 s[0:1], vcc
	s_cbranch_execz .LBB171_5
.LBB171_10:
	v_add_u32_e32 v7, s4, v0
	v_mov_b32_e32 v8, 0
	v_lshlrev_b64 v[7:8], 3, v[7:8]
	v_mov_b32_e32 v9, s3
	v_add_co_u32_e32 v7, vcc, s2, v7
	v_addc_co_u32_e32 v8, vcc, v9, v8, vcc
	v_add_u32_e32 v0, 0x100, v0
	global_store_dwordx2 v[7:8], v[5:6], off
	s_or_b64 exec, exec, s[0:1]
	v_cmp_gt_i32_e32 vcc, s8, v0
	s_and_saveexec_b64 s[0:1], vcc
	s_cbranch_execz .LBB171_6
.LBB171_11:
	v_add_u32_e32 v5, s4, v0
	v_mov_b32_e32 v6, 0
	v_lshlrev_b64 v[5:6], 3, v[5:6]
	v_mov_b32_e32 v7, s3
	v_add_co_u32_e32 v5, vcc, s2, v5
	v_addc_co_u32_e32 v6, vcc, v7, v6, vcc
	v_add_u32_e32 v0, 0x100, v0
	global_store_dwordx2 v[5:6], v[3:4], off
	s_or_b64 exec, exec, s[0:1]
	v_cmp_gt_i32_e32 vcc, s8, v0
	s_and_saveexec_b64 s[0:1], vcc
	s_cbranch_execnz .LBB171_7
	s_branch .LBB171_8
	.section	.rodata,"a",@progbits
	.p2align	6, 0x0
	.amdhsa_kernel _ZN2at6native29vectorized_elementwise_kernelILi2ENS0_11FillFunctorImEESt5arrayIPcLm1EEEEviT0_T1_
		.amdhsa_group_segment_fixed_size 0
		.amdhsa_private_segment_fixed_size 0
		.amdhsa_kernarg_size 24
		.amdhsa_user_sgpr_count 6
		.amdhsa_user_sgpr_private_segment_buffer 1
		.amdhsa_user_sgpr_dispatch_ptr 0
		.amdhsa_user_sgpr_queue_ptr 0
		.amdhsa_user_sgpr_kernarg_segment_ptr 1
		.amdhsa_user_sgpr_dispatch_id 0
		.amdhsa_user_sgpr_flat_scratch_init 0
		.amdhsa_user_sgpr_private_segment_size 0
		.amdhsa_uses_dynamic_stack 0
		.amdhsa_system_sgpr_private_segment_wavefront_offset 0
		.amdhsa_system_sgpr_workgroup_id_x 1
		.amdhsa_system_sgpr_workgroup_id_y 0
		.amdhsa_system_sgpr_workgroup_id_z 0
		.amdhsa_system_sgpr_workgroup_info 0
		.amdhsa_system_vgpr_workitem_id 0
		.amdhsa_next_free_vgpr 12
		.amdhsa_next_free_sgpr 16
		.amdhsa_reserve_vcc 1
		.amdhsa_reserve_flat_scratch 0
		.amdhsa_float_round_mode_32 0
		.amdhsa_float_round_mode_16_64 0
		.amdhsa_float_denorm_mode_32 3
		.amdhsa_float_denorm_mode_16_64 3
		.amdhsa_dx10_clamp 1
		.amdhsa_ieee_mode 1
		.amdhsa_fp16_overflow 0
		.amdhsa_exception_fp_ieee_invalid_op 0
		.amdhsa_exception_fp_denorm_src 0
		.amdhsa_exception_fp_ieee_div_zero 0
		.amdhsa_exception_fp_ieee_overflow 0
		.amdhsa_exception_fp_ieee_underflow 0
		.amdhsa_exception_fp_ieee_inexact 0
		.amdhsa_exception_int_div_zero 0
	.end_amdhsa_kernel
	.section	.text._ZN2at6native29vectorized_elementwise_kernelILi2ENS0_11FillFunctorImEESt5arrayIPcLm1EEEEviT0_T1_,"axG",@progbits,_ZN2at6native29vectorized_elementwise_kernelILi2ENS0_11FillFunctorImEESt5arrayIPcLm1EEEEviT0_T1_,comdat
.Lfunc_end171:
	.size	_ZN2at6native29vectorized_elementwise_kernelILi2ENS0_11FillFunctorImEESt5arrayIPcLm1EEEEviT0_T1_, .Lfunc_end171-_ZN2at6native29vectorized_elementwise_kernelILi2ENS0_11FillFunctorImEESt5arrayIPcLm1EEEEviT0_T1_
                                        ; -- End function
	.set _ZN2at6native29vectorized_elementwise_kernelILi2ENS0_11FillFunctorImEESt5arrayIPcLm1EEEEviT0_T1_.num_vgpr, 12
	.set _ZN2at6native29vectorized_elementwise_kernelILi2ENS0_11FillFunctorImEESt5arrayIPcLm1EEEEviT0_T1_.num_agpr, 0
	.set _ZN2at6native29vectorized_elementwise_kernelILi2ENS0_11FillFunctorImEESt5arrayIPcLm1EEEEviT0_T1_.numbered_sgpr, 16
	.set _ZN2at6native29vectorized_elementwise_kernelILi2ENS0_11FillFunctorImEESt5arrayIPcLm1EEEEviT0_T1_.num_named_barrier, 0
	.set _ZN2at6native29vectorized_elementwise_kernelILi2ENS0_11FillFunctorImEESt5arrayIPcLm1EEEEviT0_T1_.private_seg_size, 0
	.set _ZN2at6native29vectorized_elementwise_kernelILi2ENS0_11FillFunctorImEESt5arrayIPcLm1EEEEviT0_T1_.uses_vcc, 1
	.set _ZN2at6native29vectorized_elementwise_kernelILi2ENS0_11FillFunctorImEESt5arrayIPcLm1EEEEviT0_T1_.uses_flat_scratch, 0
	.set _ZN2at6native29vectorized_elementwise_kernelILi2ENS0_11FillFunctorImEESt5arrayIPcLm1EEEEviT0_T1_.has_dyn_sized_stack, 0
	.set _ZN2at6native29vectorized_elementwise_kernelILi2ENS0_11FillFunctorImEESt5arrayIPcLm1EEEEviT0_T1_.has_recursion, 0
	.set _ZN2at6native29vectorized_elementwise_kernelILi2ENS0_11FillFunctorImEESt5arrayIPcLm1EEEEviT0_T1_.has_indirect_call, 0
	.section	.AMDGPU.csdata,"",@progbits
; Kernel info:
; codeLenInByte = 536
; TotalNumSgprs: 20
; NumVgprs: 12
; ScratchSize: 0
; MemoryBound: 0
; FloatMode: 240
; IeeeMode: 1
; LDSByteSize: 0 bytes/workgroup (compile time only)
; SGPRBlocks: 2
; VGPRBlocks: 2
; NumSGPRsForWavesPerEU: 20
; NumVGPRsForWavesPerEU: 12
; Occupancy: 10
; WaveLimiterHint : 1
; COMPUTE_PGM_RSRC2:SCRATCH_EN: 0
; COMPUTE_PGM_RSRC2:USER_SGPR: 6
; COMPUTE_PGM_RSRC2:TRAP_HANDLER: 0
; COMPUTE_PGM_RSRC2:TGID_X_EN: 1
; COMPUTE_PGM_RSRC2:TGID_Y_EN: 0
; COMPUTE_PGM_RSRC2:TGID_Z_EN: 0
; COMPUTE_PGM_RSRC2:TIDIG_COMP_CNT: 0
	.section	.text._ZN2at6native27unrolled_elementwise_kernelINS0_11FillFunctorImEESt5arrayIPcLm1EELi4E23TrivialOffsetCalculatorILi0EjES7_ILi1EjENS0_6memory15LoadWithoutCastENSA_16StoreWithoutCastEEEviT_T0_T2_T3_T4_T5_,"axG",@progbits,_ZN2at6native27unrolled_elementwise_kernelINS0_11FillFunctorImEESt5arrayIPcLm1EELi4E23TrivialOffsetCalculatorILi0EjES7_ILi1EjENS0_6memory15LoadWithoutCastENSA_16StoreWithoutCastEEEviT_T0_T2_T3_T4_T5_,comdat
	.protected	_ZN2at6native27unrolled_elementwise_kernelINS0_11FillFunctorImEESt5arrayIPcLm1EELi4E23TrivialOffsetCalculatorILi0EjES7_ILi1EjENS0_6memory15LoadWithoutCastENSA_16StoreWithoutCastEEEviT_T0_T2_T3_T4_T5_ ; -- Begin function _ZN2at6native27unrolled_elementwise_kernelINS0_11FillFunctorImEESt5arrayIPcLm1EELi4E23TrivialOffsetCalculatorILi0EjES7_ILi1EjENS0_6memory15LoadWithoutCastENSA_16StoreWithoutCastEEEviT_T0_T2_T3_T4_T5_
	.globl	_ZN2at6native27unrolled_elementwise_kernelINS0_11FillFunctorImEESt5arrayIPcLm1EELi4E23TrivialOffsetCalculatorILi0EjES7_ILi1EjENS0_6memory15LoadWithoutCastENSA_16StoreWithoutCastEEEviT_T0_T2_T3_T4_T5_
	.p2align	8
	.type	_ZN2at6native27unrolled_elementwise_kernelINS0_11FillFunctorImEESt5arrayIPcLm1EELi4E23TrivialOffsetCalculatorILi0EjES7_ILi1EjENS0_6memory15LoadWithoutCastENSA_16StoreWithoutCastEEEviT_T0_T2_T3_T4_T5_,@function
_ZN2at6native27unrolled_elementwise_kernelINS0_11FillFunctorImEESt5arrayIPcLm1EELi4E23TrivialOffsetCalculatorILi0EjES7_ILi1EjENS0_6memory15LoadWithoutCastENSA_16StoreWithoutCastEEEviT_T0_T2_T3_T4_T5_: ; @_ZN2at6native27unrolled_elementwise_kernelINS0_11FillFunctorImEESt5arrayIPcLm1EELi4E23TrivialOffsetCalculatorILi0EjES7_ILi1EjENS0_6memory15LoadWithoutCastENSA_16StoreWithoutCastEEEviT_T0_T2_T3_T4_T5_
; %bb.0:
	s_load_dword s7, s[4:5], 0x0
	s_load_dwordx4 s[0:3], s[4:5], 0x8
	s_lshl_b32 s4, s6, 10
	v_or_b32_e32 v9, 0x100, v0
	v_or_b32_e32 v2, 0x200, v0
	s_waitcnt lgkmcnt(0)
	s_sub_i32 s5, s7, s4
	v_mov_b32_e32 v1, s1
	v_mov_b32_e32 v10, s0
	v_cmp_gt_i32_e64 s[0:1], s5, v9
	v_cndmask_b32_e64 v6, 0, v1, s[0:1]
	v_cndmask_b32_e64 v5, 0, v10, s[0:1]
	v_cmp_gt_i32_e64 s[0:1], s5, v2
	v_or_b32_e32 v2, 0x300, v0
	v_cmp_gt_i32_e32 vcc, s5, v0
	v_cndmask_b32_e64 v4, 0, v1, s[0:1]
	v_cndmask_b32_e64 v3, 0, v10, s[0:1]
	v_cmp_gt_i32_e64 s[0:1], s5, v2
	v_cndmask_b32_e32 v8, 0, v1, vcc
	v_cndmask_b32_e32 v7, 0, v10, vcc
	v_cndmask_b32_e64 v2, 0, v1, s[0:1]
	v_cndmask_b32_e64 v1, 0, v10, s[0:1]
	s_and_saveexec_b64 s[0:1], vcc
	s_cbranch_execnz .LBB172_5
; %bb.1:
	s_or_b64 exec, exec, s[0:1]
	v_cmp_gt_i32_e32 vcc, s5, v0
	s_and_saveexec_b64 s[0:1], vcc
	s_cbranch_execnz .LBB172_6
.LBB172_2:
	s_or_b64 exec, exec, s[0:1]
	v_cmp_gt_i32_e32 vcc, s5, v0
	s_and_saveexec_b64 s[0:1], vcc
	s_cbranch_execnz .LBB172_7
.LBB172_3:
	s_or_b64 exec, exec, s[0:1]
	v_cmp_gt_i32_e32 vcc, s5, v0
	s_and_saveexec_b64 s[0:1], vcc
	s_cbranch_execnz .LBB172_8
.LBB172_4:
	s_endpgm
.LBB172_5:
	v_or_b32_e32 v10, s4, v0
	v_mov_b32_e32 v11, 0
	v_lshlrev_b64 v[10:11], 3, v[10:11]
	v_mov_b32_e32 v0, s3
	v_add_co_u32_e32 v10, vcc, s2, v10
	v_addc_co_u32_e32 v11, vcc, v0, v11, vcc
	v_mov_b32_e32 v0, v9
	global_store_dwordx2 v[10:11], v[7:8], off
	s_or_b64 exec, exec, s[0:1]
	v_cmp_gt_i32_e32 vcc, s5, v0
	s_and_saveexec_b64 s[0:1], vcc
	s_cbranch_execz .LBB172_2
.LBB172_6:
	v_add_u32_e32 v7, s4, v0
	v_mov_b32_e32 v8, 0
	v_lshlrev_b64 v[7:8], 3, v[7:8]
	v_add_u32_e32 v9, 0x100, v0
	v_mov_b32_e32 v0, s3
	v_add_co_u32_e32 v7, vcc, s2, v7
	v_addc_co_u32_e32 v8, vcc, v0, v8, vcc
	v_mov_b32_e32 v0, v9
	global_store_dwordx2 v[7:8], v[5:6], off
	s_or_b64 exec, exec, s[0:1]
	v_cmp_gt_i32_e32 vcc, s5, v0
	s_and_saveexec_b64 s[0:1], vcc
	s_cbranch_execz .LBB172_3
.LBB172_7:
	v_add_u32_e32 v5, s4, v0
	v_mov_b32_e32 v6, 0
	v_lshlrev_b64 v[5:6], 3, v[5:6]
	v_add_u32_e32 v7, 0x100, v0
	v_mov_b32_e32 v0, s3
	v_add_co_u32_e32 v5, vcc, s2, v5
	v_addc_co_u32_e32 v6, vcc, v0, v6, vcc
	v_mov_b32_e32 v0, v7
	global_store_dwordx2 v[5:6], v[3:4], off
	s_or_b64 exec, exec, s[0:1]
	v_cmp_gt_i32_e32 vcc, s5, v0
	s_and_saveexec_b64 s[0:1], vcc
	s_cbranch_execz .LBB172_4
.LBB172_8:
	v_add_u32_e32 v3, s4, v0
	v_mov_b32_e32 v4, 0
	v_lshlrev_b64 v[3:4], 3, v[3:4]
	v_mov_b32_e32 v0, s3
	v_add_co_u32_e32 v3, vcc, s2, v3
	v_addc_co_u32_e32 v4, vcc, v0, v4, vcc
	global_store_dwordx2 v[3:4], v[1:2], off
	s_endpgm
	.section	.rodata,"a",@progbits
	.p2align	6, 0x0
	.amdhsa_kernel _ZN2at6native27unrolled_elementwise_kernelINS0_11FillFunctorImEESt5arrayIPcLm1EELi4E23TrivialOffsetCalculatorILi0EjES7_ILi1EjENS0_6memory15LoadWithoutCastENSA_16StoreWithoutCastEEEviT_T0_T2_T3_T4_T5_
		.amdhsa_group_segment_fixed_size 0
		.amdhsa_private_segment_fixed_size 0
		.amdhsa_kernarg_size 28
		.amdhsa_user_sgpr_count 6
		.amdhsa_user_sgpr_private_segment_buffer 1
		.amdhsa_user_sgpr_dispatch_ptr 0
		.amdhsa_user_sgpr_queue_ptr 0
		.amdhsa_user_sgpr_kernarg_segment_ptr 1
		.amdhsa_user_sgpr_dispatch_id 0
		.amdhsa_user_sgpr_flat_scratch_init 0
		.amdhsa_user_sgpr_private_segment_size 0
		.amdhsa_uses_dynamic_stack 0
		.amdhsa_system_sgpr_private_segment_wavefront_offset 0
		.amdhsa_system_sgpr_workgroup_id_x 1
		.amdhsa_system_sgpr_workgroup_id_y 0
		.amdhsa_system_sgpr_workgroup_id_z 0
		.amdhsa_system_sgpr_workgroup_info 0
		.amdhsa_system_vgpr_workitem_id 0
		.amdhsa_next_free_vgpr 12
		.amdhsa_next_free_sgpr 8
		.amdhsa_reserve_vcc 1
		.amdhsa_reserve_flat_scratch 0
		.amdhsa_float_round_mode_32 0
		.amdhsa_float_round_mode_16_64 0
		.amdhsa_float_denorm_mode_32 3
		.amdhsa_float_denorm_mode_16_64 3
		.amdhsa_dx10_clamp 1
		.amdhsa_ieee_mode 1
		.amdhsa_fp16_overflow 0
		.amdhsa_exception_fp_ieee_invalid_op 0
		.amdhsa_exception_fp_denorm_src 0
		.amdhsa_exception_fp_ieee_div_zero 0
		.amdhsa_exception_fp_ieee_overflow 0
		.amdhsa_exception_fp_ieee_underflow 0
		.amdhsa_exception_fp_ieee_inexact 0
		.amdhsa_exception_int_div_zero 0
	.end_amdhsa_kernel
	.section	.text._ZN2at6native27unrolled_elementwise_kernelINS0_11FillFunctorImEESt5arrayIPcLm1EELi4E23TrivialOffsetCalculatorILi0EjES7_ILi1EjENS0_6memory15LoadWithoutCastENSA_16StoreWithoutCastEEEviT_T0_T2_T3_T4_T5_,"axG",@progbits,_ZN2at6native27unrolled_elementwise_kernelINS0_11FillFunctorImEESt5arrayIPcLm1EELi4E23TrivialOffsetCalculatorILi0EjES7_ILi1EjENS0_6memory15LoadWithoutCastENSA_16StoreWithoutCastEEEviT_T0_T2_T3_T4_T5_,comdat
.Lfunc_end172:
	.size	_ZN2at6native27unrolled_elementwise_kernelINS0_11FillFunctorImEESt5arrayIPcLm1EELi4E23TrivialOffsetCalculatorILi0EjES7_ILi1EjENS0_6memory15LoadWithoutCastENSA_16StoreWithoutCastEEEviT_T0_T2_T3_T4_T5_, .Lfunc_end172-_ZN2at6native27unrolled_elementwise_kernelINS0_11FillFunctorImEESt5arrayIPcLm1EELi4E23TrivialOffsetCalculatorILi0EjES7_ILi1EjENS0_6memory15LoadWithoutCastENSA_16StoreWithoutCastEEEviT_T0_T2_T3_T4_T5_
                                        ; -- End function
	.set _ZN2at6native27unrolled_elementwise_kernelINS0_11FillFunctorImEESt5arrayIPcLm1EELi4E23TrivialOffsetCalculatorILi0EjES7_ILi1EjENS0_6memory15LoadWithoutCastENSA_16StoreWithoutCastEEEviT_T0_T2_T3_T4_T5_.num_vgpr, 12
	.set _ZN2at6native27unrolled_elementwise_kernelINS0_11FillFunctorImEESt5arrayIPcLm1EELi4E23TrivialOffsetCalculatorILi0EjES7_ILi1EjENS0_6memory15LoadWithoutCastENSA_16StoreWithoutCastEEEviT_T0_T2_T3_T4_T5_.num_agpr, 0
	.set _ZN2at6native27unrolled_elementwise_kernelINS0_11FillFunctorImEESt5arrayIPcLm1EELi4E23TrivialOffsetCalculatorILi0EjES7_ILi1EjENS0_6memory15LoadWithoutCastENSA_16StoreWithoutCastEEEviT_T0_T2_T3_T4_T5_.numbered_sgpr, 8
	.set _ZN2at6native27unrolled_elementwise_kernelINS0_11FillFunctorImEESt5arrayIPcLm1EELi4E23TrivialOffsetCalculatorILi0EjES7_ILi1EjENS0_6memory15LoadWithoutCastENSA_16StoreWithoutCastEEEviT_T0_T2_T3_T4_T5_.num_named_barrier, 0
	.set _ZN2at6native27unrolled_elementwise_kernelINS0_11FillFunctorImEESt5arrayIPcLm1EELi4E23TrivialOffsetCalculatorILi0EjES7_ILi1EjENS0_6memory15LoadWithoutCastENSA_16StoreWithoutCastEEEviT_T0_T2_T3_T4_T5_.private_seg_size, 0
	.set _ZN2at6native27unrolled_elementwise_kernelINS0_11FillFunctorImEESt5arrayIPcLm1EELi4E23TrivialOffsetCalculatorILi0EjES7_ILi1EjENS0_6memory15LoadWithoutCastENSA_16StoreWithoutCastEEEviT_T0_T2_T3_T4_T5_.uses_vcc, 1
	.set _ZN2at6native27unrolled_elementwise_kernelINS0_11FillFunctorImEESt5arrayIPcLm1EELi4E23TrivialOffsetCalculatorILi0EjES7_ILi1EjENS0_6memory15LoadWithoutCastENSA_16StoreWithoutCastEEEviT_T0_T2_T3_T4_T5_.uses_flat_scratch, 0
	.set _ZN2at6native27unrolled_elementwise_kernelINS0_11FillFunctorImEESt5arrayIPcLm1EELi4E23TrivialOffsetCalculatorILi0EjES7_ILi1EjENS0_6memory15LoadWithoutCastENSA_16StoreWithoutCastEEEviT_T0_T2_T3_T4_T5_.has_dyn_sized_stack, 0
	.set _ZN2at6native27unrolled_elementwise_kernelINS0_11FillFunctorImEESt5arrayIPcLm1EELi4E23TrivialOffsetCalculatorILi0EjES7_ILi1EjENS0_6memory15LoadWithoutCastENSA_16StoreWithoutCastEEEviT_T0_T2_T3_T4_T5_.has_recursion, 0
	.set _ZN2at6native27unrolled_elementwise_kernelINS0_11FillFunctorImEESt5arrayIPcLm1EELi4E23TrivialOffsetCalculatorILi0EjES7_ILi1EjENS0_6memory15LoadWithoutCastENSA_16StoreWithoutCastEEEviT_T0_T2_T3_T4_T5_.has_indirect_call, 0
	.section	.AMDGPU.csdata,"",@progbits
; Kernel info:
; codeLenInByte = 428
; TotalNumSgprs: 12
; NumVgprs: 12
; ScratchSize: 0
; MemoryBound: 0
; FloatMode: 240
; IeeeMode: 1
; LDSByteSize: 0 bytes/workgroup (compile time only)
; SGPRBlocks: 1
; VGPRBlocks: 2
; NumSGPRsForWavesPerEU: 12
; NumVGPRsForWavesPerEU: 12
; Occupancy: 10
; WaveLimiterHint : 0
; COMPUTE_PGM_RSRC2:SCRATCH_EN: 0
; COMPUTE_PGM_RSRC2:USER_SGPR: 6
; COMPUTE_PGM_RSRC2:TRAP_HANDLER: 0
; COMPUTE_PGM_RSRC2:TGID_X_EN: 1
; COMPUTE_PGM_RSRC2:TGID_Y_EN: 0
; COMPUTE_PGM_RSRC2:TGID_Z_EN: 0
; COMPUTE_PGM_RSRC2:TIDIG_COMP_CNT: 0
	.section	.text._ZN2at6native32elementwise_kernel_manual_unrollILi128ELi4EZNS0_22gpu_kernel_impl_nocastINS0_11FillFunctorImEEEEvRNS_18TensorIteratorBaseERKT_EUlibE_EEviT1_,"axG",@progbits,_ZN2at6native32elementwise_kernel_manual_unrollILi128ELi4EZNS0_22gpu_kernel_impl_nocastINS0_11FillFunctorImEEEEvRNS_18TensorIteratorBaseERKT_EUlibE_EEviT1_,comdat
	.protected	_ZN2at6native32elementwise_kernel_manual_unrollILi128ELi4EZNS0_22gpu_kernel_impl_nocastINS0_11FillFunctorImEEEEvRNS_18TensorIteratorBaseERKT_EUlibE_EEviT1_ ; -- Begin function _ZN2at6native32elementwise_kernel_manual_unrollILi128ELi4EZNS0_22gpu_kernel_impl_nocastINS0_11FillFunctorImEEEEvRNS_18TensorIteratorBaseERKT_EUlibE_EEviT1_
	.globl	_ZN2at6native32elementwise_kernel_manual_unrollILi128ELi4EZNS0_22gpu_kernel_impl_nocastINS0_11FillFunctorImEEEEvRNS_18TensorIteratorBaseERKT_EUlibE_EEviT1_
	.p2align	8
	.type	_ZN2at6native32elementwise_kernel_manual_unrollILi128ELi4EZNS0_22gpu_kernel_impl_nocastINS0_11FillFunctorImEEEEvRNS_18TensorIteratorBaseERKT_EUlibE_EEviT1_,@function
_ZN2at6native32elementwise_kernel_manual_unrollILi128ELi4EZNS0_22gpu_kernel_impl_nocastINS0_11FillFunctorImEEEEvRNS_18TensorIteratorBaseERKT_EUlibE_EEviT1_: ; @_ZN2at6native32elementwise_kernel_manual_unrollILi128ELi4EZNS0_22gpu_kernel_impl_nocastINS0_11FillFunctorImEEEEvRNS_18TensorIteratorBaseERKT_EUlibE_EEviT1_
; %bb.0:
	s_load_dword s49, s[4:5], 0x0
	s_load_dword s33, s[4:5], 0x8
	s_add_u32 s24, s4, 8
	s_addc_u32 s25, s5, 0
	v_lshl_or_b32 v3, s6, 9, v0
	v_or_b32_e32 v5, 0x180, v3
	s_waitcnt lgkmcnt(0)
	s_add_i32 s48, s33, -1
	s_cmp_gt_u32 s48, 1
	v_cmp_le_i32_e32 vcc, s49, v5
	s_cselect_b64 s[26:27], -1, 0
	s_and_saveexec_b64 s[0:1], vcc
	s_xor_b64 s[28:29], exec, s[0:1]
	s_cbranch_execz .LBB173_7
; %bb.1:
	s_load_dwordx4 s[12:15], s[24:25], 0x4
	s_load_dwordx2 s[34:35], s[24:25], 0x14
	s_load_dwordx2 s[30:31], s[24:25], 0xc4
	s_load_dwordx4 s[8:11], s[24:25], 0x108
	s_cmp_lg_u32 s33, 0
	s_cselect_b64 s[40:41], -1, 0
	s_add_u32 s38, s24, 0xc4
	s_addc_u32 s39, s25, 0
	s_min_u32 s50, s48, 15
	s_cmp_gt_u32 s33, 1
	s_cselect_b64 s[36:37], -1, 0
	v_cmp_gt_i32_e32 vcc, s49, v3
	s_and_saveexec_b64 s[42:43], vcc
	s_cbranch_execz .LBB173_14
; %bb.2:
	s_andn2_b64 vcc, exec, s[26:27]
	s_cbranch_vccnz .LBB173_21
; %bb.3:
	s_andn2_b64 vcc, exec, s[40:41]
	s_cbranch_vccnz .LBB173_73
; %bb.4:
	s_add_i32 s52, s50, 1
	s_cmp_eq_u32 s48, 2
	s_cbranch_scc1 .LBB173_75
; %bb.5:
	s_and_b32 s51, s52, 28
	s_mov_b32 s53, 0
	v_mov_b32_e32 v0, 0
	s_mov_b64 s[44:45], s[24:25]
	s_mov_b64 s[46:47], s[38:39]
	v_mov_b32_e32 v1, v3
.LBB173_6:                              ; =>This Inner Loop Header: Depth=1
	s_load_dwordx8 s[0:7], s[44:45], 0x4
	s_load_dwordx4 s[16:19], s[44:45], 0x24
	s_load_dwordx4 s[20:23], s[46:47], 0x0
	s_add_u32 s44, s44, 48
	s_addc_u32 s45, s45, 0
	s_waitcnt lgkmcnt(0)
	v_mul_hi_u32 v2, s1, v1
	s_add_i32 s53, s53, 4
	s_add_u32 s46, s46, 16
	s_addc_u32 s47, s47, 0
	v_add_u32_e32 v2, v1, v2
	v_lshrrev_b32_e32 v2, s2, v2
	v_mul_lo_u32 v4, v2, s0
	v_mul_hi_u32 v5, s4, v2
	s_cmp_lg_u32 s51, s53
	v_sub_u32_e32 v1, v1, v4
	v_add_u32_e32 v4, v2, v5
	v_lshrrev_b32_e32 v4, s5, v4
	v_mul_lo_u32 v5, v1, s20
	v_mul_hi_u32 v1, s7, v4
	v_mul_lo_u32 v7, v4, s3
	v_add_u32_e32 v1, v4, v1
	v_lshrrev_b32_e32 v6, s16, v1
	v_mul_hi_u32 v1, s18, v6
	v_sub_u32_e32 v2, v2, v7
	v_mul_lo_u32 v7, v6, s6
	v_mul_lo_u32 v2, v2, s21
	v_add_u32_e32 v1, v6, v1
	v_lshrrev_b32_e32 v1, s19, v1
	v_mul_lo_u32 v8, v1, s17
	v_sub_u32_e32 v4, v4, v7
	v_mul_lo_u32 v4, v4, s22
	v_add3_u32 v0, v5, v0, v2
	v_sub_u32_e32 v6, v6, v8
	v_mul_lo_u32 v6, v6, s23
	v_add3_u32 v0, v4, v0, v6
	s_cbranch_scc1 .LBB173_6
	s_branch .LBB173_76
.LBB173_7:
	s_andn2_saveexec_b64 s[0:1], s[28:29]
	s_cbranch_execz .LBB173_101
.LBB173_8:
	v_cndmask_b32_e64 v0, 0, 1, s[26:27]
	v_cmp_ne_u32_e64 s[0:1], 1, v0
	s_andn2_b64 vcc, exec, s[26:27]
	s_cbranch_vccnz .LBB173_20
; %bb.9:
	s_cmp_lg_u32 s33, 0
	s_mov_b32 s22, 0
	s_cbranch_scc0 .LBB173_23
; %bb.10:
	s_min_u32 s23, s48, 15
	s_add_i32 s23, s23, 1
	s_cmp_eq_u32 s48, 2
	s_cbranch_scc1 .LBB173_24
; %bb.11:
	s_and_b32 s22, s23, 28
	s_add_u32 s2, s24, 0xc4
	s_addc_u32 s3, s25, 0
	s_mov_b32 s26, 0
	v_mov_b32_e32 v0, 0
	s_mov_b64 s[20:21], s[24:25]
	v_mov_b32_e32 v1, v3
.LBB173_12:                             ; =>This Inner Loop Header: Depth=1
	s_waitcnt lgkmcnt(0)
	s_load_dwordx8 s[4:11], s[20:21], 0x4
	s_load_dwordx4 s[12:15], s[20:21], 0x24
	s_load_dwordx4 s[16:19], s[2:3], 0x0
	s_add_u32 s20, s20, 48
	s_addc_u32 s21, s21, 0
	s_waitcnt lgkmcnt(0)
	v_mul_hi_u32 v2, s5, v1
	s_add_i32 s26, s26, 4
	s_add_u32 s2, s2, 16
	s_addc_u32 s3, s3, 0
	v_add_u32_e32 v2, v1, v2
	v_lshrrev_b32_e32 v2, s6, v2
	v_mul_lo_u32 v4, v2, s4
	v_mul_hi_u32 v6, s8, v2
	s_cmp_lg_u32 s22, s26
	v_sub_u32_e32 v1, v1, v4
	v_add_u32_e32 v4, v2, v6
	v_lshrrev_b32_e32 v4, s9, v4
	v_mul_lo_u32 v6, v1, s16
	v_mul_hi_u32 v1, s11, v4
	v_mul_lo_u32 v8, v4, s7
	v_add_u32_e32 v1, v4, v1
	v_lshrrev_b32_e32 v7, s12, v1
	v_mul_hi_u32 v1, s14, v7
	v_sub_u32_e32 v2, v2, v8
	v_mul_lo_u32 v8, v7, s10
	v_mul_lo_u32 v2, v2, s17
	v_add_u32_e32 v1, v7, v1
	v_lshrrev_b32_e32 v1, s15, v1
	v_mul_lo_u32 v9, v1, s13
	v_sub_u32_e32 v4, v4, v8
	v_mul_lo_u32 v4, v4, s18
	v_add3_u32 v0, v6, v0, v2
	v_sub_u32_e32 v7, v7, v9
	v_mul_lo_u32 v7, v7, s19
	v_add3_u32 v0, v4, v0, v7
	s_cbranch_scc1 .LBB173_12
; %bb.13:
	s_and_b32 s6, s23, 3
	s_cmp_eq_u32 s6, 0
	s_cbranch_scc0 .LBB173_25
	s_branch .LBB173_27
.LBB173_14:
	s_or_b64 exec, exec, s[42:43]
	v_cmp_gt_i32_e32 vcc, s49, v3
	s_and_saveexec_b64 s[42:43], vcc
	s_cbranch_execz .LBB173_83
.LBB173_15:
	s_andn2_b64 vcc, exec, s[26:27]
	s_cbranch_vccnz .LBB173_22
; %bb.16:
	s_andn2_b64 vcc, exec, s[40:41]
	s_cbranch_vccnz .LBB173_74
; %bb.17:
	s_add_i32 s52, s50, 1
	s_cmp_eq_u32 s48, 2
	s_cbranch_scc1 .LBB173_91
; %bb.18:
	s_and_b32 s51, s52, 28
	s_mov_b32 s53, 0
	v_mov_b32_e32 v0, 0
	s_mov_b64 s[44:45], s[24:25]
	s_mov_b64 s[46:47], s[38:39]
	v_mov_b32_e32 v1, v3
.LBB173_19:                             ; =>This Inner Loop Header: Depth=1
	s_load_dwordx8 s[0:7], s[44:45], 0x4
	s_load_dwordx4 s[16:19], s[44:45], 0x24
	s_load_dwordx4 s[20:23], s[46:47], 0x0
	s_add_u32 s44, s44, 48
	s_addc_u32 s45, s45, 0
	s_waitcnt lgkmcnt(0)
	v_mul_hi_u32 v2, s1, v1
	s_add_i32 s53, s53, 4
	s_add_u32 s46, s46, 16
	s_addc_u32 s47, s47, 0
	v_add_u32_e32 v2, v1, v2
	v_lshrrev_b32_e32 v2, s2, v2
	v_mul_lo_u32 v4, v2, s0
	v_mul_hi_u32 v5, s4, v2
	s_cmp_eq_u32 s51, s53
	v_sub_u32_e32 v1, v1, v4
	v_add_u32_e32 v4, v2, v5
	v_lshrrev_b32_e32 v4, s5, v4
	v_mul_lo_u32 v5, v1, s20
	v_mul_hi_u32 v1, s7, v4
	v_mul_lo_u32 v7, v4, s3
	v_add_u32_e32 v1, v4, v1
	v_lshrrev_b32_e32 v6, s16, v1
	v_mul_hi_u32 v1, s18, v6
	v_sub_u32_e32 v2, v2, v7
	v_mul_lo_u32 v7, v6, s6
	v_mul_lo_u32 v2, v2, s21
	v_add_u32_e32 v1, v6, v1
	v_lshrrev_b32_e32 v1, s19, v1
	v_mul_lo_u32 v8, v1, s17
	v_sub_u32_e32 v4, v4, v7
	v_mul_lo_u32 v4, v4, s22
	v_add3_u32 v0, v5, v0, v2
	v_sub_u32_e32 v6, v6, v8
	v_mul_lo_u32 v6, v6, s23
	v_add3_u32 v0, v4, v0, v6
	s_cbranch_scc0 .LBB173_19
	s_branch .LBB173_92
.LBB173_20:
                                        ; implicit-def: $vgpr0
	s_branch .LBB173_28
.LBB173_21:
                                        ; implicit-def: $vgpr0
	s_branch .LBB173_80
.LBB173_22:
                                        ; implicit-def: $vgpr0
	s_branch .LBB173_96
.LBB173_23:
	v_mov_b32_e32 v0, 0
	s_branch .LBB173_27
.LBB173_24:
	v_mov_b32_e32 v0, 0
	v_mov_b32_e32 v1, v3
	s_and_b32 s6, s23, 3
	s_cmp_eq_u32 s6, 0
	s_cbranch_scc1 .LBB173_27
.LBB173_25:
	s_lshl_b32 s2, s22, 2
	s_add_u32 s2, s24, s2
	s_addc_u32 s3, s25, 0
	s_add_u32 s2, s2, 0xc4
	s_addc_u32 s3, s3, 0
	s_mul_i32 s4, s22, 12
	s_add_u32 s4, s24, s4
	s_addc_u32 s5, s25, 0
.LBB173_26:                             ; =>This Inner Loop Header: Depth=1
	s_waitcnt lgkmcnt(0)
	s_load_dwordx2 s[8:9], s[4:5], 0x4
	s_load_dword s7, s[4:5], 0xc
	s_add_u32 s4, s4, 12
	s_addc_u32 s5, s5, 0
	s_waitcnt lgkmcnt(0)
	v_mul_hi_u32 v2, s9, v1
	s_load_dword s9, s[2:3], 0x0
	s_add_u32 s2, s2, 4
	s_addc_u32 s3, s3, 0
	v_add_u32_e32 v2, v1, v2
	v_lshrrev_b32_e32 v2, s7, v2
	v_mul_lo_u32 v4, v2, s8
	s_add_i32 s6, s6, -1
	s_cmp_lg_u32 s6, 0
	v_sub_u32_e32 v1, v1, v4
	s_waitcnt lgkmcnt(0)
	v_mad_u64_u32 v[0:1], s[8:9], v1, s9, v[0:1]
	v_mov_b32_e32 v1, v2
	s_cbranch_scc1 .LBB173_26
.LBB173_27:
	s_cbranch_execnz .LBB173_30
.LBB173_28:
	s_load_dwordx4 s[4:7], s[24:25], 0x4
	s_load_dword s2, s[24:25], 0xc4
	s_cmp_lt_u32 s33, 2
	s_waitcnt lgkmcnt(0)
	v_mul_hi_u32 v0, s5, v3
	v_add_u32_e32 v0, v3, v0
	v_lshrrev_b32_e32 v1, s6, v0
	v_mul_lo_u32 v0, v1, s4
	v_sub_u32_e32 v0, v3, v0
	v_mul_lo_u32 v0, v0, s2
	s_cbranch_scc1 .LBB173_30
; %bb.29:
	s_load_dwordx4 s[4:7], s[24:25], 0x10
	s_load_dword s2, s[24:25], 0xc8
	s_waitcnt lgkmcnt(0)
	v_mul_hi_u32 v2, s5, v1
	v_add_u32_e32 v2, v1, v2
	v_lshrrev_b32_e32 v2, s6, v2
	v_mul_lo_u32 v2, v2, s4
	v_sub_u32_e32 v1, v1, v2
	v_mad_u64_u32 v[0:1], s[2:3], v1, s2, v[0:1]
.LBB173_30:
	s_and_b64 vcc, exec, s[0:1]
	v_add_u32_e32 v4, 0x80, v3
	s_cbranch_vccnz .LBB173_36
; %bb.31:
	s_cmp_lg_u32 s33, 0
	s_mov_b32 s22, 0
	s_cbranch_scc0 .LBB173_37
; %bb.32:
	s_min_u32 s23, s48, 15
	s_add_i32 s23, s23, 1
	s_cmp_eq_u32 s48, 2
	s_cbranch_scc1 .LBB173_38
; %bb.33:
	s_and_b32 s22, s23, 28
	s_add_u32 s2, s24, 0xc4
	s_addc_u32 s3, s25, 0
	s_mov_b32 s26, 0
	v_mov_b32_e32 v1, 0
	s_mov_b64 s[20:21], s[24:25]
	v_mov_b32_e32 v2, v4
.LBB173_34:                             ; =>This Inner Loop Header: Depth=1
	s_waitcnt lgkmcnt(0)
	s_load_dwordx8 s[4:11], s[20:21], 0x4
	s_load_dwordx4 s[12:15], s[20:21], 0x24
	s_load_dwordx4 s[16:19], s[2:3], 0x0
	s_add_u32 s20, s20, 48
	s_addc_u32 s21, s21, 0
	s_waitcnt lgkmcnt(0)
	v_mul_hi_u32 v6, s5, v2
	s_add_i32 s26, s26, 4
	s_add_u32 s2, s2, 16
	s_addc_u32 s3, s3, 0
	v_add_u32_e32 v6, v2, v6
	v_lshrrev_b32_e32 v6, s6, v6
	v_mul_lo_u32 v7, v6, s4
	v_mul_hi_u32 v8, s8, v6
	s_cmp_lg_u32 s22, s26
	v_sub_u32_e32 v2, v2, v7
	v_add_u32_e32 v7, v6, v8
	v_lshrrev_b32_e32 v7, s9, v7
	v_mul_lo_u32 v8, v2, s16
	v_mul_hi_u32 v2, s11, v7
	v_mul_lo_u32 v10, v7, s7
	v_add_u32_e32 v2, v7, v2
	v_lshrrev_b32_e32 v9, s12, v2
	v_mul_hi_u32 v2, s14, v9
	v_sub_u32_e32 v6, v6, v10
	v_mul_lo_u32 v10, v9, s10
	v_mul_lo_u32 v6, v6, s17
	v_add_u32_e32 v2, v9, v2
	v_lshrrev_b32_e32 v2, s15, v2
	v_mul_lo_u32 v11, v2, s13
	v_sub_u32_e32 v7, v7, v10
	v_mul_lo_u32 v7, v7, s18
	v_add3_u32 v1, v8, v1, v6
	v_sub_u32_e32 v9, v9, v11
	v_mul_lo_u32 v9, v9, s19
	v_add3_u32 v1, v7, v1, v9
	s_cbranch_scc1 .LBB173_34
; %bb.35:
	s_and_b32 s6, s23, 3
	s_cmp_eq_u32 s6, 0
	s_cbranch_scc0 .LBB173_39
	s_branch .LBB173_41
.LBB173_36:
                                        ; implicit-def: $vgpr1
	s_branch .LBB173_42
.LBB173_37:
	v_mov_b32_e32 v1, 0
	s_branch .LBB173_41
.LBB173_38:
	v_mov_b32_e32 v1, 0
	v_mov_b32_e32 v2, v4
	s_and_b32 s6, s23, 3
	s_cmp_eq_u32 s6, 0
	s_cbranch_scc1 .LBB173_41
.LBB173_39:
	s_lshl_b32 s2, s22, 2
	s_add_u32 s2, s24, s2
	s_addc_u32 s3, s25, 0
	s_add_u32 s2, s2, 0xc4
	s_addc_u32 s3, s3, 0
	s_mul_i32 s4, s22, 12
	s_add_u32 s4, s24, s4
	s_addc_u32 s5, s25, 0
.LBB173_40:                             ; =>This Inner Loop Header: Depth=1
	s_waitcnt lgkmcnt(0)
	s_load_dwordx2 s[8:9], s[4:5], 0x4
	s_load_dword s7, s[4:5], 0xc
	s_add_u32 s4, s4, 12
	s_addc_u32 s5, s5, 0
	s_waitcnt lgkmcnt(0)
	v_mul_hi_u32 v6, s9, v2
	s_load_dword s9, s[2:3], 0x0
	s_add_u32 s2, s2, 4
	s_addc_u32 s3, s3, 0
	v_add_u32_e32 v6, v2, v6
	v_lshrrev_b32_e32 v6, s7, v6
	v_mul_lo_u32 v7, v6, s8
	s_add_i32 s6, s6, -1
	s_cmp_lg_u32 s6, 0
	v_sub_u32_e32 v2, v2, v7
	s_waitcnt lgkmcnt(0)
	v_mad_u64_u32 v[1:2], s[8:9], v2, s9, v[1:2]
	v_mov_b32_e32 v2, v6
	s_cbranch_scc1 .LBB173_40
.LBB173_41:
	s_cbranch_execnz .LBB173_44
.LBB173_42:
	s_load_dwordx4 s[4:7], s[24:25], 0x4
	s_load_dword s2, s[24:25], 0xc4
	s_cmp_lt_u32 s33, 2
	s_waitcnt lgkmcnt(0)
	v_mul_hi_u32 v1, s5, v4
	v_add_u32_e32 v1, v4, v1
	v_lshrrev_b32_e32 v2, s6, v1
	v_mul_lo_u32 v1, v2, s4
	v_sub_u32_e32 v1, v4, v1
	v_mul_lo_u32 v1, v1, s2
	s_cbranch_scc1 .LBB173_44
; %bb.43:
	s_load_dwordx4 s[4:7], s[24:25], 0x10
	s_load_dword s2, s[24:25], 0xc8
	s_waitcnt lgkmcnt(0)
	v_mul_hi_u32 v4, s5, v2
	v_add_u32_e32 v4, v2, v4
	v_lshrrev_b32_e32 v4, s6, v4
	v_mul_lo_u32 v4, v4, s4
	v_sub_u32_e32 v2, v2, v4
	v_mad_u64_u32 v[1:2], s[2:3], v2, s2, v[1:2]
.LBB173_44:
	s_and_b64 vcc, exec, s[0:1]
	v_add_u32_e32 v4, 0x100, v3
	s_cbranch_vccnz .LBB173_50
; %bb.45:
	s_cmp_lg_u32 s33, 0
	s_mov_b32 s22, 0
	s_cbranch_scc0 .LBB173_51
; %bb.46:
	s_min_u32 s23, s48, 15
	s_add_i32 s23, s23, 1
	s_cmp_eq_u32 s48, 2
	s_cbranch_scc1 .LBB173_52
; %bb.47:
	s_and_b32 s22, s23, 28
	s_add_u32 s2, s24, 0xc4
	s_addc_u32 s3, s25, 0
	s_mov_b32 s26, 0
	v_mov_b32_e32 v2, 0
	s_mov_b64 s[20:21], s[24:25]
	v_mov_b32_e32 v3, v4
.LBB173_48:                             ; =>This Inner Loop Header: Depth=1
	s_waitcnt lgkmcnt(0)
	s_load_dwordx8 s[4:11], s[20:21], 0x4
	s_load_dwordx4 s[12:15], s[20:21], 0x24
	s_load_dwordx4 s[16:19], s[2:3], 0x0
	s_add_u32 s20, s20, 48
	s_addc_u32 s21, s21, 0
	s_waitcnt lgkmcnt(0)
	v_mul_hi_u32 v6, s5, v3
	s_add_i32 s26, s26, 4
	s_add_u32 s2, s2, 16
	s_addc_u32 s3, s3, 0
	v_add_u32_e32 v6, v3, v6
	v_lshrrev_b32_e32 v6, s6, v6
	v_mul_lo_u32 v7, v6, s4
	v_mul_hi_u32 v8, s8, v6
	s_cmp_lg_u32 s22, s26
	v_sub_u32_e32 v3, v3, v7
	v_add_u32_e32 v7, v6, v8
	v_lshrrev_b32_e32 v7, s9, v7
	v_mul_lo_u32 v8, v3, s16
	v_mul_hi_u32 v3, s11, v7
	v_mul_lo_u32 v10, v7, s7
	v_add_u32_e32 v3, v7, v3
	v_lshrrev_b32_e32 v9, s12, v3
	v_mul_hi_u32 v3, s14, v9
	v_sub_u32_e32 v6, v6, v10
	v_mul_lo_u32 v10, v9, s10
	v_mul_lo_u32 v6, v6, s17
	v_add_u32_e32 v3, v9, v3
	v_lshrrev_b32_e32 v3, s15, v3
	v_mul_lo_u32 v11, v3, s13
	v_sub_u32_e32 v7, v7, v10
	v_mul_lo_u32 v7, v7, s18
	v_add3_u32 v2, v8, v2, v6
	v_sub_u32_e32 v9, v9, v11
	v_mul_lo_u32 v9, v9, s19
	v_add3_u32 v2, v7, v2, v9
	s_cbranch_scc1 .LBB173_48
; %bb.49:
	s_and_b32 s6, s23, 3
	s_cmp_eq_u32 s6, 0
	s_cbranch_scc0 .LBB173_53
	s_branch .LBB173_55
.LBB173_50:
                                        ; implicit-def: $vgpr2
	s_branch .LBB173_56
.LBB173_51:
	v_mov_b32_e32 v2, 0
	s_branch .LBB173_55
.LBB173_52:
	v_mov_b32_e32 v2, 0
	v_mov_b32_e32 v3, v4
	s_and_b32 s6, s23, 3
	s_cmp_eq_u32 s6, 0
	s_cbranch_scc1 .LBB173_55
.LBB173_53:
	s_lshl_b32 s2, s22, 2
	s_add_u32 s2, s24, s2
	s_addc_u32 s3, s25, 0
	s_add_u32 s2, s2, 0xc4
	s_addc_u32 s3, s3, 0
	s_mul_i32 s4, s22, 12
	s_add_u32 s4, s24, s4
	s_addc_u32 s5, s25, 0
.LBB173_54:                             ; =>This Inner Loop Header: Depth=1
	s_waitcnt lgkmcnt(0)
	s_load_dwordx2 s[8:9], s[4:5], 0x4
	s_load_dword s7, s[4:5], 0xc
	s_add_u32 s4, s4, 12
	s_addc_u32 s5, s5, 0
	s_waitcnt lgkmcnt(0)
	v_mul_hi_u32 v6, s9, v3
	s_load_dword s9, s[2:3], 0x0
	s_add_u32 s2, s2, 4
	s_addc_u32 s3, s3, 0
	v_add_u32_e32 v6, v3, v6
	v_lshrrev_b32_e32 v6, s7, v6
	v_mul_lo_u32 v7, v6, s8
	s_add_i32 s6, s6, -1
	s_cmp_lg_u32 s6, 0
	v_sub_u32_e32 v3, v3, v7
	s_waitcnt lgkmcnt(0)
	v_mad_u64_u32 v[2:3], s[8:9], v3, s9, v[2:3]
	v_mov_b32_e32 v3, v6
	s_cbranch_scc1 .LBB173_54
.LBB173_55:
	s_cbranch_execnz .LBB173_58
.LBB173_56:
	s_load_dwordx4 s[4:7], s[24:25], 0x4
	s_load_dword s2, s[24:25], 0xc4
	s_cmp_lt_u32 s33, 2
	s_waitcnt lgkmcnt(0)
	v_mul_hi_u32 v2, s5, v4
	v_add_u32_e32 v2, v4, v2
	v_lshrrev_b32_e32 v3, s6, v2
	v_mul_lo_u32 v2, v3, s4
	v_sub_u32_e32 v2, v4, v2
	v_mul_lo_u32 v2, v2, s2
	s_cbranch_scc1 .LBB173_58
; %bb.57:
	s_load_dwordx4 s[4:7], s[24:25], 0x10
	s_load_dword s2, s[24:25], 0xc8
	s_waitcnt lgkmcnt(0)
	v_mul_hi_u32 v4, s5, v3
	v_add_u32_e32 v4, v3, v4
	v_lshrrev_b32_e32 v4, s6, v4
	v_mul_lo_u32 v4, v4, s4
	v_sub_u32_e32 v3, v3, v4
	v_mad_u64_u32 v[2:3], s[2:3], v3, s2, v[2:3]
.LBB173_58:
	s_and_b64 vcc, exec, s[0:1]
	s_cbranch_vccnz .LBB173_64
; %bb.59:
	s_cmp_lg_u32 s33, 0
	s_mov_b32 s20, 0
	s_cbranch_scc0 .LBB173_65
; %bb.60:
	s_min_u32 s21, s48, 15
	s_add_i32 s21, s21, 1
	s_cmp_eq_u32 s48, 2
	s_cbranch_scc1 .LBB173_66
; %bb.61:
	s_and_b32 s20, s21, 28
	s_add_u32 s16, s24, 0xc4
	s_addc_u32 s17, s25, 0
	s_mov_b32 s22, 0
	v_mov_b32_e32 v3, 0
	s_mov_b64 s[18:19], s[24:25]
	v_mov_b32_e32 v4, v5
.LBB173_62:                             ; =>This Inner Loop Header: Depth=1
	s_load_dwordx8 s[0:7], s[18:19], 0x4
	s_waitcnt lgkmcnt(0)
	s_load_dwordx4 s[8:11], s[18:19], 0x24
	s_load_dwordx4 s[12:15], s[16:17], 0x0
	s_add_u32 s18, s18, 48
	s_addc_u32 s19, s19, 0
	v_mul_hi_u32 v6, s1, v4
	s_add_i32 s22, s22, 4
	s_add_u32 s16, s16, 16
	s_addc_u32 s17, s17, 0
	v_add_u32_e32 v6, v4, v6
	v_lshrrev_b32_e32 v6, s2, v6
	v_mul_lo_u32 v7, v6, s0
	v_mul_hi_u32 v8, s4, v6
	s_cmp_lg_u32 s20, s22
	v_sub_u32_e32 v4, v4, v7
	v_add_u32_e32 v7, v6, v8
	v_lshrrev_b32_e32 v7, s5, v7
	s_waitcnt lgkmcnt(0)
	v_mul_lo_u32 v8, v4, s12
	v_mul_hi_u32 v4, s7, v7
	v_mul_lo_u32 v10, v7, s3
	v_add_u32_e32 v4, v7, v4
	v_lshrrev_b32_e32 v9, s8, v4
	v_mul_hi_u32 v4, s10, v9
	v_sub_u32_e32 v6, v6, v10
	v_mul_lo_u32 v10, v9, s6
	v_mul_lo_u32 v6, v6, s13
	v_add_u32_e32 v4, v9, v4
	v_lshrrev_b32_e32 v4, s11, v4
	v_mul_lo_u32 v11, v4, s9
	v_sub_u32_e32 v7, v7, v10
	v_mul_lo_u32 v7, v7, s14
	v_add3_u32 v3, v8, v3, v6
	v_sub_u32_e32 v9, v9, v11
	v_mul_lo_u32 v9, v9, s15
	v_add3_u32 v3, v7, v3, v9
	s_cbranch_scc1 .LBB173_62
; %bb.63:
	s_and_b32 s4, s21, 3
	s_cmp_eq_u32 s4, 0
	s_cbranch_scc0 .LBB173_67
	s_branch .LBB173_69
.LBB173_64:
                                        ; implicit-def: $vgpr3
	s_branch .LBB173_70
.LBB173_65:
	v_mov_b32_e32 v3, 0
	s_branch .LBB173_69
.LBB173_66:
	v_mov_b32_e32 v3, 0
	v_mov_b32_e32 v4, v5
	s_and_b32 s4, s21, 3
	s_cmp_eq_u32 s4, 0
	s_cbranch_scc1 .LBB173_69
.LBB173_67:
	s_lshl_b32 s0, s20, 2
	s_add_u32 s0, s24, s0
	s_addc_u32 s1, s25, 0
	s_add_u32 s0, s0, 0xc4
	s_addc_u32 s1, s1, 0
	s_mul_i32 s2, s20, 12
	s_add_u32 s2, s24, s2
	s_addc_u32 s3, s25, 0
.LBB173_68:                             ; =>This Inner Loop Header: Depth=1
	s_load_dwordx2 s[6:7], s[2:3], 0x4
	s_load_dword s5, s[2:3], 0xc
	s_add_u32 s2, s2, 12
	s_addc_u32 s3, s3, 0
	s_waitcnt lgkmcnt(0)
	v_mul_hi_u32 v6, s7, v4
	s_load_dword s7, s[0:1], 0x0
	s_add_u32 s0, s0, 4
	s_addc_u32 s1, s1, 0
	v_add_u32_e32 v6, v4, v6
	v_lshrrev_b32_e32 v6, s5, v6
	v_mul_lo_u32 v7, v6, s6
	s_add_i32 s4, s4, -1
	s_cmp_lg_u32 s4, 0
	v_sub_u32_e32 v4, v4, v7
	s_waitcnt lgkmcnt(0)
	v_mad_u64_u32 v[3:4], s[6:7], v4, s7, v[3:4]
	v_mov_b32_e32 v4, v6
	s_cbranch_scc1 .LBB173_68
.LBB173_69:
	s_cbranch_execnz .LBB173_72
.LBB173_70:
	s_load_dwordx4 s[0:3], s[24:25], 0x4
	s_waitcnt lgkmcnt(0)
	s_load_dword s3, s[24:25], 0xc4
	s_cmp_lt_u32 s33, 2
	v_mul_hi_u32 v3, s1, v5
	v_add_u32_e32 v3, v5, v3
	v_lshrrev_b32_e32 v4, s2, v3
	v_mul_lo_u32 v3, v4, s0
	v_sub_u32_e32 v3, v5, v3
	s_waitcnt lgkmcnt(0)
	v_mul_lo_u32 v3, v3, s3
	s_cbranch_scc1 .LBB173_72
; %bb.71:
	s_load_dwordx4 s[0:3], s[24:25], 0x10
	s_waitcnt lgkmcnt(0)
	s_load_dword s3, s[24:25], 0xc8
	v_mul_hi_u32 v5, s1, v4
	v_add_u32_e32 v5, v4, v5
	v_lshrrev_b32_e32 v5, s2, v5
	v_mul_lo_u32 v5, v5, s0
	v_sub_u32_e32 v4, v4, v5
	s_waitcnt lgkmcnt(0)
	v_mad_u64_u32 v[3:4], s[0:1], v4, s3, v[3:4]
.LBB173_72:
	s_load_dwordx4 s[0:3], s[24:25], 0x108
	s_waitcnt lgkmcnt(0)
	v_mov_b32_e32 v5, s3
	v_mov_b32_e32 v4, s2
	s_nop 0
	global_store_dwordx2 v0, v[4:5], s[0:1]
	global_store_dwordx2 v1, v[4:5], s[0:1]
	;; [unrolled: 1-line block ×4, first 2 shown]
	s_endpgm
.LBB173_73:
	v_mov_b32_e32 v0, 0
	s_branch .LBB173_79
.LBB173_74:
	v_mov_b32_e32 v0, 0
	s_branch .LBB173_95
.LBB173_75:
	v_mov_b32_e32 v0, 0
	s_mov_b32 s51, 0
	v_mov_b32_e32 v1, v3
.LBB173_76:
	s_and_b32 s4, s52, 3
	s_cmp_eq_u32 s4, 0
	s_cbranch_scc1 .LBB173_79
; %bb.77:
	s_lshl_b32 s0, s51, 2
	s_add_u32 s0, s24, s0
	s_addc_u32 s1, s25, 0
	s_add_u32 s0, s0, 0xc4
	s_addc_u32 s1, s1, 0
	s_mul_i32 s2, s51, 12
	s_add_u32 s2, s24, s2
	s_addc_u32 s3, s25, 0
.LBB173_78:                             ; =>This Inner Loop Header: Depth=1
	s_load_dwordx2 s[6:7], s[2:3], 0x4
	s_load_dword s5, s[2:3], 0xc
	s_add_u32 s2, s2, 12
	s_addc_u32 s3, s3, 0
	s_waitcnt lgkmcnt(0)
	v_mul_hi_u32 v2, s7, v1
	s_load_dword s7, s[0:1], 0x0
	s_add_u32 s0, s0, 4
	s_addc_u32 s1, s1, 0
	v_add_u32_e32 v2, v1, v2
	v_lshrrev_b32_e32 v2, s5, v2
	v_mul_lo_u32 v4, v2, s6
	s_add_i32 s4, s4, -1
	s_cmp_lg_u32 s4, 0
	v_sub_u32_e32 v1, v1, v4
	s_waitcnt lgkmcnt(0)
	v_mad_u64_u32 v[0:1], s[6:7], v1, s7, v[0:1]
	v_mov_b32_e32 v1, v2
	s_cbranch_scc1 .LBB173_78
.LBB173_79:
	s_cbranch_execnz .LBB173_82
.LBB173_80:
	s_waitcnt lgkmcnt(0)
	v_mul_hi_u32 v0, s13, v3
	s_andn2_b64 vcc, exec, s[36:37]
	v_add_u32_e32 v0, v3, v0
	v_lshrrev_b32_e32 v1, s14, v0
	v_mul_lo_u32 v0, v1, s12
	v_sub_u32_e32 v0, v3, v0
	v_mul_lo_u32 v0, v0, s30
	s_cbranch_vccnz .LBB173_82
; %bb.81:
	v_mul_hi_u32 v2, s34, v1
	v_add_u32_e32 v2, v1, v2
	v_lshrrev_b32_e32 v2, s35, v2
	v_mul_lo_u32 v2, v2, s15
	v_sub_u32_e32 v1, v1, v2
	v_mad_u64_u32 v[0:1], s[0:1], v1, s31, v[0:1]
.LBB173_82:
	s_waitcnt lgkmcnt(0)
	v_mov_b32_e32 v1, s10
	v_mov_b32_e32 v2, s11
	v_add_u32_e32 v3, 0x80, v3
	global_store_dwordx2 v0, v[1:2], s[8:9]
	s_or_b64 exec, exec, s[42:43]
	v_cmp_gt_i32_e32 vcc, s49, v3
	s_and_saveexec_b64 s[42:43], vcc
	s_cbranch_execnz .LBB173_15
.LBB173_83:
	s_or_b64 exec, exec, s[42:43]
	v_cmp_gt_i32_e32 vcc, s49, v3
	s_and_saveexec_b64 s[42:43], vcc
	s_cbranch_execz .LBB173_99
.LBB173_84:
	s_andn2_b64 vcc, exec, s[26:27]
	s_cbranch_vccnz .LBB173_89
; %bb.85:
	s_andn2_b64 vcc, exec, s[40:41]
	s_cbranch_vccnz .LBB173_90
; %bb.86:
	s_add_i32 s52, s50, 1
	s_cmp_eq_u32 s48, 2
	s_cbranch_scc1 .LBB173_102
; %bb.87:
	s_and_b32 s51, s52, 28
	s_mov_b32 s53, 0
	v_mov_b32_e32 v0, 0
	s_mov_b64 s[44:45], s[24:25]
	s_mov_b64 s[46:47], s[38:39]
	v_mov_b32_e32 v1, v3
.LBB173_88:                             ; =>This Inner Loop Header: Depth=1
	s_load_dwordx8 s[0:7], s[44:45], 0x4
	s_load_dwordx4 s[16:19], s[44:45], 0x24
	s_load_dwordx4 s[20:23], s[46:47], 0x0
	s_add_u32 s44, s44, 48
	s_addc_u32 s45, s45, 0
	s_waitcnt lgkmcnt(0)
	v_mul_hi_u32 v2, s1, v1
	s_add_i32 s53, s53, 4
	s_add_u32 s46, s46, 16
	s_addc_u32 s47, s47, 0
	v_add_u32_e32 v2, v1, v2
	v_lshrrev_b32_e32 v2, s2, v2
	v_mul_lo_u32 v4, v2, s0
	v_mul_hi_u32 v5, s4, v2
	s_cmp_eq_u32 s51, s53
	v_sub_u32_e32 v1, v1, v4
	v_add_u32_e32 v4, v2, v5
	v_lshrrev_b32_e32 v4, s5, v4
	v_mul_lo_u32 v5, v1, s20
	v_mul_hi_u32 v1, s7, v4
	v_mul_lo_u32 v7, v4, s3
	v_add_u32_e32 v1, v4, v1
	v_lshrrev_b32_e32 v6, s16, v1
	v_mul_hi_u32 v1, s18, v6
	v_sub_u32_e32 v2, v2, v7
	v_mul_lo_u32 v7, v6, s6
	v_mul_lo_u32 v2, v2, s21
	v_add_u32_e32 v1, v6, v1
	v_lshrrev_b32_e32 v1, s19, v1
	v_mul_lo_u32 v8, v1, s17
	v_sub_u32_e32 v4, v4, v7
	v_mul_lo_u32 v4, v4, s22
	v_add3_u32 v0, v5, v0, v2
	v_sub_u32_e32 v6, v6, v8
	v_mul_lo_u32 v6, v6, s23
	v_add3_u32 v0, v4, v0, v6
	s_cbranch_scc0 .LBB173_88
	s_branch .LBB173_103
.LBB173_89:
                                        ; implicit-def: $vgpr0
	s_branch .LBB173_107
.LBB173_90:
	v_mov_b32_e32 v0, 0
	s_branch .LBB173_106
.LBB173_91:
	v_mov_b32_e32 v0, 0
	s_mov_b32 s51, 0
	v_mov_b32_e32 v1, v3
.LBB173_92:
	s_and_b32 s4, s52, 3
	s_cmp_eq_u32 s4, 0
	s_cbranch_scc1 .LBB173_95
; %bb.93:
	s_lshl_b32 s0, s51, 2
	s_add_u32 s0, s24, s0
	s_addc_u32 s1, s25, 0
	s_add_u32 s0, s0, 0xc4
	s_addc_u32 s1, s1, 0
	s_mul_i32 s2, s51, 12
	s_add_u32 s2, s24, s2
	s_addc_u32 s3, s25, 0
.LBB173_94:                             ; =>This Inner Loop Header: Depth=1
	s_load_dwordx2 s[6:7], s[2:3], 0x4
	s_load_dword s5, s[2:3], 0xc
	s_add_u32 s2, s2, 12
	s_addc_u32 s3, s3, 0
	s_waitcnt lgkmcnt(0)
	v_mul_hi_u32 v2, s7, v1
	s_load_dword s7, s[0:1], 0x0
	s_add_u32 s0, s0, 4
	s_addc_u32 s1, s1, 0
	v_add_u32_e32 v2, v1, v2
	v_lshrrev_b32_e32 v2, s5, v2
	v_mul_lo_u32 v4, v2, s6
	s_add_i32 s4, s4, -1
	s_cmp_lg_u32 s4, 0
	v_sub_u32_e32 v1, v1, v4
	s_waitcnt lgkmcnt(0)
	v_mad_u64_u32 v[0:1], s[6:7], v1, s7, v[0:1]
	v_mov_b32_e32 v1, v2
	s_cbranch_scc1 .LBB173_94
.LBB173_95:
	s_cbranch_execnz .LBB173_98
.LBB173_96:
	s_waitcnt lgkmcnt(0)
	v_mul_hi_u32 v0, s13, v3
	s_andn2_b64 vcc, exec, s[36:37]
	v_add_u32_e32 v0, v3, v0
	v_lshrrev_b32_e32 v1, s14, v0
	v_mul_lo_u32 v0, v1, s12
	v_sub_u32_e32 v0, v3, v0
	v_mul_lo_u32 v0, v0, s30
	s_cbranch_vccnz .LBB173_98
; %bb.97:
	v_mul_hi_u32 v2, s34, v1
	v_add_u32_e32 v2, v1, v2
	v_lshrrev_b32_e32 v2, s35, v2
	v_mul_lo_u32 v2, v2, s15
	v_sub_u32_e32 v1, v1, v2
	v_mad_u64_u32 v[0:1], s[0:1], v1, s31, v[0:1]
.LBB173_98:
	s_waitcnt lgkmcnt(0)
	v_mov_b32_e32 v1, s10
	v_mov_b32_e32 v2, s11
	v_add_u32_e32 v3, 0x80, v3
	global_store_dwordx2 v0, v[1:2], s[8:9]
	s_or_b64 exec, exec, s[42:43]
	v_cmp_gt_i32_e32 vcc, s49, v3
	s_and_saveexec_b64 s[42:43], vcc
	s_cbranch_execnz .LBB173_84
.LBB173_99:
	s_or_b64 exec, exec, s[42:43]
	v_cmp_gt_i32_e32 vcc, s49, v3
	s_and_saveexec_b64 s[42:43], vcc
	s_cbranch_execnz .LBB173_110
.LBB173_100:
	s_or_b64 exec, exec, s[42:43]
                                        ; implicit-def: $vgpr5
                                        ; implicit-def: $vgpr3
	s_andn2_saveexec_b64 s[0:1], s[28:29]
	s_cbranch_execnz .LBB173_8
.LBB173_101:
	s_endpgm
.LBB173_102:
	v_mov_b32_e32 v0, 0
	s_mov_b32 s51, 0
	v_mov_b32_e32 v1, v3
.LBB173_103:
	s_and_b32 s4, s52, 3
	s_cmp_eq_u32 s4, 0
	s_cbranch_scc1 .LBB173_106
; %bb.104:
	s_lshl_b32 s0, s51, 2
	s_add_u32 s0, s24, s0
	s_addc_u32 s1, s25, 0
	s_add_u32 s0, s0, 0xc4
	s_addc_u32 s1, s1, 0
	s_mul_i32 s2, s51, 12
	s_add_u32 s2, s24, s2
	s_addc_u32 s3, s25, 0
.LBB173_105:                            ; =>This Inner Loop Header: Depth=1
	s_load_dwordx2 s[6:7], s[2:3], 0x4
	s_load_dword s5, s[2:3], 0xc
	s_add_u32 s2, s2, 12
	s_addc_u32 s3, s3, 0
	s_waitcnt lgkmcnt(0)
	v_mul_hi_u32 v2, s7, v1
	s_load_dword s7, s[0:1], 0x0
	s_add_u32 s0, s0, 4
	s_addc_u32 s1, s1, 0
	v_add_u32_e32 v2, v1, v2
	v_lshrrev_b32_e32 v2, s5, v2
	v_mul_lo_u32 v4, v2, s6
	s_add_i32 s4, s4, -1
	s_cmp_lg_u32 s4, 0
	v_sub_u32_e32 v1, v1, v4
	s_waitcnt lgkmcnt(0)
	v_mad_u64_u32 v[0:1], s[6:7], v1, s7, v[0:1]
	v_mov_b32_e32 v1, v2
	s_cbranch_scc1 .LBB173_105
.LBB173_106:
	s_cbranch_execnz .LBB173_109
.LBB173_107:
	s_waitcnt lgkmcnt(0)
	v_mul_hi_u32 v0, s13, v3
	s_andn2_b64 vcc, exec, s[36:37]
	v_add_u32_e32 v0, v3, v0
	v_lshrrev_b32_e32 v1, s14, v0
	v_mul_lo_u32 v0, v1, s12
	v_sub_u32_e32 v0, v3, v0
	v_mul_lo_u32 v0, v0, s30
	s_cbranch_vccnz .LBB173_109
; %bb.108:
	v_mul_hi_u32 v2, s34, v1
	v_add_u32_e32 v2, v1, v2
	v_lshrrev_b32_e32 v2, s35, v2
	v_mul_lo_u32 v2, v2, s15
	v_sub_u32_e32 v1, v1, v2
	v_mad_u64_u32 v[0:1], s[0:1], v1, s31, v[0:1]
.LBB173_109:
	s_waitcnt lgkmcnt(0)
	v_mov_b32_e32 v1, s10
	v_mov_b32_e32 v2, s11
	v_add_u32_e32 v3, 0x80, v3
	global_store_dwordx2 v0, v[1:2], s[8:9]
	s_or_b64 exec, exec, s[42:43]
	v_cmp_gt_i32_e32 vcc, s49, v3
	s_and_saveexec_b64 s[42:43], vcc
	s_cbranch_execz .LBB173_100
.LBB173_110:
	s_andn2_b64 vcc, exec, s[26:27]
	s_cbranch_vccnz .LBB173_115
; %bb.111:
	s_andn2_b64 vcc, exec, s[40:41]
	s_cbranch_vccnz .LBB173_116
; %bb.112:
	s_add_i32 s50, s50, 1
	s_cmp_eq_u32 s48, 2
	s_cbranch_scc1 .LBB173_117
; %bb.113:
	s_and_b32 s44, s50, 28
	s_mov_b32 s45, 0
	v_mov_b32_e32 v0, 0
	s_mov_b64 s[40:41], s[24:25]
	v_mov_b32_e32 v1, v3
.LBB173_114:                            ; =>This Inner Loop Header: Depth=1
	s_load_dwordx8 s[0:7], s[40:41], 0x4
	s_load_dwordx4 s[16:19], s[40:41], 0x24
	s_load_dwordx4 s[20:23], s[38:39], 0x0
	s_add_u32 s40, s40, 48
	s_addc_u32 s41, s41, 0
	s_waitcnt lgkmcnt(0)
	v_mul_hi_u32 v2, s1, v1
	s_add_i32 s45, s45, 4
	s_add_u32 s38, s38, 16
	s_addc_u32 s39, s39, 0
	v_add_u32_e32 v2, v1, v2
	v_lshrrev_b32_e32 v2, s2, v2
	v_mul_lo_u32 v4, v2, s0
	v_mul_hi_u32 v5, s4, v2
	s_cmp_eq_u32 s44, s45
	v_sub_u32_e32 v1, v1, v4
	v_add_u32_e32 v4, v2, v5
	v_lshrrev_b32_e32 v4, s5, v4
	v_mul_lo_u32 v5, v1, s20
	v_mul_hi_u32 v1, s7, v4
	v_mul_lo_u32 v7, v4, s3
	v_add_u32_e32 v1, v4, v1
	v_lshrrev_b32_e32 v6, s16, v1
	v_mul_hi_u32 v1, s18, v6
	v_sub_u32_e32 v2, v2, v7
	v_mul_lo_u32 v7, v6, s6
	v_mul_lo_u32 v2, v2, s21
	v_add_u32_e32 v1, v6, v1
	v_lshrrev_b32_e32 v1, s19, v1
	v_mul_lo_u32 v8, v1, s17
	v_sub_u32_e32 v4, v4, v7
	v_mul_lo_u32 v4, v4, s22
	v_add3_u32 v0, v5, v0, v2
	v_sub_u32_e32 v6, v6, v8
	v_mul_lo_u32 v6, v6, s23
	v_add3_u32 v0, v4, v0, v6
	s_cbranch_scc0 .LBB173_114
	s_branch .LBB173_118
.LBB173_115:
                                        ; implicit-def: $vgpr0
	s_branch .LBB173_122
.LBB173_116:
	v_mov_b32_e32 v0, 0
	s_branch .LBB173_121
.LBB173_117:
	v_mov_b32_e32 v0, 0
	s_mov_b32 s44, 0
	v_mov_b32_e32 v1, v3
.LBB173_118:
	s_and_b32 s4, s50, 3
	s_cmp_eq_u32 s4, 0
	s_cbranch_scc1 .LBB173_121
; %bb.119:
	s_lshl_b32 s0, s44, 2
	s_add_u32 s0, s24, s0
	s_addc_u32 s1, s25, 0
	s_add_u32 s0, s0, 0xc4
	s_addc_u32 s1, s1, 0
	s_mul_i32 s2, s44, 12
	s_add_u32 s2, s24, s2
	s_addc_u32 s3, s25, 0
.LBB173_120:                            ; =>This Inner Loop Header: Depth=1
	s_load_dwordx2 s[6:7], s[2:3], 0x4
	s_load_dword s5, s[2:3], 0xc
	s_add_u32 s2, s2, 12
	s_addc_u32 s3, s3, 0
	s_waitcnt lgkmcnt(0)
	v_mul_hi_u32 v2, s7, v1
	s_load_dword s7, s[0:1], 0x0
	s_add_u32 s0, s0, 4
	s_addc_u32 s1, s1, 0
	v_add_u32_e32 v2, v1, v2
	v_lshrrev_b32_e32 v2, s5, v2
	v_mul_lo_u32 v4, v2, s6
	s_add_i32 s4, s4, -1
	s_cmp_lg_u32 s4, 0
	v_sub_u32_e32 v1, v1, v4
	s_waitcnt lgkmcnt(0)
	v_mad_u64_u32 v[0:1], s[6:7], v1, s7, v[0:1]
	v_mov_b32_e32 v1, v2
	s_cbranch_scc1 .LBB173_120
.LBB173_121:
	s_cbranch_execnz .LBB173_124
.LBB173_122:
	s_waitcnt lgkmcnt(0)
	v_mul_hi_u32 v0, s13, v3
	s_andn2_b64 vcc, exec, s[36:37]
	v_add_u32_e32 v0, v3, v0
	v_lshrrev_b32_e32 v1, s14, v0
	v_mul_lo_u32 v0, v1, s12
	v_sub_u32_e32 v0, v3, v0
	v_mul_lo_u32 v0, v0, s30
	s_cbranch_vccnz .LBB173_124
; %bb.123:
	v_mul_hi_u32 v2, s34, v1
	v_add_u32_e32 v2, v1, v2
	v_lshrrev_b32_e32 v2, s35, v2
	v_mul_lo_u32 v2, v2, s15
	v_sub_u32_e32 v1, v1, v2
	v_mad_u64_u32 v[0:1], s[0:1], v1, s31, v[0:1]
.LBB173_124:
	s_waitcnt lgkmcnt(0)
	v_mov_b32_e32 v1, s10
	v_mov_b32_e32 v2, s11
	global_store_dwordx2 v0, v[1:2], s[8:9]
	s_or_b64 exec, exec, s[42:43]
                                        ; implicit-def: $vgpr5
                                        ; implicit-def: $vgpr3
	s_andn2_saveexec_b64 s[0:1], s[28:29]
	s_cbranch_execz .LBB173_101
	s_branch .LBB173_8
	.section	.rodata,"a",@progbits
	.p2align	6, 0x0
	.amdhsa_kernel _ZN2at6native32elementwise_kernel_manual_unrollILi128ELi4EZNS0_22gpu_kernel_impl_nocastINS0_11FillFunctorImEEEEvRNS_18TensorIteratorBaseERKT_EUlibE_EEviT1_
		.amdhsa_group_segment_fixed_size 0
		.amdhsa_private_segment_fixed_size 0
		.amdhsa_kernarg_size 288
		.amdhsa_user_sgpr_count 6
		.amdhsa_user_sgpr_private_segment_buffer 1
		.amdhsa_user_sgpr_dispatch_ptr 0
		.amdhsa_user_sgpr_queue_ptr 0
		.amdhsa_user_sgpr_kernarg_segment_ptr 1
		.amdhsa_user_sgpr_dispatch_id 0
		.amdhsa_user_sgpr_flat_scratch_init 0
		.amdhsa_user_sgpr_private_segment_size 0
		.amdhsa_uses_dynamic_stack 0
		.amdhsa_system_sgpr_private_segment_wavefront_offset 0
		.amdhsa_system_sgpr_workgroup_id_x 1
		.amdhsa_system_sgpr_workgroup_id_y 0
		.amdhsa_system_sgpr_workgroup_id_z 0
		.amdhsa_system_sgpr_workgroup_info 0
		.amdhsa_system_vgpr_workitem_id 0
		.amdhsa_next_free_vgpr 12
		.amdhsa_next_free_sgpr 54
		.amdhsa_reserve_vcc 1
		.amdhsa_reserve_flat_scratch 0
		.amdhsa_float_round_mode_32 0
		.amdhsa_float_round_mode_16_64 0
		.amdhsa_float_denorm_mode_32 3
		.amdhsa_float_denorm_mode_16_64 3
		.amdhsa_dx10_clamp 1
		.amdhsa_ieee_mode 1
		.amdhsa_fp16_overflow 0
		.amdhsa_exception_fp_ieee_invalid_op 0
		.amdhsa_exception_fp_denorm_src 0
		.amdhsa_exception_fp_ieee_div_zero 0
		.amdhsa_exception_fp_ieee_overflow 0
		.amdhsa_exception_fp_ieee_underflow 0
		.amdhsa_exception_fp_ieee_inexact 0
		.amdhsa_exception_int_div_zero 0
	.end_amdhsa_kernel
	.section	.text._ZN2at6native32elementwise_kernel_manual_unrollILi128ELi4EZNS0_22gpu_kernel_impl_nocastINS0_11FillFunctorImEEEEvRNS_18TensorIteratorBaseERKT_EUlibE_EEviT1_,"axG",@progbits,_ZN2at6native32elementwise_kernel_manual_unrollILi128ELi4EZNS0_22gpu_kernel_impl_nocastINS0_11FillFunctorImEEEEvRNS_18TensorIteratorBaseERKT_EUlibE_EEviT1_,comdat
.Lfunc_end173:
	.size	_ZN2at6native32elementwise_kernel_manual_unrollILi128ELi4EZNS0_22gpu_kernel_impl_nocastINS0_11FillFunctorImEEEEvRNS_18TensorIteratorBaseERKT_EUlibE_EEviT1_, .Lfunc_end173-_ZN2at6native32elementwise_kernel_manual_unrollILi128ELi4EZNS0_22gpu_kernel_impl_nocastINS0_11FillFunctorImEEEEvRNS_18TensorIteratorBaseERKT_EUlibE_EEviT1_
                                        ; -- End function
	.set _ZN2at6native32elementwise_kernel_manual_unrollILi128ELi4EZNS0_22gpu_kernel_impl_nocastINS0_11FillFunctorImEEEEvRNS_18TensorIteratorBaseERKT_EUlibE_EEviT1_.num_vgpr, 12
	.set _ZN2at6native32elementwise_kernel_manual_unrollILi128ELi4EZNS0_22gpu_kernel_impl_nocastINS0_11FillFunctorImEEEEvRNS_18TensorIteratorBaseERKT_EUlibE_EEviT1_.num_agpr, 0
	.set _ZN2at6native32elementwise_kernel_manual_unrollILi128ELi4EZNS0_22gpu_kernel_impl_nocastINS0_11FillFunctorImEEEEvRNS_18TensorIteratorBaseERKT_EUlibE_EEviT1_.numbered_sgpr, 54
	.set _ZN2at6native32elementwise_kernel_manual_unrollILi128ELi4EZNS0_22gpu_kernel_impl_nocastINS0_11FillFunctorImEEEEvRNS_18TensorIteratorBaseERKT_EUlibE_EEviT1_.num_named_barrier, 0
	.set _ZN2at6native32elementwise_kernel_manual_unrollILi128ELi4EZNS0_22gpu_kernel_impl_nocastINS0_11FillFunctorImEEEEvRNS_18TensorIteratorBaseERKT_EUlibE_EEviT1_.private_seg_size, 0
	.set _ZN2at6native32elementwise_kernel_manual_unrollILi128ELi4EZNS0_22gpu_kernel_impl_nocastINS0_11FillFunctorImEEEEvRNS_18TensorIteratorBaseERKT_EUlibE_EEviT1_.uses_vcc, 1
	.set _ZN2at6native32elementwise_kernel_manual_unrollILi128ELi4EZNS0_22gpu_kernel_impl_nocastINS0_11FillFunctorImEEEEvRNS_18TensorIteratorBaseERKT_EUlibE_EEviT1_.uses_flat_scratch, 0
	.set _ZN2at6native32elementwise_kernel_manual_unrollILi128ELi4EZNS0_22gpu_kernel_impl_nocastINS0_11FillFunctorImEEEEvRNS_18TensorIteratorBaseERKT_EUlibE_EEviT1_.has_dyn_sized_stack, 0
	.set _ZN2at6native32elementwise_kernel_manual_unrollILi128ELi4EZNS0_22gpu_kernel_impl_nocastINS0_11FillFunctorImEEEEvRNS_18TensorIteratorBaseERKT_EUlibE_EEviT1_.has_recursion, 0
	.set _ZN2at6native32elementwise_kernel_manual_unrollILi128ELi4EZNS0_22gpu_kernel_impl_nocastINS0_11FillFunctorImEEEEvRNS_18TensorIteratorBaseERKT_EUlibE_EEviT1_.has_indirect_call, 0
	.section	.AMDGPU.csdata,"",@progbits
; Kernel info:
; codeLenInByte = 5008
; TotalNumSgprs: 58
; NumVgprs: 12
; ScratchSize: 0
; MemoryBound: 0
; FloatMode: 240
; IeeeMode: 1
; LDSByteSize: 0 bytes/workgroup (compile time only)
; SGPRBlocks: 7
; VGPRBlocks: 2
; NumSGPRsForWavesPerEU: 58
; NumVGPRsForWavesPerEU: 12
; Occupancy: 10
; WaveLimiterHint : 1
; COMPUTE_PGM_RSRC2:SCRATCH_EN: 0
; COMPUTE_PGM_RSRC2:USER_SGPR: 6
; COMPUTE_PGM_RSRC2:TRAP_HANDLER: 0
; COMPUTE_PGM_RSRC2:TGID_X_EN: 1
; COMPUTE_PGM_RSRC2:TGID_Y_EN: 0
; COMPUTE_PGM_RSRC2:TGID_Z_EN: 0
; COMPUTE_PGM_RSRC2:TIDIG_COMP_CNT: 0
	.section	.text._ZN2at6native32elementwise_kernel_manual_unrollILi128ELi4EZNS0_15gpu_kernel_implINS0_11FillFunctorImEEEEvRNS_18TensorIteratorBaseERKT_EUlibE_EEviT1_,"axG",@progbits,_ZN2at6native32elementwise_kernel_manual_unrollILi128ELi4EZNS0_15gpu_kernel_implINS0_11FillFunctorImEEEEvRNS_18TensorIteratorBaseERKT_EUlibE_EEviT1_,comdat
	.protected	_ZN2at6native32elementwise_kernel_manual_unrollILi128ELi4EZNS0_15gpu_kernel_implINS0_11FillFunctorImEEEEvRNS_18TensorIteratorBaseERKT_EUlibE_EEviT1_ ; -- Begin function _ZN2at6native32elementwise_kernel_manual_unrollILi128ELi4EZNS0_15gpu_kernel_implINS0_11FillFunctorImEEEEvRNS_18TensorIteratorBaseERKT_EUlibE_EEviT1_
	.globl	_ZN2at6native32elementwise_kernel_manual_unrollILi128ELi4EZNS0_15gpu_kernel_implINS0_11FillFunctorImEEEEvRNS_18TensorIteratorBaseERKT_EUlibE_EEviT1_
	.p2align	8
	.type	_ZN2at6native32elementwise_kernel_manual_unrollILi128ELi4EZNS0_15gpu_kernel_implINS0_11FillFunctorImEEEEvRNS_18TensorIteratorBaseERKT_EUlibE_EEviT1_,@function
_ZN2at6native32elementwise_kernel_manual_unrollILi128ELi4EZNS0_15gpu_kernel_implINS0_11FillFunctorImEEEEvRNS_18TensorIteratorBaseERKT_EUlibE_EEviT1_: ; @_ZN2at6native32elementwise_kernel_manual_unrollILi128ELi4EZNS0_15gpu_kernel_implINS0_11FillFunctorImEEEEvRNS_18TensorIteratorBaseERKT_EUlibE_EEviT1_
; %bb.0:
	v_lshl_or_b32 v22, s6, 9, v0
	s_load_dword s48, s[4:5], 0x0
	s_load_dwordx2 s[20:21], s[4:5], 0x8
	s_load_dword s33, s[4:5], 0x10
	s_load_dwordx2 s[18:19], s[4:5], 0x18
	s_load_dword s52, s[4:5], 0x20
	v_or_b32_e32 v0, 0x180, v22
	s_waitcnt lgkmcnt(0)
	v_cmp_le_i32_e32 vcc, s48, v0
	s_mov_b64 s[22:23], 0
	s_mov_b64 s[0:1], 0
	s_and_saveexec_b64 s[2:3], vcc
	s_xor_b64 s[24:25], exec, s[2:3]
	s_cbranch_execz .LBB174_404
; %bb.1:
	s_flbit_i32_b32 s0, s19
	s_min_u32 s2, s0, 32
	s_lshl_b64 s[0:1], s[18:19], s2
	s_min_u32 s0, s0, 1
	s_or_b32 s0, s1, s0
	v_cvt_f32_u32_e32 v0, s0
	s_sub_i32 s1, 32, s2
	s_movk_i32 s0, 0xff
	s_mov_b32 s2, 0x47800000
	v_ldexp_f32 v4, v0, s1
	v_and_b32_e32 v1, 0x400000, v4
	v_lshrrev_b32_e32 v0, 23, v4
	v_cmp_ne_u32_e32 vcc, 0, v1
	v_and_b32_e32 v1, 0x3fffff, v4
	v_or_b32_e32 v1, v0, v1
	v_cmp_eq_u32_e64 s[16:17], s0, v0
	v_cmp_ne_u32_e64 s[0:1], 0, v1
	s_and_b64 s[0:1], vcc, s[0:1]
	v_cndmask_b32_e64 v1, 0, 1, s[0:1]
	s_mov_b32 s0, 0x43800000
	v_cmp_gt_u32_e64 s[14:15], s0, v4
	s_mov_b32 s0, 0x3bffffff
	v_add_f32_e32 v20, 0x46000000, v4
	v_add_u32_e32 v21, v0, v1
	v_cmp_lt_u32_e64 s[12:13], s0, v4
	v_bfe_u32 v0, v4, 20, 1
	v_readfirstlane_b32 s0, v20
	v_add_u32_e32 v0, v4, v0
	s_and_b32 s0, s0, 0xff
	v_cmp_gt_u32_e64 s[10:11], s2, v4
	s_mov_b32 s2, 0x37ffffff
	v_add_f32_e32 v15, 0x42800000, v4
	v_add_u32_e32 v1, 0x487ffff, v0
	s_cmp_lg_u32 s0, 0
	v_cmp_lt_u32_e64 s[8:9], s2, v4
	v_readfirstlane_b32 s2, v15
	v_lshrrev_b32_e32 v19, 20, v1
	s_cselect_b64 s[28:29], -1, 0
	v_bfe_u32 v1, v4, 21, 1
	s_and_b32 s2, s2, 0xff
	v_add_u32_e32 v1, v4, v1
	s_cmp_lg_u32 s2, 0
	s_mov_b32 s2, 0x43efffff
	v_add_u32_e32 v2, 0x88fffff, v1
	v_cmp_lt_u32_e64 s[4:5], s2, v4
	s_mov_b32 s2, 0x3c800000
	v_add_u32_e32 v0, 0x407ffff, v0
	v_lshrrev_b32_e32 v14, 21, v2
	v_cmp_gt_u32_e64 s[6:7], s2, v4
	v_lshrrev_b32_e32 v2, 20, v0
	v_and_b32_e32 v0, 0xff00000, v0
	s_mov_b32 s2, 0x7f00000
	v_cmp_ne_u32_e32 vcc, s2, v0
	v_add_u32_e32 v0, 0x80fffff, v1
	v_lshrrev_b32_e32 v11, 21, v0
	v_cvt_f64_u32_e32 v[0:1], s19
	v_mov_b32_e32 v3, 0x7e
	s_mov_b32 s30, 0x7f800000
	v_cndmask_b32_e32 v12, v3, v2, vcc
	v_ldexp_f64 v[0:1], v[0:1], 32
	v_mov_b32_e32 v2, 0x7f
	v_cmp_lt_u32_e32 vcc, s30, v4
	v_cndmask_b32_e32 v18, v3, v2, vcc
	v_mov_b32_e32 v3, 0x7c
	v_cndmask_b32_e32 v17, v3, v2, vcc
	v_bfe_u32 v2, v4, 16, 1
	v_add_u32_e32 v5, v4, v2
	v_cvt_f64_u32_e32 v[2:3], s18
	v_cvt_f16_f32_e32 v8, v4
	s_cselect_b64 s[26:27], -1, 0
	s_cmp_lg_u64 s[18:19], 0
	v_add_f64 v[0:1], v[0:1], v[2:3]
	s_mov_b32 s0, 0x477fffff
	s_mov_b32 s2, 0x38800000
	v_add_u32_e32 v5, 0x7fff, v5
	s_cselect_b64 s[34:35], -1, 0
	v_cmp_lt_u32_e64 s[0:1], s0, v4
	v_add_f32_e32 v13, 0x46800000, v4
	v_cmp_gt_u32_e64 s[2:3], s2, v4
	v_add_f32_e32 v16, 0x43000000, v4
	v_lshrrev_b32_e32 v10, 16, v5
	s_mov_b64 s[38:39], 0
	v_cmp_gt_i32_e32 vcc, s48, v22
	s_mov_b64 s[36:37], -1
	s_mov_b64 s[30:31], 0
	v_cndmask_b32_e64 v9, 0, 1, s[34:35]
	s_and_saveexec_b64 s[34:35], vcc
	s_cbranch_execz .LBB174_100
; %bb.2:
	v_mul_lo_u32 v2, v22, s33
	v_mov_b32_e32 v3, s21
	s_and_b32 s42, s52, 0xff
	s_cmp_lt_i32 s42, 11
	v_ashrrev_i32_e32 v5, 31, v2
	v_add_co_u32_e32 v6, vcc, s20, v2
	v_addc_co_u32_e32 v7, vcc, v3, v5, vcc
	s_cbranch_scc1 .LBB174_9
; %bb.3:
	s_and_b32 s43, 0xffff, s42
	s_cmp_gt_i32 s43, 25
	s_cbranch_scc0 .LBB174_12
; %bb.4:
	s_cmp_gt_i32 s43, 28
	s_cbranch_scc0 .LBB174_13
; %bb.5:
	;; [unrolled: 3-line block ×4, first 2 shown]
	s_mov_b64 s[40:41], 0
	s_mov_b64 s[30:31], -1
	s_cmp_eq_u32 s43, 46
	s_mov_b64 s[36:37], 0
	s_cbranch_scc0 .LBB174_16
; %bb.8:
	global_store_dword v[6:7], v10, off
	s_mov_b64 s[36:37], -1
	s_mov_b64 s[30:31], 0
	s_branch .LBB174_16
.LBB174_9:
	s_mov_b64 s[36:37], 0
	s_cbranch_execnz .LBB174_60
.LBB174_10:
	s_andn2_b64 vcc, exec, s[36:37]
	s_cbranch_vccnz .LBB174_98
.LBB174_11:
	v_add_u32_e32 v22, 0x80, v22
	s_mov_b64 s[36:37], -1
	s_branch .LBB174_99
.LBB174_12:
	s_mov_b64 s[36:37], 0
	s_cbranch_execnz .LBB174_38
	s_branch .LBB174_59
.LBB174_13:
	s_mov_b64 s[40:41], -1
	s_mov_b64 s[36:37], 0
	s_branch .LBB174_24
.LBB174_14:
	s_mov_b64 s[40:41], -1
	s_mov_b64 s[36:37], 0
	s_branch .LBB174_20
.LBB174_15:
	s_mov_b64 s[40:41], -1
	s_mov_b64 s[36:37], 0
.LBB174_16:
	s_and_b64 vcc, exec, s[40:41]
	s_cbranch_vccz .LBB174_19
; %bb.17:
	s_cmp_eq_u32 s43, 44
	s_mov_b64 s[30:31], -1
	s_cbranch_scc0 .LBB174_19
; %bb.18:
	v_mov_b32_e32 v2, 0xffff
	v_cndmask_b32_e64 v2, v21, v2, s[16:17]
	global_store_byte v[6:7], v2, off
	s_mov_b64 s[36:37], -1
	s_mov_b64 s[30:31], 0
.LBB174_19:
	s_mov_b64 s[40:41], 0
.LBB174_20:
	s_and_b64 vcc, exec, s[40:41]
	s_cbranch_vccz .LBB174_23
; %bb.21:
	s_cmp_eq_u32 s43, 29
	s_mov_b64 s[30:31], -1
	s_cbranch_scc0 .LBB174_23
; %bb.22:
	v_mov_b32_e32 v2, s18
	v_mov_b32_e32 v3, s19
	global_store_dwordx2 v[6:7], v[2:3], off
	s_mov_b64 s[36:37], -1
	s_mov_b64 s[30:31], 0
.LBB174_23:
	s_mov_b64 s[40:41], 0
.LBB174_24:
	s_and_b64 vcc, exec, s[40:41]
	s_cbranch_vccz .LBB174_37
; %bb.25:
	s_cmp_lt_i32 s43, 27
	s_mov_b64 s[36:37], -1
	s_cbranch_scc1 .LBB174_31
; %bb.26:
	s_cmp_gt_i32 s43, 27
	s_cbranch_scc0 .LBB174_28
; %bb.27:
	v_mov_b32_e32 v2, s18
	s_mov_b64 s[36:37], 0
	global_store_dword v[6:7], v2, off
.LBB174_28:
	s_andn2_b64 vcc, exec, s[36:37]
	s_cbranch_vccnz .LBB174_30
; %bb.29:
	v_mov_b32_e32 v2, s18
	global_store_short v[6:7], v2, off
.LBB174_30:
	s_mov_b64 s[36:37], 0
.LBB174_31:
	s_andn2_b64 vcc, exec, s[36:37]
	s_cbranch_vccnz .LBB174_36
; %bb.32:
	s_andn2_b64 vcc, exec, s[14:15]
	v_mov_b32_e32 v2, 0x80
	s_cbranch_vccnz .LBB174_35
; %bb.33:
	s_or_b64 s[36:37], s[12:13], s[28:29]
	s_andn2_b64 vcc, exec, s[36:37]
	v_mov_b32_e32 v2, 0
	s_cbranch_vccnz .LBB174_35
; %bb.34:
	v_cndmask_b32_e64 v2, v20, v19, s[12:13]
.LBB174_35:
	global_store_byte v[6:7], v2, off
.LBB174_36:
	s_mov_b64 s[36:37], -1
.LBB174_37:
	s_branch .LBB174_59
.LBB174_38:
	s_cmp_gt_i32 s43, 22
	s_mov_b64 s[40:41], -1
	s_cbranch_scc0 .LBB174_51
; %bb.39:
	s_cmp_lt_i32 s43, 24
	s_mov_b64 s[36:37], -1
	s_cbranch_scc1 .LBB174_48
; %bb.40:
	s_cmp_gt_i32 s43, 24
	s_cbranch_scc0 .LBB174_45
; %bb.41:
	s_andn2_b64 vcc, exec, s[10:11]
	v_mov_b32_e32 v2, 0x80
	s_cbranch_vccnz .LBB174_44
; %bb.42:
	s_or_b64 s[36:37], s[8:9], s[26:27]
	s_andn2_b64 vcc, exec, s[36:37]
	v_mov_b32_e32 v2, 0
	s_cbranch_vccnz .LBB174_44
; %bb.43:
	v_cndmask_b32_e64 v2, v15, v14, s[8:9]
.LBB174_44:
	s_mov_b64 s[36:37], 0
	global_store_byte v[6:7], v2, off
.LBB174_45:
	s_and_b64 vcc, exec, s[36:37]
	s_cbranch_vccz .LBB174_47
; %bb.46:
	v_cndmask_b32_e64 v2, v12, v13, s[6:7]
	v_cndmask_b32_e64 v2, v2, v18, s[4:5]
	global_store_byte v[6:7], v2, off
.LBB174_47:
	s_mov_b64 s[36:37], 0
.LBB174_48:
	s_andn2_b64 vcc, exec, s[36:37]
	s_cbranch_vccnz .LBB174_50
; %bb.49:
	v_cndmask_b32_e64 v2, v11, v16, s[2:3]
	v_cndmask_b32_e64 v2, v2, v17, s[0:1]
	global_store_byte v[6:7], v2, off
.LBB174_50:
	s_mov_b64 s[40:41], 0
	s_mov_b64 s[36:37], -1
.LBB174_51:
	s_andn2_b64 vcc, exec, s[40:41]
	s_cbranch_vccnz .LBB174_59
; %bb.52:
	s_cmp_gt_i32 s43, 14
	s_mov_b64 s[40:41], -1
	s_cbranch_scc0 .LBB174_56
; %bb.53:
	s_cmp_eq_u32 s43, 15
	s_mov_b64 s[30:31], -1
	s_cbranch_scc0 .LBB174_55
; %bb.54:
	global_store_short v[6:7], v10, off
	s_mov_b64 s[36:37], -1
	s_mov_b64 s[30:31], 0
.LBB174_55:
	s_mov_b64 s[40:41], 0
.LBB174_56:
	s_and_b64 vcc, exec, s[40:41]
	s_cbranch_vccz .LBB174_59
; %bb.57:
	s_cmp_eq_u32 s43, 11
	s_mov_b64 s[30:31], -1
	s_cbranch_scc0 .LBB174_59
; %bb.58:
	s_mov_b64 s[36:37], -1
	s_mov_b64 s[30:31], 0
	global_store_byte v[6:7], v9, off
.LBB174_59:
	s_branch .LBB174_10
.LBB174_60:
	s_and_b32 s40, 0xffff, s42
	s_cmp_lt_i32 s40, 5
	s_mov_b64 s[36:37], -1
	s_cbranch_scc1 .LBB174_81
; %bb.61:
	s_cmp_lt_i32 s40, 8
	s_cbranch_scc1 .LBB174_71
; %bb.62:
	s_cmp_lt_i32 s40, 9
	s_cbranch_scc1 .LBB174_68
; %bb.63:
	s_cmp_gt_i32 s40, 9
	s_cbranch_scc0 .LBB174_65
; %bb.64:
	v_mov_b32_e32 v2, 0
	v_mov_b32_e32 v3, v2
	global_store_dwordx4 v[6:7], v[0:3], off
	s_mov_b64 s[36:37], 0
.LBB174_65:
	s_andn2_b64 vcc, exec, s[36:37]
	s_cbranch_vccnz .LBB174_67
; %bb.66:
	v_mov_b32_e32 v5, 0
	global_store_dwordx2 v[6:7], v[4:5], off
.LBB174_67:
	s_mov_b64 s[36:37], 0
.LBB174_68:
	s_andn2_b64 vcc, exec, s[36:37]
	s_cbranch_vccnz .LBB174_70
; %bb.69:
	global_store_dword v[6:7], v8, off
.LBB174_70:
	s_mov_b64 s[36:37], 0
.LBB174_71:
	s_andn2_b64 vcc, exec, s[36:37]
	s_cbranch_vccnz .LBB174_80
; %bb.72:
	s_cmp_lt_i32 s40, 6
	s_mov_b64 s[36:37], -1
	s_cbranch_scc1 .LBB174_78
; %bb.73:
	s_cmp_gt_i32 s40, 6
	s_cbranch_scc0 .LBB174_75
; %bb.74:
	global_store_dwordx2 v[6:7], v[0:1], off
	s_mov_b64 s[36:37], 0
.LBB174_75:
	s_andn2_b64 vcc, exec, s[36:37]
	s_cbranch_vccnz .LBB174_77
; %bb.76:
	global_store_dword v[6:7], v4, off
.LBB174_77:
	s_mov_b64 s[36:37], 0
.LBB174_78:
	s_andn2_b64 vcc, exec, s[36:37]
	s_cbranch_vccnz .LBB174_80
; %bb.79:
	global_store_short v[6:7], v8, off
.LBB174_80:
	s_mov_b64 s[36:37], 0
.LBB174_81:
	s_andn2_b64 vcc, exec, s[36:37]
	s_cbranch_vccnz .LBB174_97
; %bb.82:
	s_cmp_lt_i32 s40, 2
	s_mov_b64 s[36:37], -1
	s_cbranch_scc1 .LBB174_92
; %bb.83:
	s_cmp_lt_i32 s40, 3
	s_cbranch_scc1 .LBB174_89
; %bb.84:
	s_cmp_gt_i32 s40, 3
	s_cbranch_scc0 .LBB174_86
; %bb.85:
	v_mov_b32_e32 v2, s18
	v_mov_b32_e32 v3, s19
	global_store_dwordx2 v[6:7], v[2:3], off
	s_mov_b64 s[36:37], 0
.LBB174_86:
	s_andn2_b64 vcc, exec, s[36:37]
	s_cbranch_vccnz .LBB174_88
; %bb.87:
	v_mov_b32_e32 v2, s18
	global_store_dword v[6:7], v2, off
.LBB174_88:
	s_mov_b64 s[36:37], 0
.LBB174_89:
	s_andn2_b64 vcc, exec, s[36:37]
	s_cbranch_vccnz .LBB174_91
; %bb.90:
	v_mov_b32_e32 v2, s18
	global_store_short v[6:7], v2, off
.LBB174_91:
	s_mov_b64 s[36:37], 0
.LBB174_92:
	s_andn2_b64 vcc, exec, s[36:37]
	s_cbranch_vccnz .LBB174_97
; %bb.93:
	s_cmp_gt_i32 s40, 0
	s_mov_b64 s[36:37], -1
	s_cbranch_scc0 .LBB174_95
; %bb.94:
	v_mov_b32_e32 v2, s18
	global_store_byte v[6:7], v2, off
	s_mov_b64 s[36:37], 0
.LBB174_95:
	s_andn2_b64 vcc, exec, s[36:37]
	s_cbranch_vccnz .LBB174_97
; %bb.96:
	v_mov_b32_e32 v2, s18
	global_store_byte v[6:7], v2, off
.LBB174_97:
	s_branch .LBB174_11
.LBB174_98:
	s_mov_b64 s[36:37], 0
                                        ; implicit-def: $vgpr22
.LBB174_99:
	s_and_b64 s[30:31], s[30:31], exec
	s_orn2_b64 s[36:37], s[36:37], exec
.LBB174_100:
	s_or_b64 exec, exec, s[34:35]
	s_mov_b64 s[40:41], 0
                                        ; implicit-def: $sgpr53
                                        ; implicit-def: $vgpr6_vgpr7
	s_and_saveexec_b64 s[34:35], s[36:37]
	s_cbranch_execz .LBB174_109
; %bb.101:
	v_cmp_gt_i32_e32 vcc, s48, v22
	s_mov_b64 s[42:43], -1
	s_mov_b64 s[36:37], s[30:31]
	s_and_saveexec_b64 s[38:39], vcc
	s_cbranch_execz .LBB174_204
; %bb.102:
	v_mul_lo_u32 v2, v22, s33
	v_mov_b32_e32 v3, s21
	s_and_b32 s44, s52, 0xff
	s_cmp_lt_i32 s44, 11
	v_ashrrev_i32_e32 v5, 31, v2
	v_add_co_u32_e32 v6, vcc, s20, v2
	v_addc_co_u32_e32 v7, vcc, v3, v5, vcc
	s_cbranch_scc1 .LBB174_112
; %bb.103:
	s_and_b32 s45, 0xffff, s44
	s_cmp_gt_i32 s45, 25
	s_cbranch_scc0 .LBB174_115
; %bb.104:
	s_cmp_gt_i32 s45, 28
	s_cbranch_scc0 .LBB174_116
; %bb.105:
	;; [unrolled: 3-line block ×4, first 2 shown]
	s_mov_b64 s[42:43], 0
	s_mov_b64 s[36:37], -1
	s_cmp_eq_u32 s45, 46
	s_cbranch_scc0 .LBB174_119
; %bb.108:
	global_store_dword v[6:7], v10, off
	s_mov_b64 s[40:41], -1
	s_mov_b64 s[36:37], 0
	s_branch .LBB174_119
.LBB174_109:
	s_or_b64 exec, exec, s[34:35]
	s_mov_b64 s[0:1], 0
	s_and_saveexec_b64 s[2:3], s[30:31]
	s_cbranch_execnz .LBB174_364
.LBB174_110:
	s_or_b64 exec, exec, s[2:3]
	s_and_saveexec_b64 s[2:3], s[38:39]
	s_xor_b64 s[2:3], exec, s[2:3]
	s_cbranch_execz .LBB174_365
.LBB174_111:
	global_store_byte v[6:7], v9, off
	s_or_b64 exec, exec, s[2:3]
	s_and_saveexec_b64 s[2:3], s[40:41]
	s_xor_b64 s[2:3], exec, s[2:3]
	s_cbranch_execz .LBB174_403
	s_branch .LBB174_366
.LBB174_112:
	s_mov_b64 s[36:37], s[30:31]
	s_and_b64 vcc, exec, s[42:43]
	s_cbranch_vccnz .LBB174_164
.LBB174_113:
	s_andn2_b64 vcc, exec, s[40:41]
	s_cbranch_vccnz .LBB174_202
.LBB174_114:
	v_add_u32_e32 v22, 0x80, v22
	s_mov_b64 s[40:41], -1
	s_branch .LBB174_203
.LBB174_115:
	s_mov_b64 s[36:37], s[30:31]
	s_branch .LBB174_141
.LBB174_116:
	s_mov_b64 s[36:37], s[30:31]
	s_branch .LBB174_127
.LBB174_117:
	s_mov_b64 s[36:37], s[30:31]
	s_branch .LBB174_123
.LBB174_118:
	s_mov_b64 s[36:37], s[30:31]
.LBB174_119:
	s_and_b64 vcc, exec, s[42:43]
	s_cbranch_vccz .LBB174_122
; %bb.120:
	s_cmp_eq_u32 s45, 44
	s_mov_b64 s[36:37], -1
	s_cbranch_scc0 .LBB174_122
; %bb.121:
	v_mov_b32_e32 v2, 0xffff
	v_cndmask_b32_e64 v2, v21, v2, s[16:17]
	s_mov_b64 s[40:41], -1
	s_mov_b64 s[36:37], 0
	global_store_byte v[6:7], v2, off
.LBB174_122:
	s_mov_b64 s[42:43], 0
.LBB174_123:
	s_and_b64 vcc, exec, s[42:43]
	s_cbranch_vccz .LBB174_126
; %bb.124:
	s_cmp_eq_u32 s45, 29
	s_mov_b64 s[36:37], -1
	s_cbranch_scc0 .LBB174_126
; %bb.125:
	v_mov_b32_e32 v2, s18
	v_mov_b32_e32 v3, s19
	global_store_dwordx2 v[6:7], v[2:3], off
	s_mov_b64 s[40:41], -1
	s_mov_b64 s[36:37], 0
.LBB174_126:
	s_mov_b64 s[42:43], 0
.LBB174_127:
	s_and_b64 vcc, exec, s[42:43]
	s_cbranch_vccz .LBB174_140
; %bb.128:
	s_cmp_lt_i32 s45, 27
	s_mov_b64 s[40:41], -1
	s_cbranch_scc1 .LBB174_134
; %bb.129:
	s_cmp_gt_i32 s45, 27
	s_cbranch_scc0 .LBB174_131
; %bb.130:
	v_mov_b32_e32 v2, s18
	s_mov_b64 s[40:41], 0
	global_store_dword v[6:7], v2, off
.LBB174_131:
	s_andn2_b64 vcc, exec, s[40:41]
	s_cbranch_vccnz .LBB174_133
; %bb.132:
	v_mov_b32_e32 v2, s18
	global_store_short v[6:7], v2, off
.LBB174_133:
	s_mov_b64 s[40:41], 0
.LBB174_134:
	s_andn2_b64 vcc, exec, s[40:41]
	s_cbranch_vccnz .LBB174_139
; %bb.135:
	s_andn2_b64 vcc, exec, s[14:15]
	v_mov_b32_e32 v2, 0x80
	s_cbranch_vccnz .LBB174_138
; %bb.136:
	s_or_b64 s[40:41], s[12:13], s[28:29]
	s_andn2_b64 vcc, exec, s[40:41]
	v_mov_b32_e32 v2, 0
	s_cbranch_vccnz .LBB174_138
; %bb.137:
	v_cndmask_b32_e64 v2, v20, v19, s[12:13]
.LBB174_138:
	global_store_byte v[6:7], v2, off
.LBB174_139:
	s_mov_b64 s[40:41], -1
.LBB174_140:
	s_mov_b64 s[42:43], 0
.LBB174_141:
	s_and_b64 vcc, exec, s[42:43]
	s_cbranch_vccz .LBB174_163
; %bb.142:
	s_cmp_gt_i32 s45, 22
	s_mov_b64 s[42:43], -1
	s_cbranch_scc0 .LBB174_155
; %bb.143:
	s_cmp_lt_i32 s45, 24
	s_mov_b64 s[40:41], -1
	s_cbranch_scc1 .LBB174_152
; %bb.144:
	s_cmp_gt_i32 s45, 24
	s_cbranch_scc0 .LBB174_149
; %bb.145:
	s_andn2_b64 vcc, exec, s[10:11]
	v_mov_b32_e32 v2, 0x80
	s_cbranch_vccnz .LBB174_148
; %bb.146:
	s_or_b64 s[40:41], s[8:9], s[26:27]
	s_andn2_b64 vcc, exec, s[40:41]
	v_mov_b32_e32 v2, 0
	s_cbranch_vccnz .LBB174_148
; %bb.147:
	v_cndmask_b32_e64 v2, v15, v14, s[8:9]
.LBB174_148:
	s_mov_b64 s[40:41], 0
	global_store_byte v[6:7], v2, off
.LBB174_149:
	s_and_b64 vcc, exec, s[40:41]
	s_cbranch_vccz .LBB174_151
; %bb.150:
	v_cndmask_b32_e64 v2, v12, v13, s[6:7]
	v_cndmask_b32_e64 v2, v2, v18, s[4:5]
	global_store_byte v[6:7], v2, off
.LBB174_151:
	s_mov_b64 s[40:41], 0
.LBB174_152:
	s_andn2_b64 vcc, exec, s[40:41]
	s_cbranch_vccnz .LBB174_154
; %bb.153:
	v_cndmask_b32_e64 v2, v11, v16, s[2:3]
	v_cndmask_b32_e64 v2, v2, v17, s[0:1]
	global_store_byte v[6:7], v2, off
.LBB174_154:
	s_mov_b64 s[42:43], 0
	s_mov_b64 s[40:41], -1
.LBB174_155:
	s_andn2_b64 vcc, exec, s[42:43]
	s_cbranch_vccnz .LBB174_163
; %bb.156:
	s_cmp_gt_i32 s45, 14
	s_mov_b64 s[42:43], -1
	s_cbranch_scc0 .LBB174_160
; %bb.157:
	s_cmp_eq_u32 s45, 15
	s_mov_b64 s[36:37], -1
	s_cbranch_scc0 .LBB174_159
; %bb.158:
	global_store_short v[6:7], v10, off
	s_mov_b64 s[40:41], -1
	s_mov_b64 s[36:37], 0
.LBB174_159:
	s_mov_b64 s[42:43], 0
.LBB174_160:
	s_and_b64 vcc, exec, s[42:43]
	s_cbranch_vccz .LBB174_163
; %bb.161:
	s_cmp_eq_u32 s45, 11
	s_mov_b64 s[36:37], -1
	s_cbranch_scc0 .LBB174_163
; %bb.162:
	s_mov_b64 s[40:41], -1
	s_mov_b64 s[36:37], 0
	global_store_byte v[6:7], v9, off
.LBB174_163:
	s_branch .LBB174_113
.LBB174_164:
	s_and_b32 s42, 0xffff, s44
	s_cmp_lt_i32 s42, 5
	s_mov_b64 s[40:41], -1
	s_cbranch_scc1 .LBB174_185
; %bb.165:
	s_cmp_lt_i32 s42, 8
	s_cbranch_scc1 .LBB174_175
; %bb.166:
	s_cmp_lt_i32 s42, 9
	s_cbranch_scc1 .LBB174_172
; %bb.167:
	s_cmp_gt_i32 s42, 9
	s_cbranch_scc0 .LBB174_169
; %bb.168:
	v_mov_b32_e32 v2, 0
	v_mov_b32_e32 v3, v2
	s_mov_b64 s[40:41], 0
	global_store_dwordx4 v[6:7], v[0:3], off
.LBB174_169:
	s_andn2_b64 vcc, exec, s[40:41]
	s_cbranch_vccnz .LBB174_171
; %bb.170:
	v_mov_b32_e32 v5, 0
	global_store_dwordx2 v[6:7], v[4:5], off
.LBB174_171:
	s_mov_b64 s[40:41], 0
.LBB174_172:
	s_andn2_b64 vcc, exec, s[40:41]
	s_cbranch_vccnz .LBB174_174
; %bb.173:
	global_store_dword v[6:7], v8, off
.LBB174_174:
	s_mov_b64 s[40:41], 0
.LBB174_175:
	s_andn2_b64 vcc, exec, s[40:41]
	s_cbranch_vccnz .LBB174_184
; %bb.176:
	s_cmp_lt_i32 s42, 6
	s_mov_b64 s[40:41], -1
	s_cbranch_scc1 .LBB174_182
; %bb.177:
	s_cmp_gt_i32 s42, 6
	s_cbranch_scc0 .LBB174_179
; %bb.178:
	s_mov_b64 s[40:41], 0
	global_store_dwordx2 v[6:7], v[0:1], off
.LBB174_179:
	s_andn2_b64 vcc, exec, s[40:41]
	s_cbranch_vccnz .LBB174_181
; %bb.180:
	global_store_dword v[6:7], v4, off
.LBB174_181:
	s_mov_b64 s[40:41], 0
.LBB174_182:
	s_andn2_b64 vcc, exec, s[40:41]
	s_cbranch_vccnz .LBB174_184
; %bb.183:
	global_store_short v[6:7], v8, off
.LBB174_184:
	s_mov_b64 s[40:41], 0
.LBB174_185:
	s_andn2_b64 vcc, exec, s[40:41]
	s_cbranch_vccnz .LBB174_201
; %bb.186:
	s_cmp_lt_i32 s42, 2
	s_mov_b64 s[40:41], -1
	s_cbranch_scc1 .LBB174_196
; %bb.187:
	s_cmp_lt_i32 s42, 3
	s_cbranch_scc1 .LBB174_193
; %bb.188:
	s_cmp_gt_i32 s42, 3
	s_cbranch_scc0 .LBB174_190
; %bb.189:
	v_mov_b32_e32 v2, s18
	v_mov_b32_e32 v3, s19
	s_mov_b64 s[40:41], 0
	global_store_dwordx2 v[6:7], v[2:3], off
.LBB174_190:
	s_andn2_b64 vcc, exec, s[40:41]
	s_cbranch_vccnz .LBB174_192
; %bb.191:
	v_mov_b32_e32 v2, s18
	global_store_dword v[6:7], v2, off
.LBB174_192:
	s_mov_b64 s[40:41], 0
.LBB174_193:
	s_andn2_b64 vcc, exec, s[40:41]
	s_cbranch_vccnz .LBB174_195
; %bb.194:
	v_mov_b32_e32 v2, s18
	global_store_short v[6:7], v2, off
.LBB174_195:
	s_mov_b64 s[40:41], 0
.LBB174_196:
	s_andn2_b64 vcc, exec, s[40:41]
	s_cbranch_vccnz .LBB174_201
; %bb.197:
	s_cmp_gt_i32 s42, 0
	s_mov_b64 s[40:41], -1
	s_cbranch_scc0 .LBB174_199
; %bb.198:
	v_mov_b32_e32 v2, s18
	s_mov_b64 s[40:41], 0
	global_store_byte v[6:7], v2, off
.LBB174_199:
	s_andn2_b64 vcc, exec, s[40:41]
	s_cbranch_vccnz .LBB174_201
; %bb.200:
	v_mov_b32_e32 v2, s18
	global_store_byte v[6:7], v2, off
.LBB174_201:
	s_branch .LBB174_114
.LBB174_202:
	s_mov_b64 s[40:41], 0
                                        ; implicit-def: $vgpr22
.LBB174_203:
	s_andn2_b64 s[42:43], s[30:31], exec
	s_and_b64 s[36:37], s[36:37], exec
	s_or_b64 s[36:37], s[42:43], s[36:37]
	s_orn2_b64 s[42:43], s[40:41], exec
.LBB174_204:
	s_or_b64 exec, exec, s[38:39]
	s_mov_b64 s[44:45], 0
	s_mov_b64 s[40:41], 0
                                        ; implicit-def: $sgpr53
                                        ; implicit-def: $vgpr6_vgpr7
	s_and_saveexec_b64 s[38:39], s[42:43]
	s_cbranch_execz .LBB174_363
; %bb.205:
	v_cmp_gt_i32_e32 vcc, s48, v22
	s_mov_b64 s[46:47], -1
	s_mov_b64 s[42:43], s[36:37]
	s_and_saveexec_b64 s[40:41], vcc
	s_cbranch_execz .LBB174_306
; %bb.206:
	v_mul_lo_u32 v2, v22, s33
	v_mov_b32_e32 v3, s21
	s_and_b32 s49, s52, 0xff
	s_cmp_lt_i32 s49, 11
	v_ashrrev_i32_e32 v5, 31, v2
	v_add_co_u32_e32 v6, vcc, s20, v2
	v_addc_co_u32_e32 v7, vcc, v3, v5, vcc
	s_cbranch_scc1 .LBB174_213
; %bb.207:
	s_and_b32 s50, 0xffff, s49
	s_cmp_gt_i32 s50, 25
	s_cbranch_scc0 .LBB174_214
; %bb.208:
	s_cmp_gt_i32 s50, 28
	s_cbranch_scc0 .LBB174_215
; %bb.209:
	;; [unrolled: 3-line block ×4, first 2 shown]
	s_mov_b64 s[46:47], 0
	s_mov_b64 s[42:43], -1
	s_cmp_eq_u32 s50, 46
	s_cbranch_scc0 .LBB174_218
; %bb.212:
	global_store_dword v[6:7], v10, off
	s_mov_b64 s[44:45], -1
	s_mov_b64 s[42:43], 0
	s_branch .LBB174_218
.LBB174_213:
	s_mov_b64 s[42:43], s[36:37]
	s_branch .LBB174_263
.LBB174_214:
	s_mov_b64 s[42:43], s[36:37]
	s_branch .LBB174_240
.LBB174_215:
	s_mov_b64 s[42:43], s[36:37]
	s_branch .LBB174_226
.LBB174_216:
	s_mov_b64 s[42:43], s[36:37]
	s_branch .LBB174_222
.LBB174_217:
	s_mov_b64 s[42:43], s[36:37]
.LBB174_218:
	s_and_b64 vcc, exec, s[46:47]
	s_cbranch_vccz .LBB174_221
; %bb.219:
	s_cmp_eq_u32 s50, 44
	s_mov_b64 s[42:43], -1
	s_cbranch_scc0 .LBB174_221
; %bb.220:
	v_mov_b32_e32 v2, 0xffff
	v_cndmask_b32_e64 v2, v21, v2, s[16:17]
	s_mov_b64 s[44:45], -1
	s_mov_b64 s[42:43], 0
	global_store_byte v[6:7], v2, off
.LBB174_221:
	s_mov_b64 s[46:47], 0
.LBB174_222:
	s_and_b64 vcc, exec, s[46:47]
	s_cbranch_vccz .LBB174_225
; %bb.223:
	s_cmp_eq_u32 s50, 29
	s_mov_b64 s[42:43], -1
	s_cbranch_scc0 .LBB174_225
; %bb.224:
	v_mov_b32_e32 v2, s18
	v_mov_b32_e32 v3, s19
	global_store_dwordx2 v[6:7], v[2:3], off
	s_mov_b64 s[44:45], -1
	s_mov_b64 s[42:43], 0
.LBB174_225:
	s_mov_b64 s[46:47], 0
.LBB174_226:
	s_and_b64 vcc, exec, s[46:47]
	s_cbranch_vccz .LBB174_239
; %bb.227:
	s_cmp_lt_i32 s50, 27
	s_mov_b64 s[44:45], -1
	s_cbranch_scc1 .LBB174_233
; %bb.228:
	s_cmp_gt_i32 s50, 27
	s_cbranch_scc0 .LBB174_230
; %bb.229:
	v_mov_b32_e32 v2, s18
	s_mov_b64 s[44:45], 0
	global_store_dword v[6:7], v2, off
.LBB174_230:
	s_andn2_b64 vcc, exec, s[44:45]
	s_cbranch_vccnz .LBB174_232
; %bb.231:
	v_mov_b32_e32 v2, s18
	global_store_short v[6:7], v2, off
.LBB174_232:
	s_mov_b64 s[44:45], 0
.LBB174_233:
	s_andn2_b64 vcc, exec, s[44:45]
	s_cbranch_vccnz .LBB174_238
; %bb.234:
	s_andn2_b64 vcc, exec, s[14:15]
	v_mov_b32_e32 v2, 0x80
	s_cbranch_vccnz .LBB174_237
; %bb.235:
	s_or_b64 s[44:45], s[12:13], s[28:29]
	s_andn2_b64 vcc, exec, s[44:45]
	v_mov_b32_e32 v2, 0
	s_cbranch_vccnz .LBB174_237
; %bb.236:
	v_cndmask_b32_e64 v2, v20, v19, s[12:13]
.LBB174_237:
	global_store_byte v[6:7], v2, off
.LBB174_238:
	s_mov_b64 s[44:45], -1
.LBB174_239:
	s_mov_b64 s[46:47], 0
.LBB174_240:
	s_and_b64 vcc, exec, s[46:47]
	s_cbranch_vccz .LBB174_262
; %bb.241:
	s_cmp_gt_i32 s50, 22
	s_mov_b64 s[46:47], -1
	s_cbranch_scc0 .LBB174_254
; %bb.242:
	s_cmp_lt_i32 s50, 24
	s_mov_b64 s[44:45], -1
	s_cbranch_scc1 .LBB174_251
; %bb.243:
	s_cmp_gt_i32 s50, 24
	s_cbranch_scc0 .LBB174_248
; %bb.244:
	s_andn2_b64 vcc, exec, s[10:11]
	v_mov_b32_e32 v2, 0x80
	s_cbranch_vccnz .LBB174_247
; %bb.245:
	s_or_b64 s[44:45], s[8:9], s[26:27]
	s_andn2_b64 vcc, exec, s[44:45]
	v_mov_b32_e32 v2, 0
	s_cbranch_vccnz .LBB174_247
; %bb.246:
	v_cndmask_b32_e64 v2, v15, v14, s[8:9]
.LBB174_247:
	s_mov_b64 s[44:45], 0
	global_store_byte v[6:7], v2, off
.LBB174_248:
	s_and_b64 vcc, exec, s[44:45]
	s_cbranch_vccz .LBB174_250
; %bb.249:
	v_cndmask_b32_e64 v2, v12, v13, s[6:7]
	v_cndmask_b32_e64 v2, v2, v18, s[4:5]
	global_store_byte v[6:7], v2, off
.LBB174_250:
	s_mov_b64 s[44:45], 0
.LBB174_251:
	s_andn2_b64 vcc, exec, s[44:45]
	s_cbranch_vccnz .LBB174_253
; %bb.252:
	v_cndmask_b32_e64 v2, v11, v16, s[2:3]
	v_cndmask_b32_e64 v2, v2, v17, s[0:1]
	global_store_byte v[6:7], v2, off
.LBB174_253:
	s_mov_b64 s[46:47], 0
	s_mov_b64 s[44:45], -1
.LBB174_254:
	s_andn2_b64 vcc, exec, s[46:47]
	s_cbranch_vccnz .LBB174_262
; %bb.255:
	s_cmp_gt_i32 s50, 14
	s_mov_b64 s[46:47], -1
	s_cbranch_scc0 .LBB174_259
; %bb.256:
	s_cmp_eq_u32 s50, 15
	s_mov_b64 s[42:43], -1
	s_cbranch_scc0 .LBB174_258
; %bb.257:
	global_store_short v[6:7], v10, off
	s_mov_b64 s[44:45], -1
	s_mov_b64 s[42:43], 0
.LBB174_258:
	s_mov_b64 s[46:47], 0
.LBB174_259:
	s_and_b64 vcc, exec, s[46:47]
	s_cbranch_vccz .LBB174_262
; %bb.260:
	s_cmp_eq_u32 s50, 11
	s_mov_b64 s[42:43], -1
	s_cbranch_scc0 .LBB174_262
; %bb.261:
	s_mov_b64 s[44:45], -1
	s_mov_b64 s[42:43], 0
	global_store_byte v[6:7], v9, off
.LBB174_262:
	s_mov_b64 s[46:47], 0
.LBB174_263:
	s_and_b64 vcc, exec, s[46:47]
	s_cbranch_vccz .LBB174_302
; %bb.264:
	s_and_b32 s46, 0xffff, s49
	s_cmp_lt_i32 s46, 5
	s_mov_b64 s[44:45], -1
	s_cbranch_scc1 .LBB174_285
; %bb.265:
	s_cmp_lt_i32 s46, 8
	s_cbranch_scc1 .LBB174_275
; %bb.266:
	s_cmp_lt_i32 s46, 9
	s_cbranch_scc1 .LBB174_272
; %bb.267:
	s_cmp_gt_i32 s46, 9
	s_cbranch_scc0 .LBB174_269
; %bb.268:
	v_mov_b32_e32 v2, 0
	v_mov_b32_e32 v3, v2
	s_mov_b64 s[44:45], 0
	global_store_dwordx4 v[6:7], v[0:3], off
.LBB174_269:
	s_andn2_b64 vcc, exec, s[44:45]
	s_cbranch_vccnz .LBB174_271
; %bb.270:
	v_mov_b32_e32 v5, 0
	global_store_dwordx2 v[6:7], v[4:5], off
.LBB174_271:
	s_mov_b64 s[44:45], 0
.LBB174_272:
	s_andn2_b64 vcc, exec, s[44:45]
	s_cbranch_vccnz .LBB174_274
; %bb.273:
	global_store_dword v[6:7], v8, off
.LBB174_274:
	s_mov_b64 s[44:45], 0
.LBB174_275:
	s_andn2_b64 vcc, exec, s[44:45]
	s_cbranch_vccnz .LBB174_284
; %bb.276:
	s_cmp_lt_i32 s46, 6
	s_mov_b64 s[44:45], -1
	s_cbranch_scc1 .LBB174_282
; %bb.277:
	s_cmp_gt_i32 s46, 6
	s_cbranch_scc0 .LBB174_279
; %bb.278:
	s_mov_b64 s[44:45], 0
	global_store_dwordx2 v[6:7], v[0:1], off
.LBB174_279:
	s_andn2_b64 vcc, exec, s[44:45]
	s_cbranch_vccnz .LBB174_281
; %bb.280:
	global_store_dword v[6:7], v4, off
.LBB174_281:
	s_mov_b64 s[44:45], 0
.LBB174_282:
	s_andn2_b64 vcc, exec, s[44:45]
	s_cbranch_vccnz .LBB174_284
; %bb.283:
	global_store_short v[6:7], v8, off
.LBB174_284:
	s_mov_b64 s[44:45], 0
.LBB174_285:
	s_andn2_b64 vcc, exec, s[44:45]
	s_cbranch_vccnz .LBB174_301
; %bb.286:
	s_cmp_lt_i32 s46, 2
	s_mov_b64 s[44:45], -1
	s_cbranch_scc1 .LBB174_296
; %bb.287:
	s_cmp_lt_i32 s46, 3
	s_cbranch_scc1 .LBB174_293
; %bb.288:
	s_cmp_gt_i32 s46, 3
	s_cbranch_scc0 .LBB174_290
; %bb.289:
	v_mov_b32_e32 v2, s18
	v_mov_b32_e32 v3, s19
	s_mov_b64 s[44:45], 0
	global_store_dwordx2 v[6:7], v[2:3], off
.LBB174_290:
	s_andn2_b64 vcc, exec, s[44:45]
	s_cbranch_vccnz .LBB174_292
; %bb.291:
	v_mov_b32_e32 v2, s18
	global_store_dword v[6:7], v2, off
.LBB174_292:
	s_mov_b64 s[44:45], 0
.LBB174_293:
	s_andn2_b64 vcc, exec, s[44:45]
	s_cbranch_vccnz .LBB174_295
; %bb.294:
	v_mov_b32_e32 v2, s18
	global_store_short v[6:7], v2, off
.LBB174_295:
	s_mov_b64 s[44:45], 0
.LBB174_296:
	s_andn2_b64 vcc, exec, s[44:45]
	s_cbranch_vccnz .LBB174_301
; %bb.297:
	s_cmp_gt_i32 s46, 0
	s_mov_b64 s[44:45], -1
	s_cbranch_scc0 .LBB174_299
; %bb.298:
	v_mov_b32_e32 v2, s18
	s_mov_b64 s[44:45], 0
	global_store_byte v[6:7], v2, off
.LBB174_299:
	s_andn2_b64 vcc, exec, s[44:45]
	s_cbranch_vccnz .LBB174_301
; %bb.300:
	v_mov_b32_e32 v2, s18
	global_store_byte v[6:7], v2, off
.LBB174_301:
	s_mov_b64 s[44:45], -1
.LBB174_302:
	s_andn2_b64 vcc, exec, s[44:45]
	s_cbranch_vccnz .LBB174_304
; %bb.303:
	v_add_u32_e32 v22, 0x80, v22
	s_mov_b64 s[44:45], -1
	s_branch .LBB174_305
.LBB174_304:
	s_mov_b64 s[44:45], 0
                                        ; implicit-def: $vgpr22
.LBB174_305:
	s_andn2_b64 s[46:47], s[36:37], exec
	s_and_b64 s[42:43], s[42:43], exec
	s_or_b64 s[42:43], s[46:47], s[42:43]
	s_orn2_b64 s[46:47], s[44:45], exec
.LBB174_306:
	s_or_b64 exec, exec, s[40:41]
	s_mov_b64 s[44:45], 0
	s_mov_b64 s[50:51], 0
                                        ; implicit-def: $sgpr53
                                        ; implicit-def: $vgpr6_vgpr7
	s_and_saveexec_b64 s[40:41], s[46:47]
	s_cbranch_execz .LBB174_362
; %bb.307:
	v_cmp_gt_i32_e32 vcc, s48, v22
	s_mov_b64 s[48:49], 0
	s_mov_b64 s[46:47], s[42:43]
                                        ; implicit-def: $sgpr53
                                        ; implicit-def: $vgpr6_vgpr7
	s_and_saveexec_b64 s[44:45], vcc
	s_cbranch_execz .LBB174_361
; %bb.308:
	v_mul_lo_u32 v2, v22, s33
	v_mov_b32_e32 v3, s21
	s_and_b32 s53, s52, 0xff
	s_cmp_lt_i32 s53, 11
	v_ashrrev_i32_e32 v5, 31, v2
	v_add_co_u32_e32 v6, vcc, s20, v2
	v_addc_co_u32_e32 v7, vcc, v3, v5, vcc
	s_cbranch_scc1 .LBB174_358
; %bb.309:
	s_and_b32 s50, 0xffff, s53
	s_mov_b64 s[48:49], -1
	s_cmp_gt_i32 s50, 25
	s_mov_b64 s[46:47], s[42:43]
	s_cbranch_scc0 .LBB174_337
; %bb.310:
	s_cmp_gt_i32 s50, 28
	s_mov_b64 s[46:47], s[42:43]
	s_cbranch_scc0 .LBB174_324
; %bb.311:
	;; [unrolled: 4-line block ×4, first 2 shown]
	s_cmp_eq_u32 s50, 46
	s_mov_b64 s[46:47], -1
	s_cbranch_scc0 .LBB174_315
; %bb.314:
	global_store_dword v[6:7], v10, off
	s_mov_b64 s[46:47], 0
.LBB174_315:
	s_mov_b64 s[48:49], 0
.LBB174_316:
	s_and_b64 vcc, exec, s[48:49]
	s_cbranch_vccz .LBB174_319
; %bb.317:
	s_cmp_eq_u32 s50, 44
	s_mov_b64 s[46:47], -1
	s_cbranch_scc0 .LBB174_319
; %bb.318:
	v_mov_b32_e32 v2, 0xffff
	v_cndmask_b32_e64 v2, v21, v2, s[16:17]
	global_store_byte v[6:7], v2, off
	s_mov_b64 s[46:47], 0
.LBB174_319:
	s_mov_b64 s[48:49], 0
.LBB174_320:
	s_and_b64 vcc, exec, s[48:49]
	s_cbranch_vccz .LBB174_323
; %bb.321:
	s_cmp_eq_u32 s50, 29
	s_mov_b64 s[46:47], -1
	s_cbranch_scc0 .LBB174_323
; %bb.322:
	v_mov_b32_e32 v2, s18
	v_mov_b32_e32 v3, s19
	global_store_dwordx2 v[6:7], v[2:3], off
	s_mov_b64 s[46:47], 0
.LBB174_323:
	s_mov_b64 s[48:49], 0
.LBB174_324:
	s_and_b64 vcc, exec, s[48:49]
	s_cbranch_vccz .LBB174_336
; %bb.325:
	s_cmp_lt_i32 s50, 27
	s_mov_b64 s[16:17], -1
	s_cbranch_scc1 .LBB174_331
; %bb.326:
	s_cmp_gt_i32 s50, 27
	s_cbranch_scc0 .LBB174_328
; %bb.327:
	v_mov_b32_e32 v2, s18
	s_mov_b64 s[16:17], 0
	global_store_dword v[6:7], v2, off
.LBB174_328:
	s_andn2_b64 vcc, exec, s[16:17]
	s_cbranch_vccnz .LBB174_330
; %bb.329:
	v_mov_b32_e32 v2, s18
	global_store_short v[6:7], v2, off
.LBB174_330:
	s_mov_b64 s[16:17], 0
.LBB174_331:
	s_andn2_b64 vcc, exec, s[16:17]
	s_cbranch_vccnz .LBB174_336
; %bb.332:
	s_andn2_b64 vcc, exec, s[14:15]
	v_mov_b32_e32 v2, 0x80
	s_cbranch_vccnz .LBB174_335
; %bb.333:
	s_or_b64 s[14:15], s[12:13], s[28:29]
	s_andn2_b64 vcc, exec, s[14:15]
	v_mov_b32_e32 v2, 0
	s_cbranch_vccnz .LBB174_335
; %bb.334:
	v_cndmask_b32_e64 v2, v20, v19, s[12:13]
.LBB174_335:
	global_store_byte v[6:7], v2, off
.LBB174_336:
	s_mov_b64 s[48:49], 0
.LBB174_337:
	s_mov_b64 s[12:13], 0
	s_and_b64 vcc, exec, s[48:49]
	s_cbranch_vccz .LBB174_359
; %bb.338:
	s_cmp_gt_i32 s50, 22
	s_mov_b64 s[14:15], -1
	s_cbranch_scc0 .LBB174_351
; %bb.339:
	s_cmp_lt_i32 s50, 24
	s_cbranch_scc1 .LBB174_348
; %bb.340:
	s_cmp_gt_i32 s50, 24
	s_cbranch_scc0 .LBB174_345
; %bb.341:
	s_andn2_b64 vcc, exec, s[10:11]
	v_mov_b32_e32 v2, 0x80
	s_cbranch_vccnz .LBB174_344
; %bb.342:
	s_or_b64 s[10:11], s[8:9], s[26:27]
	s_andn2_b64 vcc, exec, s[10:11]
	v_mov_b32_e32 v2, 0
	s_cbranch_vccnz .LBB174_344
; %bb.343:
	v_cndmask_b32_e64 v2, v15, v14, s[8:9]
.LBB174_344:
	s_mov_b64 s[14:15], 0
	global_store_byte v[6:7], v2, off
.LBB174_345:
	s_and_b64 vcc, exec, s[14:15]
	s_cbranch_vccz .LBB174_347
; %bb.346:
	v_cndmask_b32_e64 v2, v12, v13, s[6:7]
	v_cndmask_b32_e64 v2, v2, v18, s[4:5]
	global_store_byte v[6:7], v2, off
.LBB174_347:
	s_mov_b64 s[14:15], 0
.LBB174_348:
	s_andn2_b64 vcc, exec, s[14:15]
	s_cbranch_vccnz .LBB174_350
; %bb.349:
	v_cndmask_b32_e64 v2, v11, v16, s[2:3]
	v_cndmask_b32_e64 v2, v2, v17, s[0:1]
	global_store_byte v[6:7], v2, off
.LBB174_350:
	s_mov_b64 s[14:15], 0
.LBB174_351:
	s_andn2_b64 vcc, exec, s[14:15]
	s_mov_b64 s[0:1], 0
	s_cbranch_vccnz .LBB174_360
; %bb.352:
	s_cmp_gt_i32 s50, 14
	s_mov_b64 s[2:3], -1
	s_cbranch_scc0 .LBB174_356
; %bb.353:
	s_cmp_eq_u32 s50, 15
	s_mov_b64 s[46:47], -1
	s_cbranch_scc0 .LBB174_355
; %bb.354:
	global_store_short v[6:7], v10, off
	s_mov_b64 s[46:47], 0
.LBB174_355:
	s_mov_b64 s[2:3], 0
.LBB174_356:
	s_and_b64 vcc, exec, s[2:3]
	s_cbranch_vccz .LBB174_360
; %bb.357:
	s_cmp_lg_u32 s50, 11
	s_cselect_b64 s[2:3], -1, 0
	s_andn2_b64 s[4:5], s[46:47], exec
	s_and_b64 s[2:3], s[2:3], exec
	s_mov_b64 s[0:1], -1
	s_or_b64 s[46:47], s[4:5], s[2:3]
	s_branch .LBB174_360
.LBB174_358:
	s_mov_b64 s[0:1], 0
	s_mov_b64 s[12:13], -1
	s_mov_b64 s[46:47], s[42:43]
	s_branch .LBB174_360
.LBB174_359:
	s_mov_b64 s[0:1], 0
.LBB174_360:
	s_and_b64 s[48:49], s[0:1], exec
	s_andn2_b64 s[0:1], s[42:43], exec
	s_and_b64 s[2:3], s[46:47], exec
	s_and_b64 s[50:51], s[12:13], exec
	s_or_b64 s[46:47], s[0:1], s[2:3]
.LBB174_361:
	s_or_b64 exec, exec, s[44:45]
	s_andn2_b64 s[0:1], s[42:43], exec
	s_and_b64 s[2:3], s[46:47], exec
	s_and_b64 s[50:51], s[50:51], exec
	;; [unrolled: 1-line block ×3, first 2 shown]
	s_or_b64 s[42:43], s[0:1], s[2:3]
.LBB174_362:
	s_or_b64 exec, exec, s[40:41]
	s_andn2_b64 s[0:1], s[36:37], exec
	s_and_b64 s[2:3], s[42:43], exec
	s_and_b64 s[40:41], s[50:51], exec
	;; [unrolled: 1-line block ×3, first 2 shown]
	s_or_b64 s[36:37], s[0:1], s[2:3]
.LBB174_363:
	s_or_b64 exec, exec, s[38:39]
	s_andn2_b64 s[0:1], s[30:31], exec
	s_and_b64 s[2:3], s[36:37], exec
	s_and_b64 s[40:41], s[40:41], exec
	;; [unrolled: 1-line block ×3, first 2 shown]
	s_or_b64 s[30:31], s[0:1], s[2:3]
	s_or_b64 exec, exec, s[34:35]
	s_mov_b64 s[0:1], 0
	s_and_saveexec_b64 s[2:3], s[30:31]
	s_cbranch_execz .LBB174_110
.LBB174_364:
	s_mov_b64 s[0:1], exec
	s_andn2_b64 s[38:39], s[38:39], exec
	s_trap 2
	s_or_b64 exec, exec, s[2:3]
	s_and_saveexec_b64 s[2:3], s[38:39]
	s_xor_b64 s[2:3], exec, s[2:3]
	s_cbranch_execnz .LBB174_111
.LBB174_365:
	s_or_b64 exec, exec, s[2:3]
	s_and_saveexec_b64 s[2:3], s[40:41]
	s_xor_b64 s[2:3], exec, s[2:3]
	s_cbranch_execz .LBB174_403
.LBB174_366:
	s_sext_i32_i16 s6, s53
	s_cmp_lt_i32 s6, 5
	s_mov_b64 s[4:5], -1
	s_cbranch_scc1 .LBB174_387
; %bb.367:
	s_cmp_lt_i32 s6, 8
	s_cbranch_scc1 .LBB174_377
; %bb.368:
	s_cmp_lt_i32 s6, 9
	s_cbranch_scc1 .LBB174_374
; %bb.369:
	s_cmp_gt_i32 s6, 9
	s_cbranch_scc0 .LBB174_371
; %bb.370:
	v_mov_b32_e32 v2, 0
	v_mov_b32_e32 v3, v2
	s_mov_b64 s[4:5], 0
	global_store_dwordx4 v[6:7], v[0:3], off
.LBB174_371:
	s_andn2_b64 vcc, exec, s[4:5]
	s_cbranch_vccnz .LBB174_373
; %bb.372:
	v_mov_b32_e32 v5, 0
	global_store_dwordx2 v[6:7], v[4:5], off
.LBB174_373:
	s_mov_b64 s[4:5], 0
.LBB174_374:
	s_andn2_b64 vcc, exec, s[4:5]
	s_cbranch_vccnz .LBB174_376
; %bb.375:
	global_store_dword v[6:7], v8, off
.LBB174_376:
	s_mov_b64 s[4:5], 0
.LBB174_377:
	s_andn2_b64 vcc, exec, s[4:5]
	s_cbranch_vccnz .LBB174_386
; %bb.378:
	s_sext_i32_i16 s6, s53
	s_cmp_lt_i32 s6, 6
	s_mov_b64 s[4:5], -1
	s_cbranch_scc1 .LBB174_384
; %bb.379:
	s_cmp_gt_i32 s6, 6
	s_cbranch_scc0 .LBB174_381
; %bb.380:
	s_mov_b64 s[4:5], 0
	global_store_dwordx2 v[6:7], v[0:1], off
.LBB174_381:
	s_andn2_b64 vcc, exec, s[4:5]
	s_cbranch_vccnz .LBB174_383
; %bb.382:
	global_store_dword v[6:7], v4, off
.LBB174_383:
	s_mov_b64 s[4:5], 0
.LBB174_384:
	s_andn2_b64 vcc, exec, s[4:5]
	s_cbranch_vccnz .LBB174_386
; %bb.385:
	global_store_short v[6:7], v8, off
.LBB174_386:
	s_mov_b64 s[4:5], 0
.LBB174_387:
	s_andn2_b64 vcc, exec, s[4:5]
	s_cbranch_vccnz .LBB174_403
; %bb.388:
	s_sext_i32_i16 s6, s53
	s_cmp_lt_i32 s6, 2
	s_mov_b64 s[4:5], -1
	s_cbranch_scc1 .LBB174_398
; %bb.389:
	s_cmp_lt_i32 s6, 3
	s_cbranch_scc1 .LBB174_395
; %bb.390:
	s_cmp_gt_i32 s6, 3
	s_cbranch_scc0 .LBB174_392
; %bb.391:
	v_mov_b32_e32 v0, s18
	v_mov_b32_e32 v1, s19
	s_mov_b64 s[4:5], 0
	global_store_dwordx2 v[6:7], v[0:1], off
.LBB174_392:
	s_andn2_b64 vcc, exec, s[4:5]
	s_cbranch_vccnz .LBB174_394
; %bb.393:
	v_mov_b32_e32 v0, s18
	global_store_dword v[6:7], v0, off
.LBB174_394:
	s_mov_b64 s[4:5], 0
.LBB174_395:
	s_andn2_b64 vcc, exec, s[4:5]
	s_cbranch_vccnz .LBB174_397
; %bb.396:
	v_mov_b32_e32 v0, s18
	global_store_short v[6:7], v0, off
.LBB174_397:
	s_mov_b64 s[4:5], 0
.LBB174_398:
	s_andn2_b64 vcc, exec, s[4:5]
	s_cbranch_vccnz .LBB174_403
; %bb.399:
	s_sext_i32_i16 s4, s53
	s_cmp_gt_i32 s4, 0
	s_mov_b64 s[4:5], -1
	s_cbranch_scc0 .LBB174_401
; %bb.400:
	v_mov_b32_e32 v0, s18
	s_mov_b64 s[4:5], 0
	global_store_byte v[6:7], v0, off
.LBB174_401:
	s_andn2_b64 vcc, exec, s[4:5]
	s_cbranch_vccnz .LBB174_403
; %bb.402:
	v_mov_b32_e32 v0, s18
	global_store_byte v[6:7], v0, off
.LBB174_403:
	s_or_b64 exec, exec, s[2:3]
	s_and_b64 s[0:1], s[0:1], exec
                                        ; implicit-def: $vgpr22
.LBB174_404:
	s_or_saveexec_b64 s[2:3], s[24:25]
	s_mov_b64 s[6:7], 0
                                        ; implicit-def: $sgpr14
                                        ; implicit-def: $vgpr0_vgpr1
	s_xor_b64 exec, exec, s[2:3]
	s_cbranch_execz .LBB174_433
; %bb.405:
	v_mul_lo_u32 v2, s33, v22
	v_mov_b32_e32 v1, s21
	s_and_b32 s14, s52, 0xff
	s_cmp_lt_i32 s14, 11
	v_ashrrev_i32_e32 v3, 31, v2
	v_add_co_u32_e32 v0, vcc, s20, v2
	v_addc_co_u32_e32 v1, vcc, v1, v3, vcc
	s_cbranch_scc1 .LBB174_436
; %bb.406:
	s_and_b32 s12, 0xffff, s14
	s_mov_b64 s[10:11], -1
	s_cmp_gt_i32 s12, 25
	s_mov_b64 s[8:9], 0
	s_mov_b64 s[4:5], 0
	s_cbranch_scc0 .LBB174_446
; %bb.407:
	s_cmp_gt_i32 s12, 28
	s_cbranch_scc0 .LBB174_422
; %bb.408:
	s_cmp_gt_i32 s12, 43
	;; [unrolled: 3-line block ×3, first 2 shown]
	s_cbranch_scc0 .LBB174_412
; %bb.410:
	s_mov_b64 s[4:5], -1
	s_mov_b64 s[10:11], 0
	s_cmp_eq_u32 s12, 46
	s_cbranch_scc0 .LBB174_412
; %bb.411:
	s_flbit_i32_b32 s4, s19
	s_min_u32 s8, s4, 32
	s_lshl_b64 s[4:5], s[18:19], s8
	s_min_u32 s4, s4, 1
	s_or_b32 s4, s5, s4
	v_cvt_f32_u32_e32 v3, s4
	s_sub_i32 s8, 32, s8
	s_mov_b64 s[4:5], 0
	v_ldexp_f32 v3, v3, s8
	v_bfe_u32 v4, v3, 16, 1
	v_add_u32_e32 v3, v3, v4
	v_add_u32_e32 v3, 0x7fff, v3
	v_lshrrev_b32_e32 v3, 16, v3
	global_store_dword v[0:1], v3, off
	s_mov_b64 s[8:9], -1
.LBB174_412:
	s_and_b64 vcc, exec, s[10:11]
	s_cbranch_vccz .LBB174_417
; %bb.413:
	s_cmp_eq_u32 s12, 44
	s_mov_b64 s[4:5], -1
	s_cbranch_scc0 .LBB174_417
; %bb.414:
	s_flbit_i32_b32 s4, s19
	s_min_u32 s8, s4, 32
	s_lshl_b64 s[4:5], s[18:19], s8
	s_min_u32 s4, s4, 1
	s_or_b32 s4, s5, s4
	v_cvt_f32_u32_e32 v3, s4
	s_sub_i32 s4, 32, s8
	v_ldexp_f32 v3, v3, s4
	v_readfirstlane_b32 s5, v3
	s_lshr_b32 s4, s5, 23
	s_cmpk_eq_i32 s4, 0xff
	v_mov_b32_e32 v3, 0xff
	s_cbranch_scc1 .LBB174_416
; %bb.415:
	s_bitcmp1_b32 s5, 22
	s_cselect_b64 s[8:9], -1, 0
	s_and_b32 s5, s5, 0x3fffff
	s_or_b32 s5, s4, s5
	s_cmp_lg_u32 s5, 0
	s_cselect_b64 s[10:11], -1, 0
	s_and_b64 s[8:9], s[8:9], s[10:11]
	v_cndmask_b32_e64 v3, 0, 1, s[8:9]
	v_add_u32_e32 v3, s4, v3
.LBB174_416:
	s_mov_b64 s[4:5], 0
	s_mov_b64 s[8:9], -1
	global_store_byte v[0:1], v3, off
.LBB174_417:
	s_mov_b64 s[10:11], 0
.LBB174_418:
	s_and_b64 vcc, exec, s[10:11]
	s_cbranch_vccz .LBB174_421
; %bb.419:
	s_cmp_eq_u32 s12, 29
	s_mov_b64 s[4:5], -1
	s_cbranch_scc0 .LBB174_421
; %bb.420:
	v_mov_b32_e32 v3, s18
	v_mov_b32_e32 v4, s19
	global_store_dwordx2 v[0:1], v[3:4], off
	s_mov_b64 s[4:5], 0
	s_mov_b64 s[8:9], -1
.LBB174_421:
	s_mov_b64 s[10:11], 0
.LBB174_422:
	s_and_b64 vcc, exec, s[10:11]
	s_cbranch_vccz .LBB174_445
; %bb.423:
	s_cmp_lt_i32 s12, 27
	s_mov_b64 s[8:9], -1
	s_cbranch_scc1 .LBB174_429
; %bb.424:
	s_cmp_gt_i32 s12, 27
	s_cbranch_scc0 .LBB174_426
; %bb.425:
	v_mov_b32_e32 v3, s18
	s_mov_b64 s[8:9], 0
	global_store_dword v[0:1], v3, off
.LBB174_426:
	s_andn2_b64 vcc, exec, s[8:9]
	s_cbranch_vccnz .LBB174_428
; %bb.427:
	v_mov_b32_e32 v3, s18
	global_store_short v[0:1], v3, off
.LBB174_428:
	s_mov_b64 s[8:9], 0
.LBB174_429:
	s_andn2_b64 vcc, exec, s[8:9]
	s_cbranch_vccnz .LBB174_444
; %bb.430:
	s_flbit_i32_b32 s8, s19
	s_min_u32 s10, s8, 32
	s_lshl_b64 s[8:9], s[18:19], s10
	s_min_u32 s8, s8, 1
	s_or_b32 s8, s9, s8
	v_cvt_f32_u32_e32 v3, s8
	s_sub_i32 s8, 32, s10
	s_mov_b32 s9, 0x437fffff
	v_mov_b32_e32 v5, 0x80
	v_ldexp_f32 v3, v3, s8
	v_cmp_lt_u32_e32 vcc, s9, v3
	v_readfirstlane_b32 s8, v3
	s_cbranch_vccnz .LBB174_443
; %bb.431:
	s_cmp_gt_u32 s8, 0x3bffffff
	s_cbranch_scc0 .LBB174_438
; %bb.432:
	s_bfe_u32 s9, s8, 0x10014
	s_add_i32 s8, s8, s9
	s_add_i32 s8, s8, 0x487ffff
	s_lshr_b32 s13, s8, 20
	s_mov_b64 s[10:11], 0
	s_mov_b64 s[8:9], -1
	s_branch .LBB174_439
.LBB174_433:
	s_or_b64 exec, exec, s[2:3]
	s_and_saveexec_b64 s[2:3], s[0:1]
	s_cbranch_execz .LBB174_834
.LBB174_434:
	; divergent unreachable
	s_or_b64 exec, exec, s[2:3]
	s_and_saveexec_b64 s[0:1], s[22:23]
	s_xor_b64 s[0:1], exec, s[0:1]
	s_cbranch_execnz .LBB174_835
.LBB174_435:
	s_or_b64 exec, exec, s[0:1]
	s_and_saveexec_b64 s[0:1], s[6:7]
	s_cbranch_execnz .LBB174_836
	s_branch .LBB174_873
.LBB174_436:
	s_mov_b64 s[8:9], 0
	s_mov_b64 s[4:5], s[0:1]
	s_cbranch_execnz .LBB174_496
.LBB174_437:
	s_andn2_b64 vcc, exec, s[8:9]
	s_cbranch_vccz .LBB174_534
	s_branch .LBB174_832
.LBB174_438:
	s_mov_b64 s[10:11], -1
	s_mov_b64 s[8:9], 0
                                        ; implicit-def: $sgpr13
.LBB174_439:
	s_andn2_b64 vcc, exec, s[10:11]
	v_mov_b32_e32 v4, s13
	s_cbranch_vccnz .LBB174_441
; %bb.440:
	v_add_f32_e32 v3, 0x46000000, v3
	v_and_b32_e32 v4, 0xff, v3
	v_cmp_ne_u32_e64 s[8:9], 0, v4
.LBB174_441:
	s_andn2_b64 vcc, exec, s[8:9]
	v_mov_b32_e32 v5, 0
	s_cbranch_vccnz .LBB174_443
; %bb.442:
	v_mov_b32_e32 v5, v4
.LBB174_443:
	global_store_byte v[0:1], v5, off
.LBB174_444:
	s_mov_b64 s[8:9], -1
.LBB174_445:
	s_mov_b64 s[10:11], 0
.LBB174_446:
	s_and_b64 vcc, exec, s[10:11]
	s_cbranch_vccz .LBB174_492
; %bb.447:
	s_cmp_gt_i32 s12, 22
	s_mov_b64 s[6:7], -1
	s_cbranch_scc0 .LBB174_485
; %bb.448:
	s_cmp_lt_i32 s12, 24
	s_cbranch_scc1 .LBB174_472
; %bb.449:
	s_cmp_gt_i32 s12, 24
	s_cbranch_scc0 .LBB174_459
; %bb.450:
	s_flbit_i32_b32 s6, s19
	s_min_u32 s8, s6, 32
	s_lshl_b64 s[6:7], s[18:19], s8
	s_min_u32 s6, s6, 1
	s_or_b32 s6, s7, s6
	v_cvt_f32_u32_e32 v3, s6
	s_sub_i32 s6, 32, s8
	s_mov_b32 s7, 0x477fffff
	v_mov_b32_e32 v5, 0x80
	v_ldexp_f32 v3, v3, s6
	v_cmp_lt_u32_e32 vcc, s7, v3
	v_readfirstlane_b32 s6, v3
	s_cbranch_vccnz .LBB174_458
; %bb.451:
	s_cmp_gt_u32 s6, 0x37ffffff
	s_cbranch_scc0 .LBB174_453
; %bb.452:
	s_bfe_u32 s7, s6, 0x10015
	s_add_i32 s6, s6, s7
	s_add_i32 s6, s6, 0x88fffff
	s_lshr_b32 s10, s6, 21
	s_mov_b64 s[8:9], 0
	s_mov_b64 s[6:7], -1
	s_branch .LBB174_454
.LBB174_453:
	s_mov_b64 s[8:9], -1
	s_mov_b64 s[6:7], 0
                                        ; implicit-def: $sgpr10
.LBB174_454:
	s_andn2_b64 vcc, exec, s[8:9]
	v_mov_b32_e32 v4, s10
	s_cbranch_vccnz .LBB174_456
; %bb.455:
	v_add_f32_e32 v3, 0x42800000, v3
	v_and_b32_e32 v4, 0xff, v3
	v_cmp_ne_u32_e64 s[6:7], 0, v4
.LBB174_456:
	s_andn2_b64 vcc, exec, s[6:7]
	v_mov_b32_e32 v5, 0
	s_cbranch_vccnz .LBB174_458
; %bb.457:
	v_mov_b32_e32 v5, v4
.LBB174_458:
	s_mov_b64 s[6:7], 0
	global_store_byte v[0:1], v5, off
.LBB174_459:
	s_and_b64 vcc, exec, s[6:7]
	s_cbranch_vccz .LBB174_471
; %bb.460:
	s_flbit_i32_b32 s6, s19
	s_min_u32 s8, s6, 32
	s_lshl_b64 s[6:7], s[18:19], s8
	s_min_u32 s6, s6, 1
	s_or_b32 s6, s7, s6
	v_cvt_f32_u32_e32 v3, s6
	s_sub_i32 s6, 32, s8
	v_ldexp_f32 v3, v3, s6
	s_mov_b32 s6, 0x43f00000
	v_cmp_gt_u32_e32 vcc, s6, v3
	v_readfirstlane_b32 s8, v3
	s_cbranch_vccz .LBB174_463
; %bb.461:
	s_cmp_gt_u32 s8, 0x3c7fffff
	s_cbranch_scc0 .LBB174_464
; %bb.462:
	s_bfe_u32 s6, s8, 0x10014
	s_add_i32 s6, s8, s6
	s_add_i32 s6, s6, 0x407ffff
	s_lshr_b32 s7, s6, 20
	s_and_b32 s6, s6, 0xff00000
	s_cmp_lg_u32 s6, 0x7f00000
	s_cselect_b32 s9, s7, 0x7e
	s_mov_b64 s[6:7], 0
	s_branch .LBB174_465
.LBB174_463:
	s_mov_b64 s[6:7], -1
                                        ; implicit-def: $vgpr4
	s_branch .LBB174_468
.LBB174_464:
	s_mov_b64 s[6:7], -1
                                        ; implicit-def: $sgpr9
.LBB174_465:
	s_andn2_b64 vcc, exec, s[6:7]
	v_mov_b32_e32 v4, s9
	s_cbranch_vccnz .LBB174_467
; %bb.466:
	v_add_f32_e32 v4, 0x46800000, v3
.LBB174_467:
	s_mov_b64 s[6:7], 0
.LBB174_468:
	s_andn2_b64 vcc, exec, s[6:7]
	s_cbranch_vccnz .LBB174_470
; %bb.469:
	s_cmp_gt_u32 s8, 0x7f800000
	s_movk_i32 s6, 0x7f
	s_cselect_b32 s6, s6, 0x7e
	v_mov_b32_e32 v4, s6
.LBB174_470:
	global_store_byte v[0:1], v4, off
.LBB174_471:
	s_mov_b64 s[6:7], 0
.LBB174_472:
	s_andn2_b64 vcc, exec, s[6:7]
	s_cbranch_vccnz .LBB174_484
; %bb.473:
	s_flbit_i32_b32 s6, s19
	s_min_u32 s8, s6, 32
	s_lshl_b64 s[6:7], s[18:19], s8
	s_min_u32 s6, s6, 1
	s_or_b32 s6, s7, s6
	v_cvt_f32_u32_e32 v3, s6
	s_sub_i32 s6, 32, s8
	v_ldexp_f32 v3, v3, s6
	s_mov_b32 s6, 0x47800000
	v_cmp_gt_u32_e32 vcc, s6, v3
	v_readfirstlane_b32 s8, v3
	s_cbranch_vccz .LBB174_476
; %bb.474:
	s_cmp_gt_u32 s8, 0x387fffff
	s_cbranch_scc0 .LBB174_477
; %bb.475:
	s_bfe_u32 s6, s8, 0x10015
	s_add_i32 s6, s8, s6
	s_add_i32 s6, s6, 0x80fffff
	s_lshr_b32 s9, s6, 21
	s_mov_b64 s[6:7], 0
	s_branch .LBB174_478
.LBB174_476:
	s_mov_b64 s[6:7], -1
                                        ; implicit-def: $vgpr4
	s_branch .LBB174_481
.LBB174_477:
	s_mov_b64 s[6:7], -1
                                        ; implicit-def: $sgpr9
.LBB174_478:
	s_andn2_b64 vcc, exec, s[6:7]
	v_mov_b32_e32 v4, s9
	s_cbranch_vccnz .LBB174_480
; %bb.479:
	v_add_f32_e32 v4, 0x43000000, v3
.LBB174_480:
	s_mov_b64 s[6:7], 0
.LBB174_481:
	s_andn2_b64 vcc, exec, s[6:7]
	s_cbranch_vccnz .LBB174_483
; %bb.482:
	s_cmp_gt_u32 s8, 0x7f800000
	s_movk_i32 s6, 0x7f
	s_cselect_b32 s6, s6, 0x7c
	v_mov_b32_e32 v4, s6
.LBB174_483:
	global_store_byte v[0:1], v4, off
.LBB174_484:
	s_mov_b64 s[6:7], 0
	s_mov_b64 s[8:9], -1
.LBB174_485:
	s_andn2_b64 vcc, exec, s[6:7]
	s_mov_b64 s[6:7], 0
	s_cbranch_vccnz .LBB174_492
; %bb.486:
	s_cmp_gt_i32 s12, 14
	s_mov_b64 s[10:11], -1
	s_cbranch_scc0 .LBB174_490
; %bb.487:
	s_cmp_eq_u32 s12, 15
	s_mov_b64 s[4:5], -1
	s_cbranch_scc0 .LBB174_489
; %bb.488:
	s_flbit_i32_b32 s4, s19
	s_min_u32 s6, s4, 32
	s_lshl_b64 s[4:5], s[18:19], s6
	s_min_u32 s4, s4, 1
	s_or_b32 s4, s5, s4
	v_cvt_f32_u32_e32 v3, s4
	s_sub_i32 s6, 32, s6
	s_mov_b64 s[4:5], 0
	s_mov_b64 s[8:9], -1
	v_ldexp_f32 v3, v3, s6
	v_bfe_u32 v4, v3, 16, 1
	v_add_u32_e32 v3, v3, v4
	v_add_u32_e32 v3, 0x7fff, v3
	global_store_short_d16_hi v[0:1], v3, off
.LBB174_489:
	s_mov_b64 s[10:11], 0
.LBB174_490:
	s_mov_b64 s[6:7], 0
	s_and_b64 vcc, exec, s[10:11]
	s_cbranch_vccz .LBB174_492
; %bb.491:
	s_cmp_lg_u32 s12, 11
	s_mov_b64 s[6:7], -1
	s_cselect_b64 s[4:5], -1, 0
.LBB174_492:
	s_and_b64 vcc, exec, s[4:5]
	s_mov_b64 s[4:5], s[0:1]
	s_cbranch_vccnz .LBB174_564
; %bb.493:
	s_andn2_b64 vcc, exec, s[6:7]
	s_cbranch_vccnz .LBB174_495
.LBB174_494:
	s_cmp_lg_u64 s[18:19], 0
	s_cselect_b64 s[6:7], -1, 0
	v_cndmask_b32_e64 v3, 0, 1, s[6:7]
	s_mov_b64 s[8:9], -1
	global_store_byte v[0:1], v3, off
.LBB174_495:
	s_branch .LBB174_437
.LBB174_496:
	s_and_b32 s8, 0xffff, s14
	s_cmp_lt_i32 s8, 5
	s_mov_b64 s[6:7], -1
	s_cbranch_scc1 .LBB174_517
; %bb.497:
	s_cmp_lt_i32 s8, 8
	s_cbranch_scc1 .LBB174_507
; %bb.498:
	s_cmp_lt_i32 s8, 9
	s_cbranch_scc1 .LBB174_504
; %bb.499:
	s_cmp_gt_i32 s8, 9
	s_cbranch_scc0 .LBB174_501
; %bb.500:
	v_cvt_f64_u32_e32 v[3:4], s19
	v_cvt_f64_u32_e32 v[5:6], s18
	s_mov_b64 s[6:7], 0
	v_ldexp_f64 v[3:4], v[3:4], 32
	v_add_f64 v[3:4], v[3:4], v[5:6]
	v_mov_b32_e32 v5, 0
	v_mov_b32_e32 v6, v5
	global_store_dwordx4 v[0:1], v[3:6], off
.LBB174_501:
	s_andn2_b64 vcc, exec, s[6:7]
	s_cbranch_vccnz .LBB174_503
; %bb.502:
	s_flbit_i32_b32 s6, s19
	s_min_u32 s9, s6, 32
	s_lshl_b64 s[6:7], s[18:19], s9
	s_min_u32 s6, s6, 1
	s_or_b32 s6, s7, s6
	v_cvt_f32_u32_e32 v3, s6
	s_sub_i32 s6, 32, s9
	v_mov_b32_e32 v4, 0
	v_ldexp_f32 v3, v3, s6
	global_store_dwordx2 v[0:1], v[3:4], off
.LBB174_503:
	s_mov_b64 s[6:7], 0
.LBB174_504:
	s_andn2_b64 vcc, exec, s[6:7]
	s_cbranch_vccnz .LBB174_506
; %bb.505:
	s_flbit_i32_b32 s6, s19
	s_min_u32 s9, s6, 32
	s_lshl_b64 s[6:7], s[18:19], s9
	s_min_u32 s6, s6, 1
	s_or_b32 s6, s7, s6
	v_cvt_f32_u32_e32 v3, s6
	s_sub_i32 s6, 32, s9
	v_ldexp_f32 v3, v3, s6
	v_cvt_f16_f32_e32 v3, v3
	global_store_dword v[0:1], v3, off
.LBB174_506:
	s_mov_b64 s[6:7], 0
.LBB174_507:
	s_andn2_b64 vcc, exec, s[6:7]
	s_cbranch_vccnz .LBB174_516
; %bb.508:
	s_cmp_lt_i32 s8, 6
	s_mov_b64 s[6:7], -1
	s_cbranch_scc1 .LBB174_514
; %bb.509:
	s_cmp_gt_i32 s8, 6
	s_cbranch_scc0 .LBB174_511
; %bb.510:
	v_cvt_f64_u32_e32 v[3:4], s19
	v_cvt_f64_u32_e32 v[5:6], s18
	s_mov_b64 s[6:7], 0
	v_ldexp_f64 v[3:4], v[3:4], 32
	v_add_f64 v[3:4], v[3:4], v[5:6]
	global_store_dwordx2 v[0:1], v[3:4], off
.LBB174_511:
	s_andn2_b64 vcc, exec, s[6:7]
	s_cbranch_vccnz .LBB174_513
; %bb.512:
	s_flbit_i32_b32 s6, s19
	s_min_u32 s9, s6, 32
	s_lshl_b64 s[6:7], s[18:19], s9
	s_min_u32 s6, s6, 1
	s_or_b32 s6, s7, s6
	v_cvt_f32_u32_e32 v3, s6
	s_sub_i32 s6, 32, s9
	v_ldexp_f32 v3, v3, s6
	global_store_dword v[0:1], v3, off
.LBB174_513:
	s_mov_b64 s[6:7], 0
.LBB174_514:
	s_andn2_b64 vcc, exec, s[6:7]
	s_cbranch_vccnz .LBB174_516
; %bb.515:
	s_flbit_i32_b32 s6, s19
	s_min_u32 s9, s6, 32
	s_lshl_b64 s[6:7], s[18:19], s9
	s_min_u32 s6, s6, 1
	s_or_b32 s6, s7, s6
	v_cvt_f32_u32_e32 v3, s6
	s_sub_i32 s6, 32, s9
	v_ldexp_f32 v3, v3, s6
	v_cvt_f16_f32_e32 v3, v3
	global_store_short v[0:1], v3, off
.LBB174_516:
	s_mov_b64 s[6:7], 0
.LBB174_517:
	s_andn2_b64 vcc, exec, s[6:7]
	s_cbranch_vccnz .LBB174_533
; %bb.518:
	s_cmp_lt_i32 s8, 2
	s_mov_b64 s[6:7], -1
	s_cbranch_scc1 .LBB174_528
; %bb.519:
	s_cmp_lt_i32 s8, 3
	s_cbranch_scc1 .LBB174_525
; %bb.520:
	s_cmp_gt_i32 s8, 3
	s_cbranch_scc0 .LBB174_522
; %bb.521:
	v_mov_b32_e32 v3, s18
	v_mov_b32_e32 v4, s19
	global_store_dwordx2 v[0:1], v[3:4], off
	s_mov_b64 s[6:7], 0
.LBB174_522:
	s_andn2_b64 vcc, exec, s[6:7]
	s_cbranch_vccnz .LBB174_524
; %bb.523:
	v_mov_b32_e32 v3, s18
	global_store_dword v[0:1], v3, off
.LBB174_524:
	s_mov_b64 s[6:7], 0
.LBB174_525:
	s_andn2_b64 vcc, exec, s[6:7]
	s_cbranch_vccnz .LBB174_527
; %bb.526:
	v_mov_b32_e32 v3, s18
	global_store_short v[0:1], v3, off
.LBB174_527:
	s_mov_b64 s[6:7], 0
.LBB174_528:
	s_andn2_b64 vcc, exec, s[6:7]
	s_cbranch_vccnz .LBB174_533
; %bb.529:
	s_cmp_gt_i32 s8, 0
	s_mov_b64 s[6:7], -1
	s_cbranch_scc0 .LBB174_531
; %bb.530:
	v_mov_b32_e32 v3, s18
	global_store_byte v[0:1], v3, off
	s_mov_b64 s[6:7], 0
.LBB174_531:
	s_andn2_b64 vcc, exec, s[6:7]
	s_cbranch_vccnz .LBB174_533
; %bb.532:
	v_mov_b32_e32 v3, s18
	global_store_byte v[0:1], v3, off
.LBB174_533:
.LBB174_534:
	s_lshl_b32 s15, s33, 7
	v_add_u32_e32 v2, s15, v2
	v_ashrrev_i32_e32 v1, 31, v2
	v_mov_b32_e32 v3, s21
	v_add_co_u32_e32 v0, vcc, s20, v2
	s_cmp_lt_i32 s14, 11
	v_addc_co_u32_e32 v1, vcc, v3, v1, vcc
	s_cbranch_scc1 .LBB174_562
; %bb.535:
	s_and_b32 s16, 0xffff, s14
	s_mov_b64 s[12:13], -1
	s_mov_b64 s[8:9], 0
	s_cmp_gt_i32 s16, 25
	s_mov_b64 s[10:11], 0
	s_mov_b64 s[6:7], 0
	s_cbranch_scc0 .LBB174_573
; %bb.536:
	s_cmp_gt_i32 s16, 28
	s_cbranch_scc0 .LBB174_551
; %bb.537:
	s_cmp_gt_i32 s16, 43
	;; [unrolled: 3-line block ×3, first 2 shown]
	s_cbranch_scc0 .LBB174_541
; %bb.539:
	s_mov_b64 s[6:7], -1
	s_mov_b64 s[12:13], 0
	s_cmp_eq_u32 s16, 46
	s_cbranch_scc0 .LBB174_541
; %bb.540:
	s_flbit_i32_b32 s6, s19
	s_min_u32 s10, s6, 32
	s_lshl_b64 s[6:7], s[18:19], s10
	s_min_u32 s6, s6, 1
	s_or_b32 s6, s7, s6
	v_cvt_f32_u32_e32 v3, s6
	s_sub_i32 s10, 32, s10
	s_mov_b64 s[6:7], 0
	v_ldexp_f32 v3, v3, s10
	v_bfe_u32 v4, v3, 16, 1
	v_add_u32_e32 v3, v3, v4
	v_add_u32_e32 v3, 0x7fff, v3
	v_lshrrev_b32_e32 v3, 16, v3
	global_store_dword v[0:1], v3, off
	s_mov_b64 s[10:11], -1
.LBB174_541:
	s_and_b64 vcc, exec, s[12:13]
	s_cbranch_vccz .LBB174_546
; %bb.542:
	s_cmp_eq_u32 s16, 44
	s_mov_b64 s[6:7], -1
	s_cbranch_scc0 .LBB174_546
; %bb.543:
	s_flbit_i32_b32 s6, s19
	s_min_u32 s10, s6, 32
	s_lshl_b64 s[6:7], s[18:19], s10
	s_min_u32 s6, s6, 1
	s_or_b32 s6, s7, s6
	v_cvt_f32_u32_e32 v3, s6
	s_sub_i32 s6, 32, s10
	v_ldexp_f32 v3, v3, s6
	v_readfirstlane_b32 s7, v3
	s_lshr_b32 s6, s7, 23
	s_cmpk_eq_i32 s6, 0xff
	v_mov_b32_e32 v3, 0xff
	s_cbranch_scc1 .LBB174_545
; %bb.544:
	s_bitcmp1_b32 s7, 22
	s_cselect_b64 s[10:11], -1, 0
	s_and_b32 s7, s7, 0x3fffff
	s_or_b32 s7, s6, s7
	s_cmp_lg_u32 s7, 0
	s_cselect_b64 s[12:13], -1, 0
	s_and_b64 s[10:11], s[10:11], s[12:13]
	v_cndmask_b32_e64 v3, 0, 1, s[10:11]
	v_add_u32_e32 v3, s6, v3
.LBB174_545:
	s_mov_b64 s[6:7], 0
	s_mov_b64 s[10:11], -1
	global_store_byte v[0:1], v3, off
.LBB174_546:
	s_mov_b64 s[12:13], 0
.LBB174_547:
	s_and_b64 vcc, exec, s[12:13]
	s_cbranch_vccz .LBB174_550
; %bb.548:
	s_cmp_eq_u32 s16, 29
	s_mov_b64 s[6:7], -1
	s_cbranch_scc0 .LBB174_550
; %bb.549:
	v_mov_b32_e32 v3, s18
	v_mov_b32_e32 v4, s19
	global_store_dwordx2 v[0:1], v[3:4], off
	s_mov_b64 s[6:7], 0
	s_mov_b64 s[10:11], -1
.LBB174_550:
	s_mov_b64 s[12:13], 0
.LBB174_551:
	s_and_b64 vcc, exec, s[12:13]
	s_cbranch_vccz .LBB174_572
; %bb.552:
	s_cmp_lt_i32 s16, 27
	s_mov_b64 s[10:11], -1
	s_cbranch_scc1 .LBB174_558
; %bb.553:
	s_cmp_gt_i32 s16, 27
	s_cbranch_scc0 .LBB174_555
; %bb.554:
	v_mov_b32_e32 v3, s18
	s_mov_b64 s[10:11], 0
	global_store_dword v[0:1], v3, off
.LBB174_555:
	s_andn2_b64 vcc, exec, s[10:11]
	s_cbranch_vccnz .LBB174_557
; %bb.556:
	v_mov_b32_e32 v3, s18
	global_store_short v[0:1], v3, off
.LBB174_557:
	s_mov_b64 s[10:11], 0
.LBB174_558:
	s_andn2_b64 vcc, exec, s[10:11]
	s_cbranch_vccnz .LBB174_571
; %bb.559:
	s_flbit_i32_b32 s10, s19
	s_min_u32 s12, s10, 32
	s_lshl_b64 s[10:11], s[18:19], s12
	s_min_u32 s10, s10, 1
	s_or_b32 s10, s11, s10
	v_cvt_f32_u32_e32 v3, s10
	s_sub_i32 s10, 32, s12
	s_mov_b32 s11, 0x437fffff
	v_mov_b32_e32 v5, 0x80
	v_ldexp_f32 v3, v3, s10
	v_cmp_lt_u32_e32 vcc, s11, v3
	v_readfirstlane_b32 s10, v3
	s_cbranch_vccnz .LBB174_570
; %bb.560:
	s_cmp_gt_u32 s10, 0x3bffffff
	s_cbranch_scc0 .LBB174_565
; %bb.561:
	s_bfe_u32 s11, s10, 0x10014
	s_add_i32 s10, s10, s11
	s_add_i32 s10, s10, 0x487ffff
	s_lshr_b32 s17, s10, 20
	s_mov_b64 s[12:13], 0
	s_mov_b64 s[10:11], -1
	s_branch .LBB174_566
.LBB174_562:
	s_mov_b64 s[10:11], 0
	s_cbranch_execnz .LBB174_623
.LBB174_563:
	s_andn2_b64 vcc, exec, s[10:11]
	s_cbranch_vccz .LBB174_661
	s_branch .LBB174_832
.LBB174_564:
	s_or_b64 s[4:5], s[0:1], exec
	s_trap 2
	s_cbranch_execz .LBB174_494
	s_branch .LBB174_495
.LBB174_565:
	s_mov_b64 s[12:13], -1
	s_mov_b64 s[10:11], 0
                                        ; implicit-def: $sgpr17
.LBB174_566:
	s_andn2_b64 vcc, exec, s[12:13]
	v_mov_b32_e32 v4, s17
	s_cbranch_vccnz .LBB174_568
; %bb.567:
	v_add_f32_e32 v3, 0x46000000, v3
	v_and_b32_e32 v4, 0xff, v3
	v_cmp_ne_u32_e64 s[10:11], 0, v4
.LBB174_568:
	s_andn2_b64 vcc, exec, s[10:11]
	v_mov_b32_e32 v5, 0
	s_cbranch_vccnz .LBB174_570
; %bb.569:
	v_mov_b32_e32 v5, v4
.LBB174_570:
	global_store_byte v[0:1], v5, off
.LBB174_571:
	s_mov_b64 s[10:11], -1
.LBB174_572:
	s_mov_b64 s[12:13], 0
.LBB174_573:
	s_and_b64 vcc, exec, s[12:13]
	s_cbranch_vccz .LBB174_619
; %bb.574:
	s_cmp_gt_i32 s16, 22
	s_mov_b64 s[8:9], -1
	s_cbranch_scc0 .LBB174_612
; %bb.575:
	s_cmp_lt_i32 s16, 24
	s_cbranch_scc1 .LBB174_599
; %bb.576:
	s_cmp_gt_i32 s16, 24
	s_cbranch_scc0 .LBB174_586
; %bb.577:
	s_flbit_i32_b32 s8, s19
	s_min_u32 s10, s8, 32
	s_lshl_b64 s[8:9], s[18:19], s10
	s_min_u32 s8, s8, 1
	s_or_b32 s8, s9, s8
	v_cvt_f32_u32_e32 v3, s8
	s_sub_i32 s8, 32, s10
	s_mov_b32 s9, 0x477fffff
	v_mov_b32_e32 v5, 0x80
	v_ldexp_f32 v3, v3, s8
	v_cmp_lt_u32_e32 vcc, s9, v3
	v_readfirstlane_b32 s8, v3
	s_cbranch_vccnz .LBB174_585
; %bb.578:
	s_cmp_gt_u32 s8, 0x37ffffff
	s_cbranch_scc0 .LBB174_580
; %bb.579:
	s_bfe_u32 s9, s8, 0x10015
	s_add_i32 s8, s8, s9
	s_add_i32 s8, s8, 0x88fffff
	s_lshr_b32 s12, s8, 21
	s_mov_b64 s[10:11], 0
	s_mov_b64 s[8:9], -1
	s_branch .LBB174_581
.LBB174_580:
	s_mov_b64 s[10:11], -1
	s_mov_b64 s[8:9], 0
                                        ; implicit-def: $sgpr12
.LBB174_581:
	s_andn2_b64 vcc, exec, s[10:11]
	v_mov_b32_e32 v4, s12
	s_cbranch_vccnz .LBB174_583
; %bb.582:
	v_add_f32_e32 v3, 0x42800000, v3
	v_and_b32_e32 v4, 0xff, v3
	v_cmp_ne_u32_e64 s[8:9], 0, v4
.LBB174_583:
	s_andn2_b64 vcc, exec, s[8:9]
	v_mov_b32_e32 v5, 0
	s_cbranch_vccnz .LBB174_585
; %bb.584:
	v_mov_b32_e32 v5, v4
.LBB174_585:
	s_mov_b64 s[8:9], 0
	global_store_byte v[0:1], v5, off
.LBB174_586:
	s_and_b64 vcc, exec, s[8:9]
	s_cbranch_vccz .LBB174_598
; %bb.587:
	s_flbit_i32_b32 s8, s19
	s_min_u32 s10, s8, 32
	s_lshl_b64 s[8:9], s[18:19], s10
	s_min_u32 s8, s8, 1
	s_or_b32 s8, s9, s8
	v_cvt_f32_u32_e32 v3, s8
	s_sub_i32 s8, 32, s10
	v_ldexp_f32 v3, v3, s8
	s_mov_b32 s8, 0x43f00000
	v_cmp_gt_u32_e32 vcc, s8, v3
	v_readfirstlane_b32 s10, v3
	s_cbranch_vccz .LBB174_590
; %bb.588:
	s_cmp_gt_u32 s10, 0x3c7fffff
	s_cbranch_scc0 .LBB174_591
; %bb.589:
	s_bfe_u32 s8, s10, 0x10014
	s_add_i32 s8, s10, s8
	s_add_i32 s8, s8, 0x407ffff
	s_lshr_b32 s9, s8, 20
	s_and_b32 s8, s8, 0xff00000
	s_cmp_lg_u32 s8, 0x7f00000
	s_cselect_b32 s11, s9, 0x7e
	s_mov_b64 s[8:9], 0
	s_branch .LBB174_592
.LBB174_590:
	s_mov_b64 s[8:9], -1
                                        ; implicit-def: $vgpr4
	s_branch .LBB174_595
.LBB174_591:
	s_mov_b64 s[8:9], -1
                                        ; implicit-def: $sgpr11
.LBB174_592:
	s_andn2_b64 vcc, exec, s[8:9]
	v_mov_b32_e32 v4, s11
	s_cbranch_vccnz .LBB174_594
; %bb.593:
	v_add_f32_e32 v4, 0x46800000, v3
.LBB174_594:
	s_mov_b64 s[8:9], 0
.LBB174_595:
	s_andn2_b64 vcc, exec, s[8:9]
	s_cbranch_vccnz .LBB174_597
; %bb.596:
	s_cmp_gt_u32 s10, 0x7f800000
	s_movk_i32 s8, 0x7f
	s_cselect_b32 s8, s8, 0x7e
	v_mov_b32_e32 v4, s8
.LBB174_597:
	global_store_byte v[0:1], v4, off
.LBB174_598:
	s_mov_b64 s[8:9], 0
.LBB174_599:
	s_andn2_b64 vcc, exec, s[8:9]
	s_cbranch_vccnz .LBB174_611
; %bb.600:
	s_flbit_i32_b32 s8, s19
	s_min_u32 s10, s8, 32
	s_lshl_b64 s[8:9], s[18:19], s10
	s_min_u32 s8, s8, 1
	s_or_b32 s8, s9, s8
	v_cvt_f32_u32_e32 v3, s8
	s_sub_i32 s8, 32, s10
	v_ldexp_f32 v3, v3, s8
	s_mov_b32 s8, 0x47800000
	v_cmp_gt_u32_e32 vcc, s8, v3
	v_readfirstlane_b32 s10, v3
	s_cbranch_vccz .LBB174_603
; %bb.601:
	s_cmp_gt_u32 s10, 0x387fffff
	s_cbranch_scc0 .LBB174_604
; %bb.602:
	s_bfe_u32 s8, s10, 0x10015
	s_add_i32 s8, s10, s8
	s_add_i32 s8, s8, 0x80fffff
	s_lshr_b32 s11, s8, 21
	s_mov_b64 s[8:9], 0
	s_branch .LBB174_605
.LBB174_603:
	s_mov_b64 s[8:9], -1
                                        ; implicit-def: $vgpr4
	s_branch .LBB174_608
.LBB174_604:
	s_mov_b64 s[8:9], -1
                                        ; implicit-def: $sgpr11
.LBB174_605:
	s_andn2_b64 vcc, exec, s[8:9]
	v_mov_b32_e32 v4, s11
	s_cbranch_vccnz .LBB174_607
; %bb.606:
	v_add_f32_e32 v4, 0x43000000, v3
.LBB174_607:
	s_mov_b64 s[8:9], 0
.LBB174_608:
	s_andn2_b64 vcc, exec, s[8:9]
	s_cbranch_vccnz .LBB174_610
; %bb.609:
	s_cmp_gt_u32 s10, 0x7f800000
	s_movk_i32 s8, 0x7f
	s_cselect_b32 s8, s8, 0x7c
	v_mov_b32_e32 v4, s8
.LBB174_610:
	global_store_byte v[0:1], v4, off
.LBB174_611:
	s_mov_b64 s[8:9], 0
	s_mov_b64 s[10:11], -1
.LBB174_612:
	s_andn2_b64 vcc, exec, s[8:9]
	s_mov_b64 s[8:9], 0
	s_cbranch_vccnz .LBB174_619
; %bb.613:
	s_cmp_gt_i32 s16, 14
	s_mov_b64 s[12:13], -1
	s_cbranch_scc0 .LBB174_617
; %bb.614:
	s_cmp_eq_u32 s16, 15
	s_mov_b64 s[6:7], -1
	s_cbranch_scc0 .LBB174_616
; %bb.615:
	s_flbit_i32_b32 s6, s19
	s_min_u32 s8, s6, 32
	s_lshl_b64 s[6:7], s[18:19], s8
	s_min_u32 s6, s6, 1
	s_or_b32 s6, s7, s6
	v_cvt_f32_u32_e32 v3, s6
	s_sub_i32 s8, 32, s8
	s_mov_b64 s[6:7], 0
	s_mov_b64 s[10:11], -1
	v_ldexp_f32 v3, v3, s8
	v_bfe_u32 v4, v3, 16, 1
	v_add_u32_e32 v3, v3, v4
	v_add_u32_e32 v3, 0x7fff, v3
	global_store_short_d16_hi v[0:1], v3, off
.LBB174_616:
	s_mov_b64 s[12:13], 0
.LBB174_617:
	s_mov_b64 s[8:9], 0
	s_and_b64 vcc, exec, s[12:13]
	s_cbranch_vccz .LBB174_619
; %bb.618:
	s_cmp_lg_u32 s16, 11
	s_mov_b64 s[8:9], -1
	s_cselect_b64 s[6:7], -1, 0
.LBB174_619:
	s_and_b64 vcc, exec, s[6:7]
	s_cbranch_vccnz .LBB174_721
; %bb.620:
	s_andn2_b64 vcc, exec, s[8:9]
	s_cbranch_vccnz .LBB174_622
.LBB174_621:
	s_cmp_lg_u64 s[18:19], 0
	s_cselect_b64 s[6:7], -1, 0
	v_cndmask_b32_e64 v3, 0, 1, s[6:7]
	s_mov_b64 s[10:11], -1
	global_store_byte v[0:1], v3, off
.LBB174_622:
	s_branch .LBB174_563
.LBB174_623:
	s_and_b32 s8, 0xffff, s14
	s_cmp_lt_i32 s8, 5
	s_mov_b64 s[6:7], -1
	s_cbranch_scc1 .LBB174_644
; %bb.624:
	s_cmp_lt_i32 s8, 8
	s_cbranch_scc1 .LBB174_634
; %bb.625:
	s_cmp_lt_i32 s8, 9
	s_cbranch_scc1 .LBB174_631
; %bb.626:
	s_cmp_gt_i32 s8, 9
	s_cbranch_scc0 .LBB174_628
; %bb.627:
	v_cvt_f64_u32_e32 v[3:4], s19
	v_cvt_f64_u32_e32 v[5:6], s18
	s_mov_b64 s[6:7], 0
	v_ldexp_f64 v[3:4], v[3:4], 32
	v_add_f64 v[3:4], v[3:4], v[5:6]
	v_mov_b32_e32 v5, 0
	v_mov_b32_e32 v6, v5
	global_store_dwordx4 v[0:1], v[3:6], off
.LBB174_628:
	s_andn2_b64 vcc, exec, s[6:7]
	s_cbranch_vccnz .LBB174_630
; %bb.629:
	s_flbit_i32_b32 s6, s19
	s_min_u32 s9, s6, 32
	s_lshl_b64 s[6:7], s[18:19], s9
	s_min_u32 s6, s6, 1
	s_or_b32 s6, s7, s6
	v_cvt_f32_u32_e32 v3, s6
	s_sub_i32 s6, 32, s9
	v_mov_b32_e32 v4, 0
	v_ldexp_f32 v3, v3, s6
	global_store_dwordx2 v[0:1], v[3:4], off
.LBB174_630:
	s_mov_b64 s[6:7], 0
.LBB174_631:
	s_andn2_b64 vcc, exec, s[6:7]
	s_cbranch_vccnz .LBB174_633
; %bb.632:
	s_flbit_i32_b32 s6, s19
	s_min_u32 s9, s6, 32
	s_lshl_b64 s[6:7], s[18:19], s9
	s_min_u32 s6, s6, 1
	s_or_b32 s6, s7, s6
	v_cvt_f32_u32_e32 v3, s6
	s_sub_i32 s6, 32, s9
	v_ldexp_f32 v3, v3, s6
	v_cvt_f16_f32_e32 v3, v3
	global_store_dword v[0:1], v3, off
.LBB174_633:
	s_mov_b64 s[6:7], 0
.LBB174_634:
	s_andn2_b64 vcc, exec, s[6:7]
	s_cbranch_vccnz .LBB174_643
; %bb.635:
	s_cmp_lt_i32 s8, 6
	s_mov_b64 s[6:7], -1
	s_cbranch_scc1 .LBB174_641
; %bb.636:
	s_cmp_gt_i32 s8, 6
	s_cbranch_scc0 .LBB174_638
; %bb.637:
	v_cvt_f64_u32_e32 v[3:4], s19
	v_cvt_f64_u32_e32 v[5:6], s18
	s_mov_b64 s[6:7], 0
	v_ldexp_f64 v[3:4], v[3:4], 32
	v_add_f64 v[3:4], v[3:4], v[5:6]
	global_store_dwordx2 v[0:1], v[3:4], off
.LBB174_638:
	s_andn2_b64 vcc, exec, s[6:7]
	s_cbranch_vccnz .LBB174_640
; %bb.639:
	s_flbit_i32_b32 s6, s19
	s_min_u32 s9, s6, 32
	s_lshl_b64 s[6:7], s[18:19], s9
	s_min_u32 s6, s6, 1
	s_or_b32 s6, s7, s6
	v_cvt_f32_u32_e32 v3, s6
	s_sub_i32 s6, 32, s9
	v_ldexp_f32 v3, v3, s6
	global_store_dword v[0:1], v3, off
.LBB174_640:
	s_mov_b64 s[6:7], 0
.LBB174_641:
	s_andn2_b64 vcc, exec, s[6:7]
	s_cbranch_vccnz .LBB174_643
; %bb.642:
	s_flbit_i32_b32 s6, s19
	s_min_u32 s9, s6, 32
	s_lshl_b64 s[6:7], s[18:19], s9
	s_min_u32 s6, s6, 1
	s_or_b32 s6, s7, s6
	v_cvt_f32_u32_e32 v3, s6
	s_sub_i32 s6, 32, s9
	v_ldexp_f32 v3, v3, s6
	v_cvt_f16_f32_e32 v3, v3
	global_store_short v[0:1], v3, off
.LBB174_643:
	s_mov_b64 s[6:7], 0
.LBB174_644:
	s_andn2_b64 vcc, exec, s[6:7]
	s_cbranch_vccnz .LBB174_660
; %bb.645:
	s_cmp_lt_i32 s8, 2
	s_mov_b64 s[6:7], -1
	s_cbranch_scc1 .LBB174_655
; %bb.646:
	s_cmp_lt_i32 s8, 3
	s_cbranch_scc1 .LBB174_652
; %bb.647:
	s_cmp_gt_i32 s8, 3
	s_cbranch_scc0 .LBB174_649
; %bb.648:
	v_mov_b32_e32 v3, s18
	v_mov_b32_e32 v4, s19
	global_store_dwordx2 v[0:1], v[3:4], off
	s_mov_b64 s[6:7], 0
.LBB174_649:
	s_andn2_b64 vcc, exec, s[6:7]
	s_cbranch_vccnz .LBB174_651
; %bb.650:
	v_mov_b32_e32 v3, s18
	global_store_dword v[0:1], v3, off
.LBB174_651:
	s_mov_b64 s[6:7], 0
.LBB174_652:
	s_andn2_b64 vcc, exec, s[6:7]
	s_cbranch_vccnz .LBB174_654
; %bb.653:
	v_mov_b32_e32 v3, s18
	global_store_short v[0:1], v3, off
.LBB174_654:
	s_mov_b64 s[6:7], 0
.LBB174_655:
	s_andn2_b64 vcc, exec, s[6:7]
	s_cbranch_vccnz .LBB174_660
; %bb.656:
	s_cmp_gt_i32 s8, 0
	s_mov_b64 s[6:7], -1
	s_cbranch_scc0 .LBB174_658
; %bb.657:
	v_mov_b32_e32 v3, s18
	global_store_byte v[0:1], v3, off
	s_mov_b64 s[6:7], 0
.LBB174_658:
	s_andn2_b64 vcc, exec, s[6:7]
	s_cbranch_vccnz .LBB174_660
; %bb.659:
	v_mov_b32_e32 v3, s18
	global_store_byte v[0:1], v3, off
.LBB174_660:
.LBB174_661:
	v_add_u32_e32 v2, s15, v2
	v_ashrrev_i32_e32 v1, 31, v2
	v_mov_b32_e32 v3, s21
	v_add_co_u32_e32 v0, vcc, s20, v2
	s_cmp_lt_i32 s14, 11
	v_addc_co_u32_e32 v1, vcc, v3, v1, vcc
	s_cbranch_scc1 .LBB174_689
; %bb.662:
	s_and_b32 s16, 0xffff, s14
	s_mov_b64 s[12:13], -1
	s_mov_b64 s[8:9], 0
	s_cmp_gt_i32 s16, 25
	s_mov_b64 s[10:11], 0
	s_mov_b64 s[6:7], 0
	s_cbranch_scc0 .LBB174_730
; %bb.663:
	s_cmp_gt_i32 s16, 28
	s_cbranch_scc0 .LBB174_678
; %bb.664:
	s_cmp_gt_i32 s16, 43
	;; [unrolled: 3-line block ×3, first 2 shown]
	s_cbranch_scc0 .LBB174_668
; %bb.666:
	s_mov_b64 s[6:7], -1
	s_mov_b64 s[12:13], 0
	s_cmp_eq_u32 s16, 46
	s_cbranch_scc0 .LBB174_668
; %bb.667:
	s_flbit_i32_b32 s6, s19
	s_min_u32 s10, s6, 32
	s_lshl_b64 s[6:7], s[18:19], s10
	s_min_u32 s6, s6, 1
	s_or_b32 s6, s7, s6
	v_cvt_f32_u32_e32 v3, s6
	s_sub_i32 s10, 32, s10
	s_mov_b64 s[6:7], 0
	v_ldexp_f32 v3, v3, s10
	v_bfe_u32 v4, v3, 16, 1
	v_add_u32_e32 v3, v3, v4
	v_add_u32_e32 v3, 0x7fff, v3
	v_lshrrev_b32_e32 v3, 16, v3
	global_store_dword v[0:1], v3, off
	s_mov_b64 s[10:11], -1
.LBB174_668:
	s_and_b64 vcc, exec, s[12:13]
	s_cbranch_vccz .LBB174_673
; %bb.669:
	s_cmp_eq_u32 s16, 44
	s_mov_b64 s[6:7], -1
	s_cbranch_scc0 .LBB174_673
; %bb.670:
	s_flbit_i32_b32 s6, s19
	s_min_u32 s10, s6, 32
	s_lshl_b64 s[6:7], s[18:19], s10
	s_min_u32 s6, s6, 1
	s_or_b32 s6, s7, s6
	v_cvt_f32_u32_e32 v3, s6
	s_sub_i32 s6, 32, s10
	v_ldexp_f32 v3, v3, s6
	v_readfirstlane_b32 s7, v3
	s_lshr_b32 s6, s7, 23
	s_cmpk_eq_i32 s6, 0xff
	v_mov_b32_e32 v3, 0xff
	s_cbranch_scc1 .LBB174_672
; %bb.671:
	s_bitcmp1_b32 s7, 22
	s_cselect_b64 s[10:11], -1, 0
	s_and_b32 s7, s7, 0x3fffff
	s_or_b32 s7, s6, s7
	s_cmp_lg_u32 s7, 0
	s_cselect_b64 s[12:13], -1, 0
	s_and_b64 s[10:11], s[10:11], s[12:13]
	v_cndmask_b32_e64 v3, 0, 1, s[10:11]
	v_add_u32_e32 v3, s6, v3
.LBB174_672:
	s_mov_b64 s[6:7], 0
	s_mov_b64 s[10:11], -1
	global_store_byte v[0:1], v3, off
.LBB174_673:
	s_mov_b64 s[12:13], 0
.LBB174_674:
	s_and_b64 vcc, exec, s[12:13]
	s_cbranch_vccz .LBB174_677
; %bb.675:
	s_cmp_eq_u32 s16, 29
	s_mov_b64 s[6:7], -1
	s_cbranch_scc0 .LBB174_677
; %bb.676:
	v_mov_b32_e32 v3, s18
	v_mov_b32_e32 v4, s19
	global_store_dwordx2 v[0:1], v[3:4], off
	s_mov_b64 s[6:7], 0
	s_mov_b64 s[10:11], -1
.LBB174_677:
	s_mov_b64 s[12:13], 0
.LBB174_678:
	s_and_b64 vcc, exec, s[12:13]
	s_cbranch_vccz .LBB174_729
; %bb.679:
	s_cmp_lt_i32 s16, 27
	s_mov_b64 s[10:11], -1
	s_cbranch_scc1 .LBB174_685
; %bb.680:
	s_cmp_gt_i32 s16, 27
	s_cbranch_scc0 .LBB174_682
; %bb.681:
	v_mov_b32_e32 v3, s18
	s_mov_b64 s[10:11], 0
	global_store_dword v[0:1], v3, off
.LBB174_682:
	s_andn2_b64 vcc, exec, s[10:11]
	s_cbranch_vccnz .LBB174_684
; %bb.683:
	v_mov_b32_e32 v3, s18
	global_store_short v[0:1], v3, off
.LBB174_684:
	s_mov_b64 s[10:11], 0
.LBB174_685:
	s_andn2_b64 vcc, exec, s[10:11]
	s_cbranch_vccnz .LBB174_728
; %bb.686:
	s_flbit_i32_b32 s10, s19
	s_min_u32 s12, s10, 32
	s_lshl_b64 s[10:11], s[18:19], s12
	s_min_u32 s10, s10, 1
	s_or_b32 s10, s11, s10
	v_cvt_f32_u32_e32 v3, s10
	s_sub_i32 s10, 32, s12
	s_mov_b32 s11, 0x437fffff
	v_mov_b32_e32 v5, 0x80
	v_ldexp_f32 v3, v3, s10
	v_cmp_lt_u32_e32 vcc, s11, v3
	v_readfirstlane_b32 s10, v3
	s_cbranch_vccnz .LBB174_727
; %bb.687:
	s_cmp_gt_u32 s10, 0x3bffffff
	s_cbranch_scc0 .LBB174_722
; %bb.688:
	s_bfe_u32 s11, s10, 0x10014
	s_add_i32 s10, s10, s11
	s_add_i32 s10, s10, 0x487ffff
	s_lshr_b32 s17, s10, 20
	s_mov_b64 s[12:13], 0
	s_mov_b64 s[10:11], -1
	s_branch .LBB174_723
.LBB174_689:
	s_mov_b64 s[10:11], 0
	s_cbranch_execnz .LBB174_794
.LBB174_690:
	s_andn2_b64 vcc, exec, s[10:11]
	s_cbranch_vccnz .LBB174_832
.LBB174_691:
	v_add_u32_e32 v0, s15, v2
	v_ashrrev_i32_e32 v1, 31, v0
	v_mov_b32_e32 v2, s21
	v_add_co_u32_e32 v0, vcc, s20, v0
	s_cmp_lt_i32 s14, 11
	v_addc_co_u32_e32 v1, vcc, v2, v1, vcc
	s_cbranch_scc1 .LBB174_720
; %bb.692:
	s_and_b32 s15, 0xffff, s14
	s_mov_b64 s[10:11], -1
	s_mov_b64 s[8:9], 0
	s_cmp_gt_i32 s15, 25
	s_mov_b64 s[6:7], 0
	s_cbranch_scc0 .LBB174_744
; %bb.693:
	s_cmp_gt_i32 s15, 28
	s_cbranch_scc0 .LBB174_709
; %bb.694:
	s_cmp_gt_i32 s15, 43
	;; [unrolled: 3-line block ×3, first 2 shown]
	s_cbranch_scc0 .LBB174_699
; %bb.696:
	s_cmp_eq_u32 s15, 46
	s_mov_b64 s[6:7], -1
	s_cbranch_scc0 .LBB174_698
; %bb.697:
	s_flbit_i32_b32 s6, s19
	s_min_u32 s10, s6, 32
	s_lshl_b64 s[6:7], s[18:19], s10
	s_min_u32 s6, s6, 1
	s_or_b32 s6, s7, s6
	v_cvt_f32_u32_e32 v2, s6
	s_sub_i32 s6, 32, s10
	v_ldexp_f32 v2, v2, s6
	v_bfe_u32 v3, v2, 16, 1
	v_add_u32_e32 v2, v2, v3
	v_add_u32_e32 v2, 0x7fff, v2
	v_lshrrev_b32_e32 v2, 16, v2
	global_store_dword v[0:1], v2, off
	s_mov_b64 s[6:7], 0
.LBB174_698:
	s_mov_b64 s[10:11], 0
.LBB174_699:
	s_and_b64 vcc, exec, s[10:11]
	s_cbranch_vccz .LBB174_704
; %bb.700:
	s_cmp_eq_u32 s15, 44
	s_mov_b64 s[6:7], -1
	s_cbranch_scc0 .LBB174_704
; %bb.701:
	s_flbit_i32_b32 s6, s19
	s_min_u32 s10, s6, 32
	s_lshl_b64 s[6:7], s[18:19], s10
	s_min_u32 s6, s6, 1
	s_or_b32 s6, s7, s6
	v_cvt_f32_u32_e32 v2, s6
	s_sub_i32 s6, 32, s10
	v_ldexp_f32 v2, v2, s6
	v_readfirstlane_b32 s7, v2
	s_lshr_b32 s6, s7, 23
	s_cmpk_eq_i32 s6, 0xff
	v_mov_b32_e32 v2, 0xff
	s_cbranch_scc1 .LBB174_703
; %bb.702:
	s_bitcmp1_b32 s7, 22
	s_cselect_b64 s[10:11], -1, 0
	s_and_b32 s7, s7, 0x3fffff
	s_or_b32 s7, s6, s7
	s_cmp_lg_u32 s7, 0
	s_cselect_b64 s[12:13], -1, 0
	s_and_b64 s[10:11], s[10:11], s[12:13]
	v_cndmask_b32_e64 v2, 0, 1, s[10:11]
	v_add_u32_e32 v2, s6, v2
.LBB174_703:
	s_mov_b64 s[6:7], 0
	global_store_byte v[0:1], v2, off
.LBB174_704:
	s_mov_b64 s[10:11], 0
.LBB174_705:
	s_and_b64 vcc, exec, s[10:11]
	s_cbranch_vccz .LBB174_708
; %bb.706:
	s_cmp_eq_u32 s15, 29
	s_mov_b64 s[6:7], -1
	s_cbranch_scc0 .LBB174_708
; %bb.707:
	v_mov_b32_e32 v2, s18
	v_mov_b32_e32 v3, s19
	global_store_dwordx2 v[0:1], v[2:3], off
	s_mov_b64 s[6:7], 0
.LBB174_708:
	s_mov_b64 s[10:11], 0
.LBB174_709:
	s_and_b64 vcc, exec, s[10:11]
	s_cbranch_vccz .LBB174_743
; %bb.710:
	s_cmp_lt_i32 s15, 27
	s_mov_b64 s[10:11], -1
	s_cbranch_scc1 .LBB174_716
; %bb.711:
	s_cmp_gt_i32 s15, 27
	s_cbranch_scc0 .LBB174_713
; %bb.712:
	v_mov_b32_e32 v2, s18
	global_store_dword v[0:1], v2, off
	s_mov_b64 s[10:11], 0
.LBB174_713:
	s_andn2_b64 vcc, exec, s[10:11]
	s_cbranch_vccnz .LBB174_715
; %bb.714:
	v_mov_b32_e32 v2, s18
	global_store_short v[0:1], v2, off
.LBB174_715:
	s_mov_b64 s[10:11], 0
.LBB174_716:
	s_andn2_b64 vcc, exec, s[10:11]
	s_cbranch_vccnz .LBB174_743
; %bb.717:
	s_flbit_i32_b32 s10, s19
	s_min_u32 s12, s10, 32
	s_lshl_b64 s[10:11], s[18:19], s12
	s_min_u32 s10, s10, 1
	s_or_b32 s10, s11, s10
	v_cvt_f32_u32_e32 v2, s10
	s_sub_i32 s10, 32, s12
	s_mov_b32 s11, 0x437fffff
	v_mov_b32_e32 v4, 0x80
	v_ldexp_f32 v2, v2, s10
	v_cmp_lt_u32_e32 vcc, s11, v2
	v_readfirstlane_b32 s10, v2
	s_cbranch_vccnz .LBB174_742
; %bb.718:
	s_cmp_gt_u32 s10, 0x3bffffff
	s_cbranch_scc0 .LBB174_737
; %bb.719:
	s_bfe_u32 s11, s10, 0x10014
	s_add_i32 s10, s10, s11
	s_add_i32 s10, s10, 0x487ffff
	s_lshr_b32 s16, s10, 20
	s_mov_b64 s[12:13], 0
	s_mov_b64 s[10:11], -1
	s_branch .LBB174_738
.LBB174_720:
	s_mov_b64 s[8:9], 0
	s_mov_b64 s[6:7], -1
	s_branch .LBB174_833
.LBB174_721:
	s_trap 2
	s_or_b64 s[4:5], s[4:5], exec
	s_cbranch_execz .LBB174_621
	s_branch .LBB174_622
.LBB174_722:
	s_mov_b64 s[12:13], -1
	s_mov_b64 s[10:11], 0
                                        ; implicit-def: $sgpr17
.LBB174_723:
	s_andn2_b64 vcc, exec, s[12:13]
	v_mov_b32_e32 v4, s17
	s_cbranch_vccnz .LBB174_725
; %bb.724:
	v_add_f32_e32 v3, 0x46000000, v3
	v_and_b32_e32 v4, 0xff, v3
	v_cmp_ne_u32_e64 s[10:11], 0, v4
.LBB174_725:
	s_andn2_b64 vcc, exec, s[10:11]
	v_mov_b32_e32 v5, 0
	s_cbranch_vccnz .LBB174_727
; %bb.726:
	v_mov_b32_e32 v5, v4
.LBB174_727:
	global_store_byte v[0:1], v5, off
.LBB174_728:
	s_mov_b64 s[10:11], -1
.LBB174_729:
	s_mov_b64 s[12:13], 0
.LBB174_730:
	s_and_b64 vcc, exec, s[12:13]
	s_cbranch_vccz .LBB174_790
; %bb.731:
	s_cmp_gt_i32 s16, 22
	s_mov_b64 s[8:9], -1
	s_cbranch_scc0 .LBB174_783
; %bb.732:
	s_cmp_lt_i32 s16, 24
	s_cbranch_scc1 .LBB174_770
; %bb.733:
	s_cmp_gt_i32 s16, 24
	s_cbranch_scc0 .LBB174_757
; %bb.734:
	s_flbit_i32_b32 s8, s19
	s_min_u32 s10, s8, 32
	s_lshl_b64 s[8:9], s[18:19], s10
	s_min_u32 s8, s8, 1
	s_or_b32 s8, s9, s8
	v_cvt_f32_u32_e32 v3, s8
	s_sub_i32 s8, 32, s10
	s_mov_b32 s9, 0x477fffff
	v_mov_b32_e32 v5, 0x80
	v_ldexp_f32 v3, v3, s8
	v_cmp_lt_u32_e32 vcc, s9, v3
	v_readfirstlane_b32 s8, v3
	s_cbranch_vccnz .LBB174_756
; %bb.735:
	s_cmp_gt_u32 s8, 0x37ffffff
	s_cbranch_scc0 .LBB174_751
; %bb.736:
	s_bfe_u32 s9, s8, 0x10015
	s_add_i32 s8, s8, s9
	s_add_i32 s8, s8, 0x88fffff
	s_lshr_b32 s12, s8, 21
	s_mov_b64 s[10:11], 0
	s_mov_b64 s[8:9], -1
	s_branch .LBB174_752
.LBB174_737:
	s_mov_b64 s[12:13], -1
	s_mov_b64 s[10:11], 0
                                        ; implicit-def: $sgpr16
.LBB174_738:
	s_andn2_b64 vcc, exec, s[12:13]
	v_mov_b32_e32 v3, s16
	s_cbranch_vccnz .LBB174_740
; %bb.739:
	v_add_f32_e32 v2, 0x46000000, v2
	v_and_b32_e32 v3, 0xff, v2
	v_cmp_ne_u32_e64 s[10:11], 0, v3
.LBB174_740:
	s_andn2_b64 vcc, exec, s[10:11]
	v_mov_b32_e32 v4, 0
	s_cbranch_vccnz .LBB174_742
; %bb.741:
	v_mov_b32_e32 v4, v3
.LBB174_742:
	global_store_byte v[0:1], v4, off
.LBB174_743:
	s_mov_b64 s[10:11], 0
.LBB174_744:
	s_and_b64 vcc, exec, s[10:11]
	s_cbranch_vccz .LBB174_914
; %bb.745:
	s_cmp_gt_i32 s15, 22
	s_mov_b64 s[8:9], -1
	s_cbranch_scc0 .LBB174_907
; %bb.746:
	s_cmp_lt_i32 s15, 24
	s_cbranch_scc1 .LBB174_894
; %bb.747:
	s_cmp_gt_i32 s15, 24
	s_cbranch_scc0 .LBB174_881
; %bb.748:
	s_flbit_i32_b32 s8, s19
	s_min_u32 s10, s8, 32
	s_lshl_b64 s[8:9], s[18:19], s10
	s_min_u32 s8, s8, 1
	s_or_b32 s8, s9, s8
	v_cvt_f32_u32_e32 v2, s8
	s_sub_i32 s8, 32, s10
	s_mov_b32 s9, 0x477fffff
	v_mov_b32_e32 v4, 0x80
	v_ldexp_f32 v2, v2, s8
	v_cmp_lt_u32_e32 vcc, s9, v2
	v_readfirstlane_b32 s8, v2
	s_cbranch_vccnz .LBB174_880
; %bb.749:
	s_cmp_gt_u32 s8, 0x37ffffff
	s_cbranch_scc0 .LBB174_875
; %bb.750:
	s_bfe_u32 s9, s8, 0x10015
	s_add_i32 s8, s8, s9
	s_add_i32 s8, s8, 0x88fffff
	s_lshr_b32 s12, s8, 21
	s_mov_b64 s[10:11], 0
	s_mov_b64 s[8:9], -1
	s_branch .LBB174_876
.LBB174_751:
	s_mov_b64 s[10:11], -1
	s_mov_b64 s[8:9], 0
                                        ; implicit-def: $sgpr12
.LBB174_752:
	s_andn2_b64 vcc, exec, s[10:11]
	v_mov_b32_e32 v4, s12
	s_cbranch_vccnz .LBB174_754
; %bb.753:
	v_add_f32_e32 v3, 0x42800000, v3
	v_and_b32_e32 v4, 0xff, v3
	v_cmp_ne_u32_e64 s[8:9], 0, v4
.LBB174_754:
	s_andn2_b64 vcc, exec, s[8:9]
	v_mov_b32_e32 v5, 0
	s_cbranch_vccnz .LBB174_756
; %bb.755:
	v_mov_b32_e32 v5, v4
.LBB174_756:
	s_mov_b64 s[8:9], 0
	global_store_byte v[0:1], v5, off
.LBB174_757:
	s_and_b64 vcc, exec, s[8:9]
	s_cbranch_vccz .LBB174_769
; %bb.758:
	s_flbit_i32_b32 s8, s19
	s_min_u32 s10, s8, 32
	s_lshl_b64 s[8:9], s[18:19], s10
	s_min_u32 s8, s8, 1
	s_or_b32 s8, s9, s8
	v_cvt_f32_u32_e32 v3, s8
	s_sub_i32 s8, 32, s10
	v_ldexp_f32 v3, v3, s8
	s_mov_b32 s8, 0x43f00000
	v_cmp_gt_u32_e32 vcc, s8, v3
	v_readfirstlane_b32 s10, v3
	s_cbranch_vccz .LBB174_761
; %bb.759:
	s_cmp_gt_u32 s10, 0x3c7fffff
	s_cbranch_scc0 .LBB174_762
; %bb.760:
	s_bfe_u32 s8, s10, 0x10014
	s_add_i32 s8, s10, s8
	s_add_i32 s8, s8, 0x407ffff
	s_lshr_b32 s9, s8, 20
	s_and_b32 s8, s8, 0xff00000
	s_cmp_lg_u32 s8, 0x7f00000
	s_cselect_b32 s11, s9, 0x7e
	s_mov_b64 s[8:9], 0
	s_branch .LBB174_763
.LBB174_761:
	s_mov_b64 s[8:9], -1
                                        ; implicit-def: $vgpr4
	s_branch .LBB174_766
.LBB174_762:
	s_mov_b64 s[8:9], -1
                                        ; implicit-def: $sgpr11
.LBB174_763:
	s_andn2_b64 vcc, exec, s[8:9]
	v_mov_b32_e32 v4, s11
	s_cbranch_vccnz .LBB174_765
; %bb.764:
	v_add_f32_e32 v4, 0x46800000, v3
.LBB174_765:
	s_mov_b64 s[8:9], 0
.LBB174_766:
	s_andn2_b64 vcc, exec, s[8:9]
	s_cbranch_vccnz .LBB174_768
; %bb.767:
	s_cmp_gt_u32 s10, 0x7f800000
	s_movk_i32 s8, 0x7f
	s_cselect_b32 s8, s8, 0x7e
	v_mov_b32_e32 v4, s8
.LBB174_768:
	global_store_byte v[0:1], v4, off
.LBB174_769:
	s_mov_b64 s[8:9], 0
.LBB174_770:
	s_andn2_b64 vcc, exec, s[8:9]
	s_cbranch_vccnz .LBB174_782
; %bb.771:
	s_flbit_i32_b32 s8, s19
	s_min_u32 s10, s8, 32
	s_lshl_b64 s[8:9], s[18:19], s10
	s_min_u32 s8, s8, 1
	s_or_b32 s8, s9, s8
	v_cvt_f32_u32_e32 v3, s8
	s_sub_i32 s8, 32, s10
	v_ldexp_f32 v3, v3, s8
	s_mov_b32 s8, 0x47800000
	v_cmp_gt_u32_e32 vcc, s8, v3
	v_readfirstlane_b32 s10, v3
	s_cbranch_vccz .LBB174_774
; %bb.772:
	s_cmp_gt_u32 s10, 0x387fffff
	s_cbranch_scc0 .LBB174_775
; %bb.773:
	s_bfe_u32 s8, s10, 0x10015
	s_add_i32 s8, s10, s8
	s_add_i32 s8, s8, 0x80fffff
	s_lshr_b32 s11, s8, 21
	s_mov_b64 s[8:9], 0
	s_branch .LBB174_776
.LBB174_774:
	s_mov_b64 s[8:9], -1
                                        ; implicit-def: $vgpr4
	s_branch .LBB174_779
.LBB174_775:
	s_mov_b64 s[8:9], -1
                                        ; implicit-def: $sgpr11
.LBB174_776:
	s_andn2_b64 vcc, exec, s[8:9]
	v_mov_b32_e32 v4, s11
	s_cbranch_vccnz .LBB174_778
; %bb.777:
	v_add_f32_e32 v4, 0x43000000, v3
.LBB174_778:
	s_mov_b64 s[8:9], 0
.LBB174_779:
	s_andn2_b64 vcc, exec, s[8:9]
	s_cbranch_vccnz .LBB174_781
; %bb.780:
	s_cmp_gt_u32 s10, 0x7f800000
	s_movk_i32 s8, 0x7f
	s_cselect_b32 s8, s8, 0x7c
	v_mov_b32_e32 v4, s8
.LBB174_781:
	global_store_byte v[0:1], v4, off
.LBB174_782:
	s_mov_b64 s[8:9], 0
	s_mov_b64 s[10:11], -1
.LBB174_783:
	s_andn2_b64 vcc, exec, s[8:9]
	s_mov_b64 s[8:9], 0
	s_cbranch_vccnz .LBB174_790
; %bb.784:
	s_cmp_gt_i32 s16, 14
	s_mov_b64 s[12:13], -1
	s_cbranch_scc0 .LBB174_788
; %bb.785:
	s_cmp_eq_u32 s16, 15
	s_mov_b64 s[6:7], -1
	s_cbranch_scc0 .LBB174_787
; %bb.786:
	s_flbit_i32_b32 s6, s19
	s_min_u32 s8, s6, 32
	s_lshl_b64 s[6:7], s[18:19], s8
	s_min_u32 s6, s6, 1
	s_or_b32 s6, s7, s6
	v_cvt_f32_u32_e32 v3, s6
	s_sub_i32 s8, 32, s8
	s_mov_b64 s[6:7], 0
	s_mov_b64 s[10:11], -1
	v_ldexp_f32 v3, v3, s8
	v_bfe_u32 v4, v3, 16, 1
	v_add_u32_e32 v3, v3, v4
	v_add_u32_e32 v3, 0x7fff, v3
	global_store_short_d16_hi v[0:1], v3, off
.LBB174_787:
	s_mov_b64 s[12:13], 0
.LBB174_788:
	s_mov_b64 s[8:9], 0
	s_and_b64 vcc, exec, s[12:13]
	s_cbranch_vccz .LBB174_790
; %bb.789:
	s_cmp_lg_u32 s16, 11
	s_mov_b64 s[8:9], -1
	s_cselect_b64 s[6:7], -1, 0
.LBB174_790:
	s_and_b64 vcc, exec, s[6:7]
	s_cbranch_vccnz .LBB174_874
; %bb.791:
	s_andn2_b64 vcc, exec, s[8:9]
	s_cbranch_vccnz .LBB174_793
.LBB174_792:
	s_cmp_lg_u64 s[18:19], 0
	s_cselect_b64 s[6:7], -1, 0
	v_cndmask_b32_e64 v3, 0, 1, s[6:7]
	s_mov_b64 s[10:11], -1
	global_store_byte v[0:1], v3, off
.LBB174_793:
	s_branch .LBB174_690
.LBB174_794:
	s_and_b32 s8, 0xffff, s14
	s_cmp_lt_i32 s8, 5
	s_mov_b64 s[6:7], -1
	s_cbranch_scc1 .LBB174_815
; %bb.795:
	s_cmp_lt_i32 s8, 8
	s_cbranch_scc1 .LBB174_805
; %bb.796:
	s_cmp_lt_i32 s8, 9
	s_cbranch_scc1 .LBB174_802
; %bb.797:
	s_cmp_gt_i32 s8, 9
	s_cbranch_scc0 .LBB174_799
; %bb.798:
	v_cvt_f64_u32_e32 v[3:4], s19
	v_cvt_f64_u32_e32 v[5:6], s18
	s_mov_b64 s[6:7], 0
	v_ldexp_f64 v[3:4], v[3:4], 32
	v_add_f64 v[3:4], v[3:4], v[5:6]
	v_mov_b32_e32 v5, 0
	v_mov_b32_e32 v6, v5
	global_store_dwordx4 v[0:1], v[3:6], off
.LBB174_799:
	s_andn2_b64 vcc, exec, s[6:7]
	s_cbranch_vccnz .LBB174_801
; %bb.800:
	s_flbit_i32_b32 s6, s19
	s_min_u32 s9, s6, 32
	s_lshl_b64 s[6:7], s[18:19], s9
	s_min_u32 s6, s6, 1
	s_or_b32 s6, s7, s6
	v_cvt_f32_u32_e32 v3, s6
	s_sub_i32 s6, 32, s9
	v_mov_b32_e32 v4, 0
	v_ldexp_f32 v3, v3, s6
	global_store_dwordx2 v[0:1], v[3:4], off
.LBB174_801:
	s_mov_b64 s[6:7], 0
.LBB174_802:
	s_andn2_b64 vcc, exec, s[6:7]
	s_cbranch_vccnz .LBB174_804
; %bb.803:
	s_flbit_i32_b32 s6, s19
	s_min_u32 s9, s6, 32
	s_lshl_b64 s[6:7], s[18:19], s9
	s_min_u32 s6, s6, 1
	s_or_b32 s6, s7, s6
	v_cvt_f32_u32_e32 v3, s6
	s_sub_i32 s6, 32, s9
	v_ldexp_f32 v3, v3, s6
	v_cvt_f16_f32_e32 v3, v3
	global_store_dword v[0:1], v3, off
.LBB174_804:
	s_mov_b64 s[6:7], 0
.LBB174_805:
	s_andn2_b64 vcc, exec, s[6:7]
	s_cbranch_vccnz .LBB174_814
; %bb.806:
	s_cmp_lt_i32 s8, 6
	s_mov_b64 s[6:7], -1
	s_cbranch_scc1 .LBB174_812
; %bb.807:
	s_cmp_gt_i32 s8, 6
	s_cbranch_scc0 .LBB174_809
; %bb.808:
	v_cvt_f64_u32_e32 v[3:4], s19
	v_cvt_f64_u32_e32 v[5:6], s18
	s_mov_b64 s[6:7], 0
	v_ldexp_f64 v[3:4], v[3:4], 32
	v_add_f64 v[3:4], v[3:4], v[5:6]
	global_store_dwordx2 v[0:1], v[3:4], off
.LBB174_809:
	s_andn2_b64 vcc, exec, s[6:7]
	s_cbranch_vccnz .LBB174_811
; %bb.810:
	s_flbit_i32_b32 s6, s19
	s_min_u32 s9, s6, 32
	s_lshl_b64 s[6:7], s[18:19], s9
	s_min_u32 s6, s6, 1
	s_or_b32 s6, s7, s6
	v_cvt_f32_u32_e32 v3, s6
	s_sub_i32 s6, 32, s9
	v_ldexp_f32 v3, v3, s6
	global_store_dword v[0:1], v3, off
.LBB174_811:
	s_mov_b64 s[6:7], 0
.LBB174_812:
	s_andn2_b64 vcc, exec, s[6:7]
	s_cbranch_vccnz .LBB174_814
; %bb.813:
	s_flbit_i32_b32 s6, s19
	s_min_u32 s9, s6, 32
	s_lshl_b64 s[6:7], s[18:19], s9
	s_min_u32 s6, s6, 1
	s_or_b32 s6, s7, s6
	v_cvt_f32_u32_e32 v3, s6
	s_sub_i32 s6, 32, s9
	v_ldexp_f32 v3, v3, s6
	v_cvt_f16_f32_e32 v3, v3
	global_store_short v[0:1], v3, off
.LBB174_814:
	s_mov_b64 s[6:7], 0
.LBB174_815:
	s_andn2_b64 vcc, exec, s[6:7]
	s_cbranch_vccnz .LBB174_831
; %bb.816:
	s_cmp_lt_i32 s8, 2
	s_mov_b64 s[6:7], -1
	s_cbranch_scc1 .LBB174_826
; %bb.817:
	s_cmp_lt_i32 s8, 3
	s_cbranch_scc1 .LBB174_823
; %bb.818:
	s_cmp_gt_i32 s8, 3
	s_cbranch_scc0 .LBB174_820
; %bb.819:
	v_mov_b32_e32 v3, s18
	v_mov_b32_e32 v4, s19
	global_store_dwordx2 v[0:1], v[3:4], off
	s_mov_b64 s[6:7], 0
.LBB174_820:
	s_andn2_b64 vcc, exec, s[6:7]
	s_cbranch_vccnz .LBB174_822
; %bb.821:
	v_mov_b32_e32 v3, s18
	global_store_dword v[0:1], v3, off
.LBB174_822:
	s_mov_b64 s[6:7], 0
.LBB174_823:
	s_andn2_b64 vcc, exec, s[6:7]
	s_cbranch_vccnz .LBB174_825
; %bb.824:
	v_mov_b32_e32 v3, s18
	global_store_short v[0:1], v3, off
.LBB174_825:
	s_mov_b64 s[6:7], 0
.LBB174_826:
	s_andn2_b64 vcc, exec, s[6:7]
	s_cbranch_vccnz .LBB174_831
; %bb.827:
	s_cmp_gt_i32 s8, 0
	s_mov_b64 s[6:7], -1
	s_cbranch_scc0 .LBB174_829
; %bb.828:
	v_mov_b32_e32 v3, s18
	global_store_byte v[0:1], v3, off
	s_mov_b64 s[6:7], 0
.LBB174_829:
	s_andn2_b64 vcc, exec, s[6:7]
	s_cbranch_vccnz .LBB174_831
; %bb.830:
	v_mov_b32_e32 v3, s18
	global_store_byte v[0:1], v3, off
.LBB174_831:
	s_branch .LBB174_691
.LBB174_832:
	s_mov_b64 s[6:7], 0
	s_mov_b64 s[8:9], 0
                                        ; implicit-def: $sgpr14
                                        ; implicit-def: $vgpr0_vgpr1
.LBB174_833:
	s_andn2_b64 s[0:1], s[0:1], exec
	s_and_b64 s[4:5], s[4:5], exec
	s_and_b64 s[6:7], s[6:7], exec
	;; [unrolled: 1-line block ×3, first 2 shown]
	s_or_b64 s[0:1], s[0:1], s[4:5]
	s_or_b64 exec, exec, s[2:3]
	s_and_saveexec_b64 s[2:3], s[0:1]
	s_cbranch_execnz .LBB174_434
.LBB174_834:
	s_or_b64 exec, exec, s[2:3]
	s_and_saveexec_b64 s[0:1], s[22:23]
	s_xor_b64 s[0:1], exec, s[0:1]
	s_cbranch_execz .LBB174_435
.LBB174_835:
	s_cmp_lg_u64 s[18:19], 0
	s_cselect_b64 s[2:3], -1, 0
	v_cndmask_b32_e64 v2, 0, 1, s[2:3]
	global_store_byte v[0:1], v2, off
	s_or_b64 exec, exec, s[0:1]
	s_and_saveexec_b64 s[0:1], s[6:7]
	s_cbranch_execz .LBB174_873
.LBB174_836:
	s_sext_i32_i16 s2, s14
	s_cmp_lt_i32 s2, 5
	s_mov_b64 s[0:1], -1
	s_cbranch_scc1 .LBB174_857
; %bb.837:
	s_cmp_lt_i32 s2, 8
	s_cbranch_scc1 .LBB174_847
; %bb.838:
	s_cmp_lt_i32 s2, 9
	s_cbranch_scc1 .LBB174_844
; %bb.839:
	s_cmp_gt_i32 s2, 9
	s_cbranch_scc0 .LBB174_841
; %bb.840:
	v_cvt_f64_u32_e32 v[2:3], s19
	v_cvt_f64_u32_e32 v[4:5], s18
	s_mov_b64 s[0:1], 0
	v_ldexp_f64 v[2:3], v[2:3], 32
	v_add_f64 v[2:3], v[2:3], v[4:5]
	v_mov_b32_e32 v4, 0
	v_mov_b32_e32 v5, v4
	global_store_dwordx4 v[0:1], v[2:5], off
.LBB174_841:
	s_andn2_b64 vcc, exec, s[0:1]
	s_cbranch_vccnz .LBB174_843
; %bb.842:
	s_flbit_i32_b32 s0, s19
	s_min_u32 s2, s0, 32
	s_lshl_b64 s[0:1], s[18:19], s2
	s_min_u32 s0, s0, 1
	s_or_b32 s0, s1, s0
	v_cvt_f32_u32_e32 v2, s0
	s_sub_i32 s0, 32, s2
	v_mov_b32_e32 v3, 0
	v_ldexp_f32 v2, v2, s0
	global_store_dwordx2 v[0:1], v[2:3], off
.LBB174_843:
	s_mov_b64 s[0:1], 0
.LBB174_844:
	s_andn2_b64 vcc, exec, s[0:1]
	s_cbranch_vccnz .LBB174_846
; %bb.845:
	s_flbit_i32_b32 s0, s19
	s_min_u32 s2, s0, 32
	s_lshl_b64 s[0:1], s[18:19], s2
	s_min_u32 s0, s0, 1
	s_or_b32 s0, s1, s0
	v_cvt_f32_u32_e32 v2, s0
	s_sub_i32 s0, 32, s2
	v_ldexp_f32 v2, v2, s0
	v_cvt_f16_f32_e32 v2, v2
	global_store_dword v[0:1], v2, off
.LBB174_846:
	s_mov_b64 s[0:1], 0
.LBB174_847:
	s_andn2_b64 vcc, exec, s[0:1]
	s_cbranch_vccnz .LBB174_856
; %bb.848:
	s_sext_i32_i16 s2, s14
	s_cmp_lt_i32 s2, 6
	s_mov_b64 s[0:1], -1
	s_cbranch_scc1 .LBB174_854
; %bb.849:
	s_cmp_gt_i32 s2, 6
	s_cbranch_scc0 .LBB174_851
; %bb.850:
	v_cvt_f64_u32_e32 v[2:3], s19
	v_cvt_f64_u32_e32 v[4:5], s18
	s_mov_b64 s[0:1], 0
	v_ldexp_f64 v[2:3], v[2:3], 32
	v_add_f64 v[2:3], v[2:3], v[4:5]
	global_store_dwordx2 v[0:1], v[2:3], off
.LBB174_851:
	s_andn2_b64 vcc, exec, s[0:1]
	s_cbranch_vccnz .LBB174_853
; %bb.852:
	s_flbit_i32_b32 s0, s19
	s_min_u32 s2, s0, 32
	s_lshl_b64 s[0:1], s[18:19], s2
	s_min_u32 s0, s0, 1
	s_or_b32 s0, s1, s0
	v_cvt_f32_u32_e32 v2, s0
	s_sub_i32 s0, 32, s2
	v_ldexp_f32 v2, v2, s0
	global_store_dword v[0:1], v2, off
.LBB174_853:
	s_mov_b64 s[0:1], 0
.LBB174_854:
	s_andn2_b64 vcc, exec, s[0:1]
	s_cbranch_vccnz .LBB174_856
; %bb.855:
	s_flbit_i32_b32 s0, s19
	s_min_u32 s2, s0, 32
	s_lshl_b64 s[0:1], s[18:19], s2
	s_min_u32 s0, s0, 1
	s_or_b32 s0, s1, s0
	v_cvt_f32_u32_e32 v2, s0
	s_sub_i32 s0, 32, s2
	v_ldexp_f32 v2, v2, s0
	v_cvt_f16_f32_e32 v2, v2
	global_store_short v[0:1], v2, off
.LBB174_856:
	s_mov_b64 s[0:1], 0
.LBB174_857:
	s_andn2_b64 vcc, exec, s[0:1]
	s_cbranch_vccnz .LBB174_873
; %bb.858:
	s_sext_i32_i16 s2, s14
	s_cmp_lt_i32 s2, 2
	s_mov_b64 s[0:1], -1
	s_cbranch_scc1 .LBB174_868
; %bb.859:
	s_cmp_lt_i32 s2, 3
	s_cbranch_scc1 .LBB174_865
; %bb.860:
	s_cmp_gt_i32 s2, 3
	s_cbranch_scc0 .LBB174_862
; %bb.861:
	v_mov_b32_e32 v2, s18
	v_mov_b32_e32 v3, s19
	global_store_dwordx2 v[0:1], v[2:3], off
	s_mov_b64 s[0:1], 0
.LBB174_862:
	s_andn2_b64 vcc, exec, s[0:1]
	s_cbranch_vccnz .LBB174_864
; %bb.863:
	v_mov_b32_e32 v2, s18
	global_store_dword v[0:1], v2, off
.LBB174_864:
	s_mov_b64 s[0:1], 0
.LBB174_865:
	s_andn2_b64 vcc, exec, s[0:1]
	s_cbranch_vccnz .LBB174_867
; %bb.866:
	v_mov_b32_e32 v2, s18
	global_store_short v[0:1], v2, off
.LBB174_867:
	s_mov_b64 s[0:1], 0
.LBB174_868:
	s_andn2_b64 vcc, exec, s[0:1]
	s_cbranch_vccnz .LBB174_873
; %bb.869:
	s_sext_i32_i16 s0, s14
	s_cmp_gt_i32 s0, 0
	s_mov_b64 s[0:1], -1
	s_cbranch_scc0 .LBB174_871
; %bb.870:
	v_mov_b32_e32 v2, s18
	global_store_byte v[0:1], v2, off
	s_mov_b64 s[0:1], 0
.LBB174_871:
	s_andn2_b64 vcc, exec, s[0:1]
	s_cbranch_vccnz .LBB174_873
; %bb.872:
	v_mov_b32_e32 v2, s18
	global_store_byte v[0:1], v2, off
	s_endpgm
.LBB174_873:
	s_endpgm
.LBB174_874:
	s_trap 2
	s_or_b64 s[4:5], s[4:5], exec
	s_cbranch_execz .LBB174_792
	s_branch .LBB174_793
.LBB174_875:
	s_mov_b64 s[10:11], -1
	s_mov_b64 s[8:9], 0
                                        ; implicit-def: $sgpr12
.LBB174_876:
	s_andn2_b64 vcc, exec, s[10:11]
	v_mov_b32_e32 v3, s12
	s_cbranch_vccnz .LBB174_878
; %bb.877:
	v_add_f32_e32 v2, 0x42800000, v2
	v_and_b32_e32 v3, 0xff, v2
	v_cmp_ne_u32_e64 s[8:9], 0, v3
.LBB174_878:
	s_andn2_b64 vcc, exec, s[8:9]
	v_mov_b32_e32 v4, 0
	s_cbranch_vccnz .LBB174_880
; %bb.879:
	v_mov_b32_e32 v4, v3
.LBB174_880:
	s_mov_b64 s[8:9], 0
	global_store_byte v[0:1], v4, off
.LBB174_881:
	s_and_b64 vcc, exec, s[8:9]
	s_cbranch_vccz .LBB174_893
; %bb.882:
	s_flbit_i32_b32 s8, s19
	s_min_u32 s10, s8, 32
	s_lshl_b64 s[8:9], s[18:19], s10
	s_min_u32 s8, s8, 1
	s_or_b32 s8, s9, s8
	v_cvt_f32_u32_e32 v2, s8
	s_sub_i32 s8, 32, s10
	v_ldexp_f32 v2, v2, s8
	s_mov_b32 s8, 0x43f00000
	v_cmp_gt_u32_e32 vcc, s8, v2
	v_readfirstlane_b32 s10, v2
	s_cbranch_vccz .LBB174_885
; %bb.883:
	s_cmp_gt_u32 s10, 0x3c7fffff
	s_cbranch_scc0 .LBB174_886
; %bb.884:
	s_bfe_u32 s8, s10, 0x10014
	s_add_i32 s8, s10, s8
	s_add_i32 s8, s8, 0x407ffff
	s_lshr_b32 s9, s8, 20
	s_and_b32 s8, s8, 0xff00000
	s_cmp_lg_u32 s8, 0x7f00000
	s_cselect_b32 s11, s9, 0x7e
	s_mov_b64 s[8:9], 0
	s_branch .LBB174_887
.LBB174_885:
	s_mov_b64 s[8:9], -1
                                        ; implicit-def: $vgpr3
	s_branch .LBB174_890
.LBB174_886:
	s_mov_b64 s[8:9], -1
                                        ; implicit-def: $sgpr11
.LBB174_887:
	s_andn2_b64 vcc, exec, s[8:9]
	v_mov_b32_e32 v3, s11
	s_cbranch_vccnz .LBB174_889
; %bb.888:
	v_add_f32_e32 v3, 0x46800000, v2
.LBB174_889:
	s_mov_b64 s[8:9], 0
.LBB174_890:
	s_andn2_b64 vcc, exec, s[8:9]
	s_cbranch_vccnz .LBB174_892
; %bb.891:
	s_cmp_gt_u32 s10, 0x7f800000
	s_movk_i32 s8, 0x7f
	s_cselect_b32 s8, s8, 0x7e
	v_mov_b32_e32 v3, s8
.LBB174_892:
	global_store_byte v[0:1], v3, off
.LBB174_893:
	s_mov_b64 s[8:9], 0
.LBB174_894:
	s_andn2_b64 vcc, exec, s[8:9]
	s_cbranch_vccnz .LBB174_906
; %bb.895:
	s_flbit_i32_b32 s8, s19
	s_min_u32 s10, s8, 32
	s_lshl_b64 s[8:9], s[18:19], s10
	s_min_u32 s8, s8, 1
	s_or_b32 s8, s9, s8
	v_cvt_f32_u32_e32 v2, s8
	s_sub_i32 s8, 32, s10
	v_ldexp_f32 v2, v2, s8
	s_mov_b32 s8, 0x47800000
	v_cmp_gt_u32_e32 vcc, s8, v2
	v_readfirstlane_b32 s10, v2
	s_cbranch_vccz .LBB174_898
; %bb.896:
	s_cmp_gt_u32 s10, 0x387fffff
	s_cbranch_scc0 .LBB174_899
; %bb.897:
	s_bfe_u32 s8, s10, 0x10015
	s_add_i32 s8, s10, s8
	s_add_i32 s8, s8, 0x80fffff
	s_lshr_b32 s11, s8, 21
	s_mov_b64 s[8:9], 0
	s_branch .LBB174_900
.LBB174_898:
	s_mov_b64 s[8:9], -1
                                        ; implicit-def: $vgpr3
	s_branch .LBB174_903
.LBB174_899:
	s_mov_b64 s[8:9], -1
                                        ; implicit-def: $sgpr11
.LBB174_900:
	s_andn2_b64 vcc, exec, s[8:9]
	v_mov_b32_e32 v3, s11
	s_cbranch_vccnz .LBB174_902
; %bb.901:
	v_add_f32_e32 v3, 0x43000000, v2
.LBB174_902:
	s_mov_b64 s[8:9], 0
.LBB174_903:
	s_andn2_b64 vcc, exec, s[8:9]
	s_cbranch_vccnz .LBB174_905
; %bb.904:
	s_cmp_gt_u32 s10, 0x7f800000
	s_movk_i32 s8, 0x7f
	s_cselect_b32 s8, s8, 0x7c
	v_mov_b32_e32 v3, s8
.LBB174_905:
	global_store_byte v[0:1], v3, off
.LBB174_906:
	s_mov_b64 s[8:9], 0
.LBB174_907:
	s_andn2_b64 vcc, exec, s[8:9]
	s_mov_b64 s[8:9], 0
	s_cbranch_vccnz .LBB174_914
; %bb.908:
	s_cmp_gt_i32 s15, 14
	s_mov_b64 s[10:11], -1
	s_cbranch_scc0 .LBB174_912
; %bb.909:
	s_cmp_eq_u32 s15, 15
	s_mov_b64 s[6:7], -1
	s_cbranch_scc0 .LBB174_911
; %bb.910:
	s_flbit_i32_b32 s6, s19
	s_min_u32 s8, s6, 32
	s_lshl_b64 s[6:7], s[18:19], s8
	s_min_u32 s6, s6, 1
	s_or_b32 s6, s7, s6
	v_cvt_f32_u32_e32 v2, s6
	s_sub_i32 s6, 32, s8
	v_ldexp_f32 v2, v2, s6
	v_bfe_u32 v3, v2, 16, 1
	v_add_u32_e32 v2, v2, v3
	v_add_u32_e32 v2, 0x7fff, v2
	global_store_short_d16_hi v[0:1], v2, off
	s_mov_b64 s[6:7], 0
.LBB174_911:
	s_mov_b64 s[10:11], 0
.LBB174_912:
	s_mov_b64 s[8:9], 0
	s_and_b64 vcc, exec, s[10:11]
	s_cbranch_vccz .LBB174_914
; %bb.913:
	s_cmp_lg_u32 s15, 11
	s_mov_b64 s[8:9], -1
	s_cselect_b64 s[6:7], -1, 0
.LBB174_914:
	s_and_b64 vcc, exec, s[6:7]
	s_cbranch_vccnz .LBB174_916
.LBB174_915:
	s_mov_b64 s[6:7], 0
	s_branch .LBB174_833
.LBB174_916:
	s_mov_b64 s[8:9], 0
	s_or_b64 s[4:5], s[4:5], exec
	s_trap 2
	s_branch .LBB174_915
	.section	.rodata,"a",@progbits
	.p2align	6, 0x0
	.amdhsa_kernel _ZN2at6native32elementwise_kernel_manual_unrollILi128ELi4EZNS0_15gpu_kernel_implINS0_11FillFunctorImEEEEvRNS_18TensorIteratorBaseERKT_EUlibE_EEviT1_
		.amdhsa_group_segment_fixed_size 0
		.amdhsa_private_segment_fixed_size 0
		.amdhsa_kernarg_size 40
		.amdhsa_user_sgpr_count 6
		.amdhsa_user_sgpr_private_segment_buffer 1
		.amdhsa_user_sgpr_dispatch_ptr 0
		.amdhsa_user_sgpr_queue_ptr 0
		.amdhsa_user_sgpr_kernarg_segment_ptr 1
		.amdhsa_user_sgpr_dispatch_id 0
		.amdhsa_user_sgpr_flat_scratch_init 0
		.amdhsa_user_sgpr_private_segment_size 0
		.amdhsa_uses_dynamic_stack 0
		.amdhsa_system_sgpr_private_segment_wavefront_offset 0
		.amdhsa_system_sgpr_workgroup_id_x 1
		.amdhsa_system_sgpr_workgroup_id_y 0
		.amdhsa_system_sgpr_workgroup_id_z 0
		.amdhsa_system_sgpr_workgroup_info 0
		.amdhsa_system_vgpr_workitem_id 0
		.amdhsa_next_free_vgpr 23
		.amdhsa_next_free_sgpr 54
		.amdhsa_reserve_vcc 1
		.amdhsa_reserve_flat_scratch 0
		.amdhsa_float_round_mode_32 0
		.amdhsa_float_round_mode_16_64 0
		.amdhsa_float_denorm_mode_32 3
		.amdhsa_float_denorm_mode_16_64 3
		.amdhsa_dx10_clamp 1
		.amdhsa_ieee_mode 1
		.amdhsa_fp16_overflow 0
		.amdhsa_exception_fp_ieee_invalid_op 0
		.amdhsa_exception_fp_denorm_src 0
		.amdhsa_exception_fp_ieee_div_zero 0
		.amdhsa_exception_fp_ieee_overflow 0
		.amdhsa_exception_fp_ieee_underflow 0
		.amdhsa_exception_fp_ieee_inexact 0
		.amdhsa_exception_int_div_zero 0
	.end_amdhsa_kernel
	.section	.text._ZN2at6native32elementwise_kernel_manual_unrollILi128ELi4EZNS0_15gpu_kernel_implINS0_11FillFunctorImEEEEvRNS_18TensorIteratorBaseERKT_EUlibE_EEviT1_,"axG",@progbits,_ZN2at6native32elementwise_kernel_manual_unrollILi128ELi4EZNS0_15gpu_kernel_implINS0_11FillFunctorImEEEEvRNS_18TensorIteratorBaseERKT_EUlibE_EEviT1_,comdat
.Lfunc_end174:
	.size	_ZN2at6native32elementwise_kernel_manual_unrollILi128ELi4EZNS0_15gpu_kernel_implINS0_11FillFunctorImEEEEvRNS_18TensorIteratorBaseERKT_EUlibE_EEviT1_, .Lfunc_end174-_ZN2at6native32elementwise_kernel_manual_unrollILi128ELi4EZNS0_15gpu_kernel_implINS0_11FillFunctorImEEEEvRNS_18TensorIteratorBaseERKT_EUlibE_EEviT1_
                                        ; -- End function
	.set _ZN2at6native32elementwise_kernel_manual_unrollILi128ELi4EZNS0_15gpu_kernel_implINS0_11FillFunctorImEEEEvRNS_18TensorIteratorBaseERKT_EUlibE_EEviT1_.num_vgpr, 23
	.set _ZN2at6native32elementwise_kernel_manual_unrollILi128ELi4EZNS0_15gpu_kernel_implINS0_11FillFunctorImEEEEvRNS_18TensorIteratorBaseERKT_EUlibE_EEviT1_.num_agpr, 0
	.set _ZN2at6native32elementwise_kernel_manual_unrollILi128ELi4EZNS0_15gpu_kernel_implINS0_11FillFunctorImEEEEvRNS_18TensorIteratorBaseERKT_EUlibE_EEviT1_.numbered_sgpr, 54
	.set _ZN2at6native32elementwise_kernel_manual_unrollILi128ELi4EZNS0_15gpu_kernel_implINS0_11FillFunctorImEEEEvRNS_18TensorIteratorBaseERKT_EUlibE_EEviT1_.num_named_barrier, 0
	.set _ZN2at6native32elementwise_kernel_manual_unrollILi128ELi4EZNS0_15gpu_kernel_implINS0_11FillFunctorImEEEEvRNS_18TensorIteratorBaseERKT_EUlibE_EEviT1_.private_seg_size, 0
	.set _ZN2at6native32elementwise_kernel_manual_unrollILi128ELi4EZNS0_15gpu_kernel_implINS0_11FillFunctorImEEEEvRNS_18TensorIteratorBaseERKT_EUlibE_EEviT1_.uses_vcc, 1
	.set _ZN2at6native32elementwise_kernel_manual_unrollILi128ELi4EZNS0_15gpu_kernel_implINS0_11FillFunctorImEEEEvRNS_18TensorIteratorBaseERKT_EUlibE_EEviT1_.uses_flat_scratch, 0
	.set _ZN2at6native32elementwise_kernel_manual_unrollILi128ELi4EZNS0_15gpu_kernel_implINS0_11FillFunctorImEEEEvRNS_18TensorIteratorBaseERKT_EUlibE_EEviT1_.has_dyn_sized_stack, 0
	.set _ZN2at6native32elementwise_kernel_manual_unrollILi128ELi4EZNS0_15gpu_kernel_implINS0_11FillFunctorImEEEEvRNS_18TensorIteratorBaseERKT_EUlibE_EEviT1_.has_recursion, 0
	.set _ZN2at6native32elementwise_kernel_manual_unrollILi128ELi4EZNS0_15gpu_kernel_implINS0_11FillFunctorImEEEEvRNS_18TensorIteratorBaseERKT_EUlibE_EEviT1_.has_indirect_call, 0
	.section	.AMDGPU.csdata,"",@progbits
; Kernel info:
; codeLenInByte = 13296
; TotalNumSgprs: 58
; NumVgprs: 23
; ScratchSize: 0
; MemoryBound: 0
; FloatMode: 240
; IeeeMode: 1
; LDSByteSize: 0 bytes/workgroup (compile time only)
; SGPRBlocks: 7
; VGPRBlocks: 5
; NumSGPRsForWavesPerEU: 58
; NumVGPRsForWavesPerEU: 23
; Occupancy: 10
; WaveLimiterHint : 0
; COMPUTE_PGM_RSRC2:SCRATCH_EN: 0
; COMPUTE_PGM_RSRC2:USER_SGPR: 6
; COMPUTE_PGM_RSRC2:TRAP_HANDLER: 0
; COMPUTE_PGM_RSRC2:TGID_X_EN: 1
; COMPUTE_PGM_RSRC2:TGID_Y_EN: 0
; COMPUTE_PGM_RSRC2:TGID_Z_EN: 0
; COMPUTE_PGM_RSRC2:TIDIG_COMP_CNT: 0
	.section	.text._ZN2at6native32elementwise_kernel_manual_unrollILi128ELi4EZNS0_15gpu_kernel_implINS0_11FillFunctorImEEEEvRNS_18TensorIteratorBaseERKT_EUlibE0_EEviT1_,"axG",@progbits,_ZN2at6native32elementwise_kernel_manual_unrollILi128ELi4EZNS0_15gpu_kernel_implINS0_11FillFunctorImEEEEvRNS_18TensorIteratorBaseERKT_EUlibE0_EEviT1_,comdat
	.protected	_ZN2at6native32elementwise_kernel_manual_unrollILi128ELi4EZNS0_15gpu_kernel_implINS0_11FillFunctorImEEEEvRNS_18TensorIteratorBaseERKT_EUlibE0_EEviT1_ ; -- Begin function _ZN2at6native32elementwise_kernel_manual_unrollILi128ELi4EZNS0_15gpu_kernel_implINS0_11FillFunctorImEEEEvRNS_18TensorIteratorBaseERKT_EUlibE0_EEviT1_
	.globl	_ZN2at6native32elementwise_kernel_manual_unrollILi128ELi4EZNS0_15gpu_kernel_implINS0_11FillFunctorImEEEEvRNS_18TensorIteratorBaseERKT_EUlibE0_EEviT1_
	.p2align	8
	.type	_ZN2at6native32elementwise_kernel_manual_unrollILi128ELi4EZNS0_15gpu_kernel_implINS0_11FillFunctorImEEEEvRNS_18TensorIteratorBaseERKT_EUlibE0_EEviT1_,@function
_ZN2at6native32elementwise_kernel_manual_unrollILi128ELi4EZNS0_15gpu_kernel_implINS0_11FillFunctorImEEEEvRNS_18TensorIteratorBaseERKT_EUlibE0_EEviT1_: ; @_ZN2at6native32elementwise_kernel_manual_unrollILi128ELi4EZNS0_15gpu_kernel_implINS0_11FillFunctorImEEEEvRNS_18TensorIteratorBaseERKT_EUlibE0_EEviT1_
; %bb.0:
	s_load_dword s82, s[4:5], 0x0
	s_load_dword s33, s[4:5], 0x8
	s_add_u32 s34, s4, 8
	s_addc_u32 s35, s5, 0
	v_lshl_or_b32 v8, s6, 9, v0
	v_or_b32_e32 v9, 0x180, v8
	s_waitcnt lgkmcnt(0)
	s_add_i32 s80, s33, -1
	s_cmp_gt_u32 s80, 1
	v_cmp_le_i32_e32 vcc, s82, v9
	s_cselect_b64 s[48:49], -1, 0
	s_mov_b64 s[18:19], 0
	s_mov_b64 s[20:21], 0
	s_and_saveexec_b64 s[0:1], vcc
	s_xor_b64 s[50:51], exec, s[0:1]
	s_cbranch_execz .LBB175_462
; %bb.1:
	s_load_dwordx2 s[56:57], s[34:35], 0xc4
	s_load_dwordx4 s[28:31], s[34:35], 0x108
	s_cmp_lg_u32 s33, 0
	s_cselect_b64 s[64:65], -1, 0
	s_add_u32 s62, s34, 0xc4
	s_addc_u32 s63, s35, 0
	s_min_u32 s83, s80, 15
	s_cmp_gt_u32 s33, 1
	s_waitcnt lgkmcnt(0)
	s_flbit_i32_b32 s0, s31
	s_cselect_b64 s[58:59], -1, 0
	s_min_u32 s2, s0, 32
	s_lshl_b64 s[0:1], s[30:31], s2
	s_min_u32 s0, s0, 1
	s_or_b32 s0, s1, s0
	v_cvt_f32_u32_e32 v0, s0
	s_sub_i32 s0, 32, s2
	s_mov_b32 s2, 0x47800000
	v_mov_b32_e32 v3, 0x7e
	v_ldexp_f32 v4, v0, s0
	v_and_b32_e32 v1, 0x400000, v4
	v_lshrrev_b32_e32 v0, 23, v4
	v_cmp_ne_u32_e32 vcc, 0, v1
	v_and_b32_e32 v1, 0x3fffff, v4
	s_movk_i32 s0, 0xff
	v_or_b32_e32 v1, v0, v1
	v_cmp_eq_u32_e64 s[16:17], s0, v0
	v_cmp_ne_u32_e64 s[0:1], 0, v1
	s_and_b64 s[0:1], vcc, s[0:1]
	v_cndmask_b32_e64 v1, 0, 1, s[0:1]
	s_mov_b32 s0, 0x43800000
	v_cmp_gt_u32_e64 s[14:15], s0, v4
	s_mov_b32 s0, 0x3bffffff
	v_add_f32_e32 v21, 0x46000000, v4
	v_add_u32_e32 v22, v0, v1
	v_cmp_lt_u32_e64 s[12:13], s0, v4
	v_bfe_u32 v0, v4, 20, 1
	v_readfirstlane_b32 s0, v21
	v_add_u32_e32 v0, v4, v0
	s_and_b32 s0, s0, 0xff
	v_cmp_gt_u32_e64 s[10:11], s2, v4
	s_mov_b32 s2, 0x37ffffff
	v_add_f32_e32 v16, 0x42800000, v4
	v_add_u32_e32 v1, 0x487ffff, v0
	s_cmp_lg_u32 s0, 0
	v_cmp_lt_u32_e64 s[8:9], s2, v4
	v_readfirstlane_b32 s2, v16
	v_lshrrev_b32_e32 v20, 20, v1
	s_cselect_b64 s[54:55], -1, 0
	v_bfe_u32 v1, v4, 21, 1
	s_and_b32 s2, s2, 0xff
	v_add_u32_e32 v1, v4, v1
	s_cmp_lg_u32 s2, 0
	s_mov_b32 s2, 0x43efffff
	v_add_u32_e32 v2, 0x88fffff, v1
	v_cmp_lt_u32_e64 s[4:5], s2, v4
	s_mov_b32 s2, 0x3c800000
	v_add_u32_e32 v0, 0x407ffff, v0
	v_lshrrev_b32_e32 v15, 21, v2
	v_cmp_gt_u32_e64 s[6:7], s2, v4
	v_lshrrev_b32_e32 v2, 20, v0
	v_and_b32_e32 v0, 0xff00000, v0
	s_mov_b32 s2, 0x7f00000
	v_cmp_ne_u32_e32 vcc, s2, v0
	v_add_u32_e32 v0, 0x80fffff, v1
	v_lshrrev_b32_e32 v12, 21, v0
	v_cvt_f64_u32_e32 v[0:1], s31
	s_mov_b32 s20, 0x7f800000
	v_cndmask_b32_e32 v13, v3, v2, vcc
	v_mov_b32_e32 v2, 0x7f
	v_ldexp_f64 v[0:1], v[0:1], 32
	v_cmp_lt_u32_e32 vcc, s20, v4
	v_cndmask_b32_e32 v19, v3, v2, vcc
	v_mov_b32_e32 v3, 0x7c
	v_cndmask_b32_e32 v18, v3, v2, vcc
	v_bfe_u32 v2, v4, 16, 1
	v_add_u32_e32 v5, v4, v2
	v_cvt_f64_u32_e32 v[2:3], s30
	s_load_dwordx4 s[36:39], s[34:35], 0x4
	s_load_dwordx2 s[60:61], s[34:35], 0x14
	s_load_dword s81, s[34:35], 0x118
	v_cvt_f16_f32_e32 v9, v4
	s_cselect_b64 s[52:53], -1, 0
	v_add_f64 v[0:1], v[0:1], v[2:3]
	s_cmp_lg_u64 s[30:31], 0
	s_mov_b32 s0, 0x477fffff
	s_mov_b32 s2, 0x38800000
	v_add_u32_e32 v5, 0x7fff, v5
	s_cselect_b64 s[20:21], -1, 0
	v_cmp_lt_u32_e64 s[0:1], s0, v4
	v_add_f32_e32 v14, 0x46800000, v4
	v_cmp_gt_u32_e64 s[2:3], s2, v4
	v_add_f32_e32 v17, 0x43000000, v4
	v_lshrrev_b32_e32 v11, 16, v5
	s_mov_b64 s[72:73], 0
	v_cmp_gt_i32_e32 vcc, s82, v8
	s_mov_b64 s[22:23], -1
	s_mov_b64 s[66:67], 0
	v_cndmask_b32_e64 v10, 0, 1, s[20:21]
	s_and_saveexec_b64 s[68:69], vcc
	s_cbranch_execz .LBB175_114
; %bb.2:
	s_andn2_b64 vcc, exec, s[48:49]
	s_cbranch_vccnz .LBB175_7
; %bb.3:
	s_andn2_b64 vcc, exec, s[64:65]
	s_cbranch_vccnz .LBB175_8
; %bb.4:
	s_add_i32 s75, s83, 1
	s_cmp_eq_u32 s80, 2
	s_cbranch_scc1 .LBB175_9
; %bb.5:
	s_and_b32 s74, s75, 28
	s_mov_b32 s76, 0
	v_mov_b32_e32 v2, 0
	s_mov_b64 s[66:67], s[34:35]
	s_mov_b64 s[70:71], s[62:63]
	v_mov_b32_e32 v3, v8
.LBB175_6:                              ; =>This Inner Loop Header: Depth=1
	s_load_dwordx8 s[20:27], s[66:67], 0x4
	s_load_dwordx4 s[40:43], s[66:67], 0x24
	s_load_dwordx4 s[44:47], s[70:71], 0x0
	s_add_u32 s66, s66, 48
	s_addc_u32 s67, s67, 0
	s_waitcnt lgkmcnt(0)
	v_mul_hi_u32 v5, s21, v3
	s_add_i32 s76, s76, 4
	s_add_u32 s70, s70, 16
	s_addc_u32 s71, s71, 0
	v_add_u32_e32 v5, v3, v5
	v_lshrrev_b32_e32 v5, s22, v5
	v_mul_lo_u32 v6, v5, s20
	v_mul_hi_u32 v7, s24, v5
	s_cmp_lg_u32 s74, s76
	v_sub_u32_e32 v3, v3, v6
	v_add_u32_e32 v6, v5, v7
	v_lshrrev_b32_e32 v6, s25, v6
	v_mul_lo_u32 v7, v3, s44
	v_mul_hi_u32 v3, s27, v6
	v_mul_lo_u32 v24, v6, s23
	v_add_u32_e32 v3, v6, v3
	v_lshrrev_b32_e32 v23, s40, v3
	v_mul_hi_u32 v3, s42, v23
	v_sub_u32_e32 v5, v5, v24
	v_mul_lo_u32 v24, v23, s26
	v_mul_lo_u32 v5, v5, s45
	v_add_u32_e32 v3, v23, v3
	v_lshrrev_b32_e32 v3, s43, v3
	v_mul_lo_u32 v25, v3, s41
	v_sub_u32_e32 v6, v6, v24
	v_mul_lo_u32 v6, v6, s46
	v_add3_u32 v2, v7, v2, v5
	v_sub_u32_e32 v23, v23, v25
	v_mul_lo_u32 v23, v23, s47
	v_add3_u32 v2, v6, v2, v23
	s_cbranch_scc1 .LBB175_6
	s_branch .LBB175_10
.LBB175_7:
                                        ; implicit-def: $vgpr2
	s_branch .LBB175_14
.LBB175_8:
	v_mov_b32_e32 v2, 0
	s_branch .LBB175_13
.LBB175_9:
	v_mov_b32_e32 v2, 0
	s_mov_b32 s74, 0
	v_mov_b32_e32 v3, v8
.LBB175_10:
	s_and_b32 s24, s75, 3
	s_cmp_eq_u32 s24, 0
	s_cbranch_scc1 .LBB175_13
; %bb.11:
	s_lshl_b32 s20, s74, 2
	s_add_u32 s20, s34, s20
	s_addc_u32 s21, s35, 0
	s_add_u32 s20, s20, 0xc4
	s_addc_u32 s21, s21, 0
	s_mul_i32 s22, s74, 12
	s_add_u32 s22, s34, s22
	s_addc_u32 s23, s35, 0
.LBB175_12:                             ; =>This Inner Loop Header: Depth=1
	s_load_dwordx2 s[26:27], s[22:23], 0x4
	s_load_dword s25, s[22:23], 0xc
	s_add_u32 s22, s22, 12
	s_addc_u32 s23, s23, 0
	s_waitcnt lgkmcnt(0)
	v_mul_hi_u32 v5, s27, v3
	s_load_dword s27, s[20:21], 0x0
	s_add_u32 s20, s20, 4
	s_addc_u32 s21, s21, 0
	v_add_u32_e32 v5, v3, v5
	v_lshrrev_b32_e32 v5, s25, v5
	v_mul_lo_u32 v6, v5, s26
	s_add_i32 s24, s24, -1
	s_cmp_lg_u32 s24, 0
	v_sub_u32_e32 v3, v3, v6
	s_waitcnt lgkmcnt(0)
	v_mad_u64_u32 v[2:3], s[26:27], v3, s27, v[2:3]
	v_mov_b32_e32 v3, v5
	s_cbranch_scc1 .LBB175_12
.LBB175_13:
	s_cbranch_execnz .LBB175_16
.LBB175_14:
	s_waitcnt lgkmcnt(0)
	v_mul_hi_u32 v2, s37, v8
	s_andn2_b64 vcc, exec, s[58:59]
	v_add_u32_e32 v2, v8, v2
	v_lshrrev_b32_e32 v3, s38, v2
	v_mul_lo_u32 v2, v3, s36
	v_sub_u32_e32 v2, v8, v2
	v_mul_lo_u32 v2, v2, s56
	s_cbranch_vccnz .LBB175_16
; %bb.15:
	v_mul_hi_u32 v5, s60, v3
	v_add_u32_e32 v5, v3, v5
	v_lshrrev_b32_e32 v5, s61, v5
	v_mul_lo_u32 v5, v5, s39
	v_sub_u32_e32 v3, v3, v5
	v_mad_u64_u32 v[2:3], s[20:21], v3, s57, v[2:3]
.LBB175_16:
	v_mov_b32_e32 v3, s29
	s_waitcnt lgkmcnt(0)
	s_and_b32 s26, s81, 0xff
	v_add_co_u32_e32 v6, vcc, s28, v2
	s_cmp_lt_i32 s26, 11
	v_addc_co_u32_e32 v7, vcc, 0, v3, vcc
	s_cbranch_scc1 .LBB175_23
; %bb.17:
	s_and_b32 s27, 0xffff, s26
	s_cmp_gt_i32 s27, 25
	s_cbranch_scc0 .LBB175_26
; %bb.18:
	s_cmp_gt_i32 s27, 28
	s_cbranch_scc0 .LBB175_27
; %bb.19:
	;; [unrolled: 3-line block ×4, first 2 shown]
	s_mov_b64 s[24:25], 0
	s_mov_b64 s[20:21], -1
	s_cmp_eq_u32 s27, 46
	s_mov_b64 s[22:23], 0
	s_cbranch_scc0 .LBB175_30
; %bb.22:
	global_store_dword v[6:7], v11, off
	s_mov_b64 s[22:23], -1
	s_mov_b64 s[20:21], 0
	s_branch .LBB175_30
.LBB175_23:
	s_mov_b64 s[20:21], 0
	s_mov_b64 s[22:23], 0
	s_cbranch_execnz .LBB175_74
.LBB175_24:
	s_andn2_b64 vcc, exec, s[22:23]
	s_cbranch_vccnz .LBB175_112
.LBB175_25:
	v_add_u32_e32 v8, 0x80, v8
	s_mov_b64 s[22:23], -1
	s_branch .LBB175_113
.LBB175_26:
	s_mov_b64 s[20:21], 0
	s_mov_b64 s[22:23], 0
	s_cbranch_execnz .LBB175_52
	s_branch .LBB175_73
.LBB175_27:
	s_mov_b64 s[24:25], -1
	s_mov_b64 s[20:21], 0
	s_mov_b64 s[22:23], 0
	s_branch .LBB175_38
.LBB175_28:
	s_mov_b64 s[24:25], -1
	s_mov_b64 s[20:21], 0
	s_mov_b64 s[22:23], 0
	s_branch .LBB175_34
.LBB175_29:
	s_mov_b64 s[24:25], -1
	s_mov_b64 s[20:21], 0
	s_mov_b64 s[22:23], 0
.LBB175_30:
	s_and_b64 vcc, exec, s[24:25]
	s_cbranch_vccz .LBB175_33
; %bb.31:
	s_cmp_eq_u32 s27, 44
	s_mov_b64 s[20:21], -1
	s_cbranch_scc0 .LBB175_33
; %bb.32:
	v_mov_b32_e32 v2, 0xffff
	v_cndmask_b32_e64 v2, v22, v2, s[16:17]
	global_store_byte v[6:7], v2, off
	s_mov_b64 s[22:23], -1
	s_mov_b64 s[20:21], 0
.LBB175_33:
	s_mov_b64 s[24:25], 0
.LBB175_34:
	s_and_b64 vcc, exec, s[24:25]
	s_cbranch_vccz .LBB175_37
; %bb.35:
	s_cmp_eq_u32 s27, 29
	s_mov_b64 s[20:21], -1
	s_cbranch_scc0 .LBB175_37
; %bb.36:
	v_mov_b32_e32 v2, s30
	v_mov_b32_e32 v3, s31
	global_store_dwordx2 v[6:7], v[2:3], off
	s_mov_b64 s[22:23], -1
	s_mov_b64 s[20:21], 0
.LBB175_37:
	s_mov_b64 s[24:25], 0
.LBB175_38:
	s_and_b64 vcc, exec, s[24:25]
	s_cbranch_vccz .LBB175_51
; %bb.39:
	s_cmp_lt_i32 s27, 27
	s_mov_b64 s[22:23], -1
	s_cbranch_scc1 .LBB175_45
; %bb.40:
	s_cmp_gt_i32 s27, 27
	s_cbranch_scc0 .LBB175_42
; %bb.41:
	v_mov_b32_e32 v2, s30
	s_mov_b64 s[22:23], 0
	global_store_dword v[6:7], v2, off
.LBB175_42:
	s_andn2_b64 vcc, exec, s[22:23]
	s_cbranch_vccnz .LBB175_44
; %bb.43:
	v_mov_b32_e32 v2, s30
	global_store_short v[6:7], v2, off
.LBB175_44:
	s_mov_b64 s[22:23], 0
.LBB175_45:
	s_andn2_b64 vcc, exec, s[22:23]
	s_cbranch_vccnz .LBB175_50
; %bb.46:
	s_andn2_b64 vcc, exec, s[14:15]
	v_mov_b32_e32 v2, 0x80
	s_cbranch_vccnz .LBB175_49
; %bb.47:
	s_or_b64 s[22:23], s[12:13], s[54:55]
	s_andn2_b64 vcc, exec, s[22:23]
	v_mov_b32_e32 v2, 0
	s_cbranch_vccnz .LBB175_49
; %bb.48:
	v_cndmask_b32_e64 v2, v21, v20, s[12:13]
.LBB175_49:
	global_store_byte v[6:7], v2, off
.LBB175_50:
	s_mov_b64 s[22:23], -1
.LBB175_51:
	s_branch .LBB175_73
.LBB175_52:
	s_cmp_gt_i32 s27, 22
	s_mov_b64 s[24:25], -1
	s_cbranch_scc0 .LBB175_65
; %bb.53:
	s_cmp_lt_i32 s27, 24
	s_mov_b64 s[22:23], -1
	s_cbranch_scc1 .LBB175_62
; %bb.54:
	s_cmp_gt_i32 s27, 24
	s_cbranch_scc0 .LBB175_59
; %bb.55:
	s_andn2_b64 vcc, exec, s[10:11]
	v_mov_b32_e32 v2, 0x80
	s_cbranch_vccnz .LBB175_58
; %bb.56:
	s_or_b64 s[22:23], s[8:9], s[52:53]
	s_andn2_b64 vcc, exec, s[22:23]
	v_mov_b32_e32 v2, 0
	s_cbranch_vccnz .LBB175_58
; %bb.57:
	v_cndmask_b32_e64 v2, v16, v15, s[8:9]
.LBB175_58:
	s_mov_b64 s[22:23], 0
	global_store_byte v[6:7], v2, off
.LBB175_59:
	s_and_b64 vcc, exec, s[22:23]
	s_cbranch_vccz .LBB175_61
; %bb.60:
	v_cndmask_b32_e64 v2, v13, v14, s[6:7]
	v_cndmask_b32_e64 v2, v2, v19, s[4:5]
	global_store_byte v[6:7], v2, off
.LBB175_61:
	s_mov_b64 s[22:23], 0
.LBB175_62:
	s_andn2_b64 vcc, exec, s[22:23]
	s_cbranch_vccnz .LBB175_64
; %bb.63:
	v_cndmask_b32_e64 v2, v12, v17, s[2:3]
	v_cndmask_b32_e64 v2, v2, v18, s[0:1]
	global_store_byte v[6:7], v2, off
.LBB175_64:
	s_mov_b64 s[24:25], 0
	s_mov_b64 s[22:23], -1
.LBB175_65:
	s_andn2_b64 vcc, exec, s[24:25]
	s_cbranch_vccnz .LBB175_73
; %bb.66:
	s_cmp_gt_i32 s27, 14
	s_mov_b64 s[24:25], -1
	s_cbranch_scc0 .LBB175_70
; %bb.67:
	s_cmp_eq_u32 s27, 15
	s_mov_b64 s[20:21], -1
	s_cbranch_scc0 .LBB175_69
; %bb.68:
	global_store_short v[6:7], v11, off
	s_mov_b64 s[22:23], -1
	s_mov_b64 s[20:21], 0
.LBB175_69:
	s_mov_b64 s[24:25], 0
.LBB175_70:
	s_and_b64 vcc, exec, s[24:25]
	s_cbranch_vccz .LBB175_73
; %bb.71:
	s_cmp_eq_u32 s27, 11
	s_mov_b64 s[20:21], -1
	s_cbranch_scc0 .LBB175_73
; %bb.72:
	s_mov_b64 s[22:23], -1
	s_mov_b64 s[20:21], 0
	global_store_byte v[6:7], v10, off
.LBB175_73:
	s_branch .LBB175_24
.LBB175_74:
	s_and_b32 s24, 0xffff, s26
	s_cmp_lt_i32 s24, 5
	s_mov_b64 s[22:23], -1
	s_cbranch_scc1 .LBB175_95
; %bb.75:
	s_cmp_lt_i32 s24, 8
	s_cbranch_scc1 .LBB175_85
; %bb.76:
	s_cmp_lt_i32 s24, 9
	s_cbranch_scc1 .LBB175_82
; %bb.77:
	s_cmp_gt_i32 s24, 9
	s_cbranch_scc0 .LBB175_79
; %bb.78:
	v_mov_b32_e32 v2, 0
	v_mov_b32_e32 v3, v2
	global_store_dwordx4 v[6:7], v[0:3], off
	s_mov_b64 s[22:23], 0
.LBB175_79:
	s_andn2_b64 vcc, exec, s[22:23]
	s_cbranch_vccnz .LBB175_81
; %bb.80:
	v_mov_b32_e32 v5, 0
	global_store_dwordx2 v[6:7], v[4:5], off
.LBB175_81:
	s_mov_b64 s[22:23], 0
.LBB175_82:
	s_andn2_b64 vcc, exec, s[22:23]
	s_cbranch_vccnz .LBB175_84
; %bb.83:
	global_store_dword v[6:7], v9, off
.LBB175_84:
	s_mov_b64 s[22:23], 0
.LBB175_85:
	s_andn2_b64 vcc, exec, s[22:23]
	s_cbranch_vccnz .LBB175_94
; %bb.86:
	s_cmp_lt_i32 s24, 6
	s_mov_b64 s[22:23], -1
	s_cbranch_scc1 .LBB175_92
; %bb.87:
	s_cmp_gt_i32 s24, 6
	s_cbranch_scc0 .LBB175_89
; %bb.88:
	global_store_dwordx2 v[6:7], v[0:1], off
	s_mov_b64 s[22:23], 0
.LBB175_89:
	s_andn2_b64 vcc, exec, s[22:23]
	s_cbranch_vccnz .LBB175_91
; %bb.90:
	global_store_dword v[6:7], v4, off
.LBB175_91:
	s_mov_b64 s[22:23], 0
.LBB175_92:
	s_andn2_b64 vcc, exec, s[22:23]
	s_cbranch_vccnz .LBB175_94
; %bb.93:
	global_store_short v[6:7], v9, off
.LBB175_94:
	s_mov_b64 s[22:23], 0
.LBB175_95:
	s_andn2_b64 vcc, exec, s[22:23]
	s_cbranch_vccnz .LBB175_111
; %bb.96:
	s_cmp_lt_i32 s24, 2
	s_mov_b64 s[22:23], -1
	s_cbranch_scc1 .LBB175_106
; %bb.97:
	s_cmp_lt_i32 s24, 3
	s_cbranch_scc1 .LBB175_103
; %bb.98:
	s_cmp_gt_i32 s24, 3
	s_cbranch_scc0 .LBB175_100
; %bb.99:
	v_mov_b32_e32 v2, s30
	v_mov_b32_e32 v3, s31
	global_store_dwordx2 v[6:7], v[2:3], off
	s_mov_b64 s[22:23], 0
.LBB175_100:
	s_andn2_b64 vcc, exec, s[22:23]
	s_cbranch_vccnz .LBB175_102
; %bb.101:
	v_mov_b32_e32 v2, s30
	global_store_dword v[6:7], v2, off
.LBB175_102:
	s_mov_b64 s[22:23], 0
.LBB175_103:
	s_andn2_b64 vcc, exec, s[22:23]
	s_cbranch_vccnz .LBB175_105
; %bb.104:
	v_mov_b32_e32 v2, s30
	global_store_short v[6:7], v2, off
.LBB175_105:
	s_mov_b64 s[22:23], 0
.LBB175_106:
	s_andn2_b64 vcc, exec, s[22:23]
	s_cbranch_vccnz .LBB175_111
; %bb.107:
	s_cmp_gt_i32 s24, 0
	s_mov_b64 s[22:23], -1
	s_cbranch_scc0 .LBB175_109
; %bb.108:
	v_mov_b32_e32 v2, s30
	global_store_byte v[6:7], v2, off
	s_mov_b64 s[22:23], 0
.LBB175_109:
	s_andn2_b64 vcc, exec, s[22:23]
	s_cbranch_vccnz .LBB175_111
; %bb.110:
	v_mov_b32_e32 v2, s30
	global_store_byte v[6:7], v2, off
.LBB175_111:
	s_branch .LBB175_25
.LBB175_112:
	s_mov_b64 s[22:23], 0
                                        ; implicit-def: $vgpr8
.LBB175_113:
	s_and_b64 s[66:67], s[20:21], exec
	s_orn2_b64 s[22:23], s[22:23], exec
.LBB175_114:
	s_or_b64 exec, exec, s[68:69]
	s_mov_b64 s[20:21], 0
                                        ; implicit-def: $sgpr40
                                        ; implicit-def: $vgpr6_vgpr7
	s_and_saveexec_b64 s[68:69], s[22:23]
	s_cbranch_execz .LBB175_121
; %bb.115:
	v_cmp_gt_i32_e32 vcc, s82, v8
	s_mov_b64 s[20:21], -1
	s_mov_b64 s[70:71], s[66:67]
	s_and_saveexec_b64 s[72:73], vcc
	s_cbranch_execz .LBB175_232
; %bb.116:
	s_andn2_b64 vcc, exec, s[48:49]
	s_cbranch_vccnz .LBB175_124
; %bb.117:
	s_andn2_b64 vcc, exec, s[64:65]
	s_cbranch_vccnz .LBB175_125
; %bb.118:
	s_add_i32 s77, s83, 1
	s_cmp_eq_u32 s80, 2
	s_cbranch_scc1 .LBB175_126
; %bb.119:
	s_and_b32 s76, s77, 28
	s_mov_b32 s78, 0
	v_mov_b32_e32 v2, 0
	s_mov_b64 s[70:71], s[34:35]
	s_mov_b64 s[74:75], s[62:63]
	v_mov_b32_e32 v3, v8
.LBB175_120:                            ; =>This Inner Loop Header: Depth=1
	s_load_dwordx8 s[20:27], s[70:71], 0x4
	s_load_dwordx4 s[40:43], s[70:71], 0x24
	s_load_dwordx4 s[44:47], s[74:75], 0x0
	s_add_u32 s70, s70, 48
	s_addc_u32 s71, s71, 0
	s_waitcnt lgkmcnt(0)
	v_mul_hi_u32 v5, s21, v3
	s_add_i32 s78, s78, 4
	s_add_u32 s74, s74, 16
	s_addc_u32 s75, s75, 0
	v_add_u32_e32 v5, v3, v5
	v_lshrrev_b32_e32 v5, s22, v5
	v_mul_lo_u32 v6, v5, s20
	v_mul_hi_u32 v7, s24, v5
	s_cmp_eq_u32 s76, s78
	v_sub_u32_e32 v3, v3, v6
	v_add_u32_e32 v6, v5, v7
	v_lshrrev_b32_e32 v6, s25, v6
	v_mul_lo_u32 v7, v3, s44
	v_mul_hi_u32 v3, s27, v6
	v_mul_lo_u32 v24, v6, s23
	v_add_u32_e32 v3, v6, v3
	v_lshrrev_b32_e32 v23, s40, v3
	v_mul_hi_u32 v3, s42, v23
	v_sub_u32_e32 v5, v5, v24
	v_mul_lo_u32 v24, v23, s26
	v_mul_lo_u32 v5, v5, s45
	v_add_u32_e32 v3, v23, v3
	v_lshrrev_b32_e32 v3, s43, v3
	v_mul_lo_u32 v25, v3, s41
	v_sub_u32_e32 v6, v6, v24
	v_mul_lo_u32 v6, v6, s46
	v_add3_u32 v2, v7, v2, v5
	v_sub_u32_e32 v23, v23, v25
	v_mul_lo_u32 v23, v23, s47
	v_add3_u32 v2, v6, v2, v23
	s_cbranch_scc0 .LBB175_120
	s_branch .LBB175_127
.LBB175_121:
	s_or_b64 exec, exec, s[68:69]
	s_mov_b64 s[0:1], 0
	s_and_saveexec_b64 s[2:3], s[66:67]
	s_cbranch_execnz .LBB175_422
.LBB175_122:
	s_or_b64 exec, exec, s[2:3]
	s_and_saveexec_b64 s[2:3], s[72:73]
	s_xor_b64 s[2:3], exec, s[2:3]
	s_cbranch_execz .LBB175_423
.LBB175_123:
	global_store_byte v[6:7], v10, off
	s_or_b64 exec, exec, s[2:3]
	s_and_saveexec_b64 s[2:3], s[20:21]
	s_xor_b64 s[2:3], exec, s[2:3]
	s_cbranch_execz .LBB175_461
	s_branch .LBB175_424
.LBB175_124:
                                        ; implicit-def: $vgpr2
	s_andn2_b64 vcc, exec, s[20:21]
	s_cbranch_vccz .LBB175_131
	s_branch .LBB175_133
.LBB175_125:
	v_mov_b32_e32 v2, 0
	s_branch .LBB175_130
.LBB175_126:
	v_mov_b32_e32 v2, 0
	s_mov_b32 s76, 0
	v_mov_b32_e32 v3, v8
.LBB175_127:
	s_and_b32 s24, s77, 3
	s_cmp_eq_u32 s24, 0
	s_cbranch_scc1 .LBB175_130
; %bb.128:
	s_lshl_b32 s20, s76, 2
	s_add_u32 s20, s34, s20
	s_addc_u32 s21, s35, 0
	s_add_u32 s20, s20, 0xc4
	s_addc_u32 s21, s21, 0
	s_mul_i32 s22, s76, 12
	s_add_u32 s22, s34, s22
	s_addc_u32 s23, s35, 0
.LBB175_129:                            ; =>This Inner Loop Header: Depth=1
	s_load_dwordx2 s[26:27], s[22:23], 0x4
	s_load_dword s25, s[22:23], 0xc
	s_add_u32 s22, s22, 12
	s_addc_u32 s23, s23, 0
	s_waitcnt lgkmcnt(0)
	v_mul_hi_u32 v5, s27, v3
	s_load_dword s27, s[20:21], 0x0
	s_add_u32 s20, s20, 4
	s_addc_u32 s21, s21, 0
	v_add_u32_e32 v5, v3, v5
	v_lshrrev_b32_e32 v5, s25, v5
	v_mul_lo_u32 v6, v5, s26
	s_add_i32 s24, s24, -1
	s_cmp_lg_u32 s24, 0
	v_sub_u32_e32 v3, v3, v6
	s_waitcnt lgkmcnt(0)
	v_mad_u64_u32 v[2:3], s[26:27], v3, s27, v[2:3]
	v_mov_b32_e32 v3, v5
	s_cbranch_scc1 .LBB175_129
.LBB175_130:
	s_cbranch_execnz .LBB175_133
.LBB175_131:
	s_waitcnt lgkmcnt(0)
	v_mul_hi_u32 v2, s37, v8
	s_andn2_b64 vcc, exec, s[58:59]
	v_add_u32_e32 v2, v8, v2
	v_lshrrev_b32_e32 v3, s38, v2
	v_mul_lo_u32 v2, v3, s36
	v_sub_u32_e32 v2, v8, v2
	v_mul_lo_u32 v2, v2, s56
	s_cbranch_vccnz .LBB175_133
; %bb.132:
	v_mul_hi_u32 v5, s60, v3
	v_add_u32_e32 v5, v3, v5
	v_lshrrev_b32_e32 v5, s61, v5
	v_mul_lo_u32 v5, v5, s39
	v_sub_u32_e32 v3, v3, v5
	v_mad_u64_u32 v[2:3], s[20:21], v3, s57, v[2:3]
.LBB175_133:
	v_mov_b32_e32 v3, s29
	s_waitcnt lgkmcnt(0)
	s_and_b32 s26, s81, 0xff
	v_add_co_u32_e32 v6, vcc, s28, v2
	s_cmp_lt_i32 s26, 11
	v_addc_co_u32_e32 v7, vcc, 0, v3, vcc
	s_cbranch_scc1 .LBB175_140
; %bb.134:
	s_and_b32 s27, 0xffff, s26
	s_cmp_gt_i32 s27, 25
	s_cbranch_scc0 .LBB175_143
; %bb.135:
	s_cmp_gt_i32 s27, 28
	s_cbranch_scc0 .LBB175_144
; %bb.136:
	;; [unrolled: 3-line block ×4, first 2 shown]
	s_mov_b64 s[24:25], 0
	s_mov_b64 s[20:21], -1
	s_cmp_eq_u32 s27, 46
	s_mov_b64 s[22:23], 0
	s_cbranch_scc0 .LBB175_147
; %bb.139:
	global_store_dword v[6:7], v11, off
	s_mov_b64 s[22:23], -1
	s_mov_b64 s[20:21], 0
	s_branch .LBB175_147
.LBB175_140:
	s_mov_b64 s[22:23], 0
	s_mov_b64 s[20:21], s[66:67]
	s_cbranch_execnz .LBB175_192
.LBB175_141:
	s_andn2_b64 vcc, exec, s[22:23]
	s_cbranch_vccnz .LBB175_230
.LBB175_142:
	v_add_u32_e32 v8, 0x80, v8
	s_mov_b64 s[22:23], -1
	s_branch .LBB175_231
.LBB175_143:
	s_mov_b64 s[24:25], -1
	s_mov_b64 s[22:23], 0
	s_mov_b64 s[20:21], s[66:67]
	s_branch .LBB175_169
.LBB175_144:
	s_mov_b64 s[24:25], -1
	s_mov_b64 s[22:23], 0
	s_mov_b64 s[20:21], s[66:67]
	s_branch .LBB175_155
.LBB175_145:
	s_mov_b64 s[24:25], -1
	s_mov_b64 s[22:23], 0
	s_mov_b64 s[20:21], s[66:67]
	s_branch .LBB175_151
.LBB175_146:
	s_mov_b64 s[24:25], -1
	s_mov_b64 s[22:23], 0
	s_mov_b64 s[20:21], s[66:67]
.LBB175_147:
	s_and_b64 vcc, exec, s[24:25]
	s_cbranch_vccz .LBB175_150
; %bb.148:
	s_cmp_eq_u32 s27, 44
	s_mov_b64 s[20:21], -1
	s_cbranch_scc0 .LBB175_150
; %bb.149:
	v_mov_b32_e32 v2, 0xffff
	v_cndmask_b32_e64 v2, v22, v2, s[16:17]
	s_mov_b64 s[22:23], -1
	s_mov_b64 s[20:21], 0
	global_store_byte v[6:7], v2, off
.LBB175_150:
	s_mov_b64 s[24:25], 0
.LBB175_151:
	s_and_b64 vcc, exec, s[24:25]
	s_cbranch_vccz .LBB175_154
; %bb.152:
	s_cmp_eq_u32 s27, 29
	s_mov_b64 s[20:21], -1
	s_cbranch_scc0 .LBB175_154
; %bb.153:
	v_mov_b32_e32 v2, s30
	v_mov_b32_e32 v3, s31
	global_store_dwordx2 v[6:7], v[2:3], off
	s_mov_b64 s[22:23], -1
	s_mov_b64 s[20:21], 0
.LBB175_154:
	s_mov_b64 s[24:25], 0
.LBB175_155:
	s_and_b64 vcc, exec, s[24:25]
	s_cbranch_vccz .LBB175_168
; %bb.156:
	s_cmp_lt_i32 s27, 27
	s_mov_b64 s[22:23], -1
	s_cbranch_scc1 .LBB175_162
; %bb.157:
	s_cmp_gt_i32 s27, 27
	s_cbranch_scc0 .LBB175_159
; %bb.158:
	v_mov_b32_e32 v2, s30
	s_mov_b64 s[22:23], 0
	global_store_dword v[6:7], v2, off
.LBB175_159:
	s_andn2_b64 vcc, exec, s[22:23]
	s_cbranch_vccnz .LBB175_161
; %bb.160:
	v_mov_b32_e32 v2, s30
	global_store_short v[6:7], v2, off
.LBB175_161:
	s_mov_b64 s[22:23], 0
.LBB175_162:
	s_andn2_b64 vcc, exec, s[22:23]
	s_cbranch_vccnz .LBB175_167
; %bb.163:
	s_andn2_b64 vcc, exec, s[14:15]
	v_mov_b32_e32 v2, 0x80
	s_cbranch_vccnz .LBB175_166
; %bb.164:
	s_or_b64 s[22:23], s[12:13], s[54:55]
	s_andn2_b64 vcc, exec, s[22:23]
	v_mov_b32_e32 v2, 0
	s_cbranch_vccnz .LBB175_166
; %bb.165:
	v_cndmask_b32_e64 v2, v21, v20, s[12:13]
.LBB175_166:
	global_store_byte v[6:7], v2, off
.LBB175_167:
	s_mov_b64 s[22:23], -1
.LBB175_168:
	s_mov_b64 s[24:25], 0
.LBB175_169:
	s_and_b64 vcc, exec, s[24:25]
	s_cbranch_vccz .LBB175_191
; %bb.170:
	s_cmp_gt_i32 s27, 22
	s_mov_b64 s[24:25], -1
	s_cbranch_scc0 .LBB175_183
; %bb.171:
	s_cmp_lt_i32 s27, 24
	s_mov_b64 s[22:23], -1
	s_cbranch_scc1 .LBB175_180
; %bb.172:
	s_cmp_gt_i32 s27, 24
	s_cbranch_scc0 .LBB175_177
; %bb.173:
	s_andn2_b64 vcc, exec, s[10:11]
	v_mov_b32_e32 v2, 0x80
	s_cbranch_vccnz .LBB175_176
; %bb.174:
	s_or_b64 s[22:23], s[8:9], s[52:53]
	s_andn2_b64 vcc, exec, s[22:23]
	v_mov_b32_e32 v2, 0
	s_cbranch_vccnz .LBB175_176
; %bb.175:
	v_cndmask_b32_e64 v2, v16, v15, s[8:9]
.LBB175_176:
	s_mov_b64 s[22:23], 0
	global_store_byte v[6:7], v2, off
.LBB175_177:
	s_and_b64 vcc, exec, s[22:23]
	s_cbranch_vccz .LBB175_179
; %bb.178:
	v_cndmask_b32_e64 v2, v13, v14, s[6:7]
	v_cndmask_b32_e64 v2, v2, v19, s[4:5]
	global_store_byte v[6:7], v2, off
.LBB175_179:
	s_mov_b64 s[22:23], 0
.LBB175_180:
	s_andn2_b64 vcc, exec, s[22:23]
	s_cbranch_vccnz .LBB175_182
; %bb.181:
	v_cndmask_b32_e64 v2, v12, v17, s[2:3]
	v_cndmask_b32_e64 v2, v2, v18, s[0:1]
	global_store_byte v[6:7], v2, off
.LBB175_182:
	s_mov_b64 s[24:25], 0
	s_mov_b64 s[22:23], -1
.LBB175_183:
	s_andn2_b64 vcc, exec, s[24:25]
	s_cbranch_vccnz .LBB175_191
; %bb.184:
	s_cmp_gt_i32 s27, 14
	s_mov_b64 s[24:25], -1
	s_cbranch_scc0 .LBB175_188
; %bb.185:
	s_cmp_eq_u32 s27, 15
	s_mov_b64 s[20:21], -1
	s_cbranch_scc0 .LBB175_187
; %bb.186:
	global_store_short v[6:7], v11, off
	s_mov_b64 s[22:23], -1
	s_mov_b64 s[20:21], 0
.LBB175_187:
	s_mov_b64 s[24:25], 0
.LBB175_188:
	s_and_b64 vcc, exec, s[24:25]
	s_cbranch_vccz .LBB175_191
; %bb.189:
	s_cmp_eq_u32 s27, 11
	s_mov_b64 s[20:21], -1
	s_cbranch_scc0 .LBB175_191
; %bb.190:
	s_mov_b64 s[22:23], -1
	s_mov_b64 s[20:21], 0
	global_store_byte v[6:7], v10, off
.LBB175_191:
	s_branch .LBB175_141
.LBB175_192:
	s_and_b32 s24, 0xffff, s26
	s_cmp_lt_i32 s24, 5
	s_mov_b64 s[22:23], -1
	s_cbranch_scc1 .LBB175_213
; %bb.193:
	s_cmp_lt_i32 s24, 8
	s_cbranch_scc1 .LBB175_203
; %bb.194:
	s_cmp_lt_i32 s24, 9
	s_cbranch_scc1 .LBB175_200
; %bb.195:
	s_cmp_gt_i32 s24, 9
	s_cbranch_scc0 .LBB175_197
; %bb.196:
	v_mov_b32_e32 v2, 0
	v_mov_b32_e32 v3, v2
	s_mov_b64 s[22:23], 0
	global_store_dwordx4 v[6:7], v[0:3], off
.LBB175_197:
	s_andn2_b64 vcc, exec, s[22:23]
	s_cbranch_vccnz .LBB175_199
; %bb.198:
	v_mov_b32_e32 v5, 0
	global_store_dwordx2 v[6:7], v[4:5], off
.LBB175_199:
	s_mov_b64 s[22:23], 0
.LBB175_200:
	s_andn2_b64 vcc, exec, s[22:23]
	s_cbranch_vccnz .LBB175_202
; %bb.201:
	global_store_dword v[6:7], v9, off
.LBB175_202:
	s_mov_b64 s[22:23], 0
.LBB175_203:
	s_andn2_b64 vcc, exec, s[22:23]
	s_cbranch_vccnz .LBB175_212
; %bb.204:
	s_cmp_lt_i32 s24, 6
	s_mov_b64 s[22:23], -1
	s_cbranch_scc1 .LBB175_210
; %bb.205:
	s_cmp_gt_i32 s24, 6
	s_cbranch_scc0 .LBB175_207
; %bb.206:
	s_mov_b64 s[22:23], 0
	global_store_dwordx2 v[6:7], v[0:1], off
.LBB175_207:
	s_andn2_b64 vcc, exec, s[22:23]
	s_cbranch_vccnz .LBB175_209
; %bb.208:
	global_store_dword v[6:7], v4, off
.LBB175_209:
	s_mov_b64 s[22:23], 0
.LBB175_210:
	s_andn2_b64 vcc, exec, s[22:23]
	s_cbranch_vccnz .LBB175_212
; %bb.211:
	global_store_short v[6:7], v9, off
.LBB175_212:
	s_mov_b64 s[22:23], 0
.LBB175_213:
	s_andn2_b64 vcc, exec, s[22:23]
	s_cbranch_vccnz .LBB175_229
; %bb.214:
	s_cmp_lt_i32 s24, 2
	s_mov_b64 s[22:23], -1
	s_cbranch_scc1 .LBB175_224
; %bb.215:
	s_cmp_lt_i32 s24, 3
	s_cbranch_scc1 .LBB175_221
; %bb.216:
	s_cmp_gt_i32 s24, 3
	s_cbranch_scc0 .LBB175_218
; %bb.217:
	v_mov_b32_e32 v2, s30
	v_mov_b32_e32 v3, s31
	s_mov_b64 s[22:23], 0
	global_store_dwordx2 v[6:7], v[2:3], off
.LBB175_218:
	s_andn2_b64 vcc, exec, s[22:23]
	s_cbranch_vccnz .LBB175_220
; %bb.219:
	v_mov_b32_e32 v2, s30
	global_store_dword v[6:7], v2, off
.LBB175_220:
	s_mov_b64 s[22:23], 0
.LBB175_221:
	s_andn2_b64 vcc, exec, s[22:23]
	s_cbranch_vccnz .LBB175_223
; %bb.222:
	v_mov_b32_e32 v2, s30
	global_store_short v[6:7], v2, off
.LBB175_223:
	s_mov_b64 s[22:23], 0
.LBB175_224:
	s_andn2_b64 vcc, exec, s[22:23]
	s_cbranch_vccnz .LBB175_229
; %bb.225:
	s_cmp_gt_i32 s24, 0
	s_mov_b64 s[22:23], -1
	s_cbranch_scc0 .LBB175_227
; %bb.226:
	v_mov_b32_e32 v2, s30
	s_mov_b64 s[22:23], 0
	global_store_byte v[6:7], v2, off
.LBB175_227:
	s_andn2_b64 vcc, exec, s[22:23]
	s_cbranch_vccnz .LBB175_229
; %bb.228:
	v_mov_b32_e32 v2, s30
	global_store_byte v[6:7], v2, off
.LBB175_229:
	s_branch .LBB175_142
.LBB175_230:
	s_mov_b64 s[22:23], 0
                                        ; implicit-def: $vgpr8
.LBB175_231:
	s_andn2_b64 s[24:25], s[66:67], exec
	s_and_b64 s[20:21], s[20:21], exec
	s_or_b64 s[70:71], s[24:25], s[20:21]
	s_orn2_b64 s[20:21], s[22:23], exec
.LBB175_232:
	s_or_b64 exec, exec, s[72:73]
	s_mov_b64 s[22:23], 0
	s_mov_b64 s[24:25], 0
                                        ; implicit-def: $sgpr40
                                        ; implicit-def: $vgpr6_vgpr7
	s_and_saveexec_b64 s[72:73], s[20:21]
	s_cbranch_execz .LBB175_421
; %bb.233:
	v_cmp_gt_i32_e32 vcc, s82, v8
	s_mov_b64 s[22:23], -1
	s_mov_b64 s[76:77], s[70:71]
	s_and_saveexec_b64 s[74:75], vcc
	s_cbranch_execz .LBB175_349
; %bb.234:
	s_andn2_b64 vcc, exec, s[48:49]
	s_cbranch_vccnz .LBB175_239
; %bb.235:
	s_andn2_b64 vcc, exec, s[64:65]
	s_cbranch_vccnz .LBB175_240
; %bb.236:
	s_add_i32 s85, s83, 1
	s_cmp_eq_u32 s80, 2
	s_cbranch_scc1 .LBB175_241
; %bb.237:
	s_and_b32 s84, s85, 28
	s_mov_b32 s86, 0
	v_mov_b32_e32 v2, 0
	s_mov_b64 s[76:77], s[34:35]
	s_mov_b64 s[78:79], s[62:63]
	v_mov_b32_e32 v3, v8
.LBB175_238:                            ; =>This Inner Loop Header: Depth=1
	s_load_dwordx8 s[20:27], s[76:77], 0x4
	s_load_dwordx4 s[40:43], s[76:77], 0x24
	s_load_dwordx4 s[44:47], s[78:79], 0x0
	s_add_u32 s76, s76, 48
	s_addc_u32 s77, s77, 0
	s_waitcnt lgkmcnt(0)
	v_mul_hi_u32 v5, s21, v3
	s_add_i32 s86, s86, 4
	s_add_u32 s78, s78, 16
	s_addc_u32 s79, s79, 0
	v_add_u32_e32 v5, v3, v5
	v_lshrrev_b32_e32 v5, s22, v5
	v_mul_lo_u32 v6, v5, s20
	v_mul_hi_u32 v7, s24, v5
	s_cmp_eq_u32 s84, s86
	v_sub_u32_e32 v3, v3, v6
	v_add_u32_e32 v6, v5, v7
	v_lshrrev_b32_e32 v6, s25, v6
	v_mul_lo_u32 v7, v3, s44
	v_mul_hi_u32 v3, s27, v6
	v_mul_lo_u32 v24, v6, s23
	v_add_u32_e32 v3, v6, v3
	v_lshrrev_b32_e32 v23, s40, v3
	v_mul_hi_u32 v3, s42, v23
	v_sub_u32_e32 v5, v5, v24
	v_mul_lo_u32 v24, v23, s26
	v_mul_lo_u32 v5, v5, s45
	v_add_u32_e32 v3, v23, v3
	v_lshrrev_b32_e32 v3, s43, v3
	v_mul_lo_u32 v25, v3, s41
	v_sub_u32_e32 v6, v6, v24
	v_mul_lo_u32 v6, v6, s46
	v_add3_u32 v2, v7, v2, v5
	v_sub_u32_e32 v23, v23, v25
	v_mul_lo_u32 v23, v23, s47
	v_add3_u32 v2, v6, v2, v23
	s_cbranch_scc0 .LBB175_238
	s_branch .LBB175_242
.LBB175_239:
	s_mov_b64 s[20:21], -1
                                        ; implicit-def: $vgpr2
	s_branch .LBB175_246
.LBB175_240:
	v_mov_b32_e32 v2, 0
	s_branch .LBB175_245
.LBB175_241:
	v_mov_b32_e32 v2, 0
	s_mov_b32 s84, 0
	v_mov_b32_e32 v3, v8
.LBB175_242:
	s_and_b32 s24, s85, 3
	s_cmp_eq_u32 s24, 0
	s_cbranch_scc1 .LBB175_245
; %bb.243:
	s_lshl_b32 s20, s84, 2
	s_add_u32 s20, s34, s20
	s_addc_u32 s21, s35, 0
	s_add_u32 s20, s20, 0xc4
	s_addc_u32 s21, s21, 0
	s_mul_i32 s22, s84, 12
	s_add_u32 s22, s34, s22
	s_addc_u32 s23, s35, 0
.LBB175_244:                            ; =>This Inner Loop Header: Depth=1
	s_load_dwordx2 s[26:27], s[22:23], 0x4
	s_load_dword s25, s[22:23], 0xc
	s_add_u32 s22, s22, 12
	s_addc_u32 s23, s23, 0
	s_waitcnt lgkmcnt(0)
	v_mul_hi_u32 v5, s27, v3
	s_load_dword s27, s[20:21], 0x0
	s_add_u32 s20, s20, 4
	s_addc_u32 s21, s21, 0
	v_add_u32_e32 v5, v3, v5
	v_lshrrev_b32_e32 v5, s25, v5
	v_mul_lo_u32 v6, v5, s26
	s_add_i32 s24, s24, -1
	s_cmp_lg_u32 s24, 0
	v_sub_u32_e32 v3, v3, v6
	s_waitcnt lgkmcnt(0)
	v_mad_u64_u32 v[2:3], s[26:27], v3, s27, v[2:3]
	v_mov_b32_e32 v3, v5
	s_cbranch_scc1 .LBB175_244
.LBB175_245:
	s_mov_b64 s[20:21], 0
.LBB175_246:
	s_andn2_b64 vcc, exec, s[20:21]
	s_cbranch_vccnz .LBB175_249
; %bb.247:
	s_waitcnt lgkmcnt(0)
	v_mul_hi_u32 v2, s37, v8
	s_andn2_b64 vcc, exec, s[58:59]
	v_add_u32_e32 v2, v8, v2
	v_lshrrev_b32_e32 v3, s38, v2
	v_mul_lo_u32 v2, v3, s36
	v_sub_u32_e32 v2, v8, v2
	v_mul_lo_u32 v2, v2, s56
	s_cbranch_vccnz .LBB175_249
; %bb.248:
	v_mul_hi_u32 v5, s60, v3
	v_add_u32_e32 v5, v3, v5
	v_lshrrev_b32_e32 v5, s61, v5
	v_mul_lo_u32 v5, v5, s39
	v_sub_u32_e32 v3, v3, v5
	v_mad_u64_u32 v[2:3], s[20:21], v3, s57, v[2:3]
.LBB175_249:
	v_mov_b32_e32 v3, s29
	s_waitcnt lgkmcnt(0)
	s_and_b32 s26, s81, 0xff
	v_add_co_u32_e32 v6, vcc, s28, v2
	s_cmp_lt_i32 s26, 11
	v_addc_co_u32_e32 v7, vcc, 0, v3, vcc
	s_cbranch_scc1 .LBB175_256
; %bb.250:
	s_and_b32 s27, 0xffff, s26
	s_cmp_gt_i32 s27, 25
	s_cbranch_scc0 .LBB175_257
; %bb.251:
	s_cmp_gt_i32 s27, 28
	s_cbranch_scc0 .LBB175_258
; %bb.252:
	;; [unrolled: 3-line block ×4, first 2 shown]
	s_mov_b64 s[24:25], 0
	s_mov_b64 s[20:21], -1
	s_cmp_eq_u32 s27, 46
	s_mov_b64 s[22:23], 0
	s_cbranch_scc0 .LBB175_261
; %bb.255:
	global_store_dword v[6:7], v11, off
	s_mov_b64 s[22:23], -1
	s_mov_b64 s[20:21], 0
	s_branch .LBB175_261
.LBB175_256:
	s_mov_b64 s[24:25], -1
	s_mov_b64 s[22:23], 0
	s_mov_b64 s[20:21], s[70:71]
	s_branch .LBB175_306
.LBB175_257:
	s_mov_b64 s[24:25], -1
	s_mov_b64 s[22:23], 0
	s_mov_b64 s[20:21], s[70:71]
	s_branch .LBB175_283
.LBB175_258:
	s_mov_b64 s[24:25], -1
	s_mov_b64 s[22:23], 0
	s_mov_b64 s[20:21], s[70:71]
	s_branch .LBB175_269
.LBB175_259:
	s_mov_b64 s[24:25], -1
	s_mov_b64 s[22:23], 0
	s_mov_b64 s[20:21], s[70:71]
	s_branch .LBB175_265
.LBB175_260:
	s_mov_b64 s[24:25], -1
	s_mov_b64 s[22:23], 0
	s_mov_b64 s[20:21], s[70:71]
.LBB175_261:
	s_and_b64 vcc, exec, s[24:25]
	s_cbranch_vccz .LBB175_264
; %bb.262:
	s_cmp_eq_u32 s27, 44
	s_mov_b64 s[20:21], -1
	s_cbranch_scc0 .LBB175_264
; %bb.263:
	v_mov_b32_e32 v2, 0xffff
	v_cndmask_b32_e64 v2, v22, v2, s[16:17]
	s_mov_b64 s[22:23], -1
	s_mov_b64 s[20:21], 0
	global_store_byte v[6:7], v2, off
.LBB175_264:
	s_mov_b64 s[24:25], 0
.LBB175_265:
	s_and_b64 vcc, exec, s[24:25]
	s_cbranch_vccz .LBB175_268
; %bb.266:
	s_cmp_eq_u32 s27, 29
	s_mov_b64 s[20:21], -1
	s_cbranch_scc0 .LBB175_268
; %bb.267:
	v_mov_b32_e32 v2, s30
	v_mov_b32_e32 v3, s31
	global_store_dwordx2 v[6:7], v[2:3], off
	s_mov_b64 s[22:23], -1
	s_mov_b64 s[20:21], 0
.LBB175_268:
	s_mov_b64 s[24:25], 0
.LBB175_269:
	s_and_b64 vcc, exec, s[24:25]
	s_cbranch_vccz .LBB175_282
; %bb.270:
	s_cmp_lt_i32 s27, 27
	s_mov_b64 s[22:23], -1
	s_cbranch_scc1 .LBB175_276
; %bb.271:
	s_cmp_gt_i32 s27, 27
	s_cbranch_scc0 .LBB175_273
; %bb.272:
	v_mov_b32_e32 v2, s30
	s_mov_b64 s[22:23], 0
	global_store_dword v[6:7], v2, off
.LBB175_273:
	s_andn2_b64 vcc, exec, s[22:23]
	s_cbranch_vccnz .LBB175_275
; %bb.274:
	v_mov_b32_e32 v2, s30
	global_store_short v[6:7], v2, off
.LBB175_275:
	s_mov_b64 s[22:23], 0
.LBB175_276:
	s_andn2_b64 vcc, exec, s[22:23]
	s_cbranch_vccnz .LBB175_281
; %bb.277:
	s_andn2_b64 vcc, exec, s[14:15]
	v_mov_b32_e32 v2, 0x80
	s_cbranch_vccnz .LBB175_280
; %bb.278:
	s_or_b64 s[22:23], s[12:13], s[54:55]
	s_andn2_b64 vcc, exec, s[22:23]
	v_mov_b32_e32 v2, 0
	s_cbranch_vccnz .LBB175_280
; %bb.279:
	v_cndmask_b32_e64 v2, v21, v20, s[12:13]
.LBB175_280:
	global_store_byte v[6:7], v2, off
.LBB175_281:
	s_mov_b64 s[22:23], -1
.LBB175_282:
	s_mov_b64 s[24:25], 0
.LBB175_283:
	s_and_b64 vcc, exec, s[24:25]
	s_cbranch_vccz .LBB175_305
; %bb.284:
	s_cmp_gt_i32 s27, 22
	s_mov_b64 s[24:25], -1
	s_cbranch_scc0 .LBB175_297
; %bb.285:
	s_cmp_lt_i32 s27, 24
	s_mov_b64 s[22:23], -1
	s_cbranch_scc1 .LBB175_294
; %bb.286:
	s_cmp_gt_i32 s27, 24
	s_cbranch_scc0 .LBB175_291
; %bb.287:
	s_andn2_b64 vcc, exec, s[10:11]
	v_mov_b32_e32 v2, 0x80
	s_cbranch_vccnz .LBB175_290
; %bb.288:
	s_or_b64 s[22:23], s[8:9], s[52:53]
	s_andn2_b64 vcc, exec, s[22:23]
	v_mov_b32_e32 v2, 0
	s_cbranch_vccnz .LBB175_290
; %bb.289:
	v_cndmask_b32_e64 v2, v16, v15, s[8:9]
.LBB175_290:
	s_mov_b64 s[22:23], 0
	global_store_byte v[6:7], v2, off
.LBB175_291:
	s_and_b64 vcc, exec, s[22:23]
	s_cbranch_vccz .LBB175_293
; %bb.292:
	v_cndmask_b32_e64 v2, v13, v14, s[6:7]
	v_cndmask_b32_e64 v2, v2, v19, s[4:5]
	global_store_byte v[6:7], v2, off
.LBB175_293:
	s_mov_b64 s[22:23], 0
.LBB175_294:
	s_andn2_b64 vcc, exec, s[22:23]
	s_cbranch_vccnz .LBB175_296
; %bb.295:
	v_cndmask_b32_e64 v2, v12, v17, s[2:3]
	v_cndmask_b32_e64 v2, v2, v18, s[0:1]
	global_store_byte v[6:7], v2, off
.LBB175_296:
	s_mov_b64 s[24:25], 0
	s_mov_b64 s[22:23], -1
.LBB175_297:
	s_andn2_b64 vcc, exec, s[24:25]
	s_cbranch_vccnz .LBB175_305
; %bb.298:
	s_cmp_gt_i32 s27, 14
	s_mov_b64 s[24:25], -1
	s_cbranch_scc0 .LBB175_302
; %bb.299:
	s_cmp_eq_u32 s27, 15
	s_mov_b64 s[20:21], -1
	s_cbranch_scc0 .LBB175_301
; %bb.300:
	global_store_short v[6:7], v11, off
	s_mov_b64 s[22:23], -1
	s_mov_b64 s[20:21], 0
.LBB175_301:
	s_mov_b64 s[24:25], 0
.LBB175_302:
	s_and_b64 vcc, exec, s[24:25]
	s_cbranch_vccz .LBB175_305
; %bb.303:
	s_cmp_eq_u32 s27, 11
	s_mov_b64 s[20:21], -1
	s_cbranch_scc0 .LBB175_305
; %bb.304:
	s_mov_b64 s[22:23], -1
	s_mov_b64 s[20:21], 0
	global_store_byte v[6:7], v10, off
.LBB175_305:
	s_mov_b64 s[24:25], 0
.LBB175_306:
	s_and_b64 vcc, exec, s[24:25]
	s_cbranch_vccz .LBB175_345
; %bb.307:
	s_and_b32 s24, 0xffff, s26
	s_cmp_lt_i32 s24, 5
	s_mov_b64 s[22:23], -1
	s_cbranch_scc1 .LBB175_328
; %bb.308:
	s_cmp_lt_i32 s24, 8
	s_cbranch_scc1 .LBB175_318
; %bb.309:
	s_cmp_lt_i32 s24, 9
	s_cbranch_scc1 .LBB175_315
; %bb.310:
	s_cmp_gt_i32 s24, 9
	s_cbranch_scc0 .LBB175_312
; %bb.311:
	v_mov_b32_e32 v2, 0
	v_mov_b32_e32 v3, v2
	s_mov_b64 s[22:23], 0
	global_store_dwordx4 v[6:7], v[0:3], off
.LBB175_312:
	s_andn2_b64 vcc, exec, s[22:23]
	s_cbranch_vccnz .LBB175_314
; %bb.313:
	v_mov_b32_e32 v5, 0
	global_store_dwordx2 v[6:7], v[4:5], off
.LBB175_314:
	s_mov_b64 s[22:23], 0
.LBB175_315:
	s_andn2_b64 vcc, exec, s[22:23]
	s_cbranch_vccnz .LBB175_317
; %bb.316:
	global_store_dword v[6:7], v9, off
.LBB175_317:
	s_mov_b64 s[22:23], 0
.LBB175_318:
	s_andn2_b64 vcc, exec, s[22:23]
	s_cbranch_vccnz .LBB175_327
; %bb.319:
	s_cmp_lt_i32 s24, 6
	s_mov_b64 s[22:23], -1
	s_cbranch_scc1 .LBB175_325
; %bb.320:
	s_cmp_gt_i32 s24, 6
	s_cbranch_scc0 .LBB175_322
; %bb.321:
	s_mov_b64 s[22:23], 0
	global_store_dwordx2 v[6:7], v[0:1], off
.LBB175_322:
	s_andn2_b64 vcc, exec, s[22:23]
	s_cbranch_vccnz .LBB175_324
; %bb.323:
	global_store_dword v[6:7], v4, off
.LBB175_324:
	s_mov_b64 s[22:23], 0
.LBB175_325:
	s_andn2_b64 vcc, exec, s[22:23]
	s_cbranch_vccnz .LBB175_327
; %bb.326:
	global_store_short v[6:7], v9, off
.LBB175_327:
	s_mov_b64 s[22:23], 0
.LBB175_328:
	s_andn2_b64 vcc, exec, s[22:23]
	s_cbranch_vccnz .LBB175_344
; %bb.329:
	s_cmp_lt_i32 s24, 2
	s_mov_b64 s[22:23], -1
	s_cbranch_scc1 .LBB175_339
; %bb.330:
	s_cmp_lt_i32 s24, 3
	s_cbranch_scc1 .LBB175_336
; %bb.331:
	s_cmp_gt_i32 s24, 3
	s_cbranch_scc0 .LBB175_333
; %bb.332:
	v_mov_b32_e32 v2, s30
	v_mov_b32_e32 v3, s31
	s_mov_b64 s[22:23], 0
	global_store_dwordx2 v[6:7], v[2:3], off
.LBB175_333:
	s_andn2_b64 vcc, exec, s[22:23]
	s_cbranch_vccnz .LBB175_335
; %bb.334:
	v_mov_b32_e32 v2, s30
	global_store_dword v[6:7], v2, off
.LBB175_335:
	s_mov_b64 s[22:23], 0
.LBB175_336:
	s_andn2_b64 vcc, exec, s[22:23]
	s_cbranch_vccnz .LBB175_338
; %bb.337:
	v_mov_b32_e32 v2, s30
	global_store_short v[6:7], v2, off
.LBB175_338:
	s_mov_b64 s[22:23], 0
.LBB175_339:
	s_andn2_b64 vcc, exec, s[22:23]
	s_cbranch_vccnz .LBB175_344
; %bb.340:
	s_cmp_gt_i32 s24, 0
	s_mov_b64 s[22:23], -1
	s_cbranch_scc0 .LBB175_342
; %bb.341:
	v_mov_b32_e32 v2, s30
	s_mov_b64 s[22:23], 0
	global_store_byte v[6:7], v2, off
.LBB175_342:
	s_andn2_b64 vcc, exec, s[22:23]
	s_cbranch_vccnz .LBB175_344
; %bb.343:
	v_mov_b32_e32 v2, s30
	global_store_byte v[6:7], v2, off
.LBB175_344:
	s_mov_b64 s[22:23], -1
.LBB175_345:
	s_andn2_b64 vcc, exec, s[22:23]
	s_cbranch_vccnz .LBB175_347
; %bb.346:
	v_add_u32_e32 v8, 0x80, v8
	s_mov_b64 s[22:23], -1
	s_branch .LBB175_348
.LBB175_347:
	s_mov_b64 s[22:23], 0
                                        ; implicit-def: $vgpr8
.LBB175_348:
	s_andn2_b64 s[24:25], s[70:71], exec
	s_and_b64 s[20:21], s[20:21], exec
	s_or_b64 s[76:77], s[24:25], s[20:21]
	s_orn2_b64 s[22:23], s[22:23], exec
.LBB175_349:
	s_or_b64 exec, exec, s[74:75]
	s_mov_b64 s[20:21], 0
	s_mov_b64 s[26:27], 0
                                        ; implicit-def: $sgpr40
                                        ; implicit-def: $vgpr6_vgpr7
	s_and_saveexec_b64 s[74:75], s[22:23]
	s_cbranch_execz .LBB175_420
; %bb.350:
	v_cmp_gt_i32_e32 vcc, s82, v8
	s_mov_b64 s[22:23], 0
	s_mov_b64 s[24:25], s[76:77]
                                        ; implicit-def: $sgpr40
                                        ; implicit-def: $vgpr6_vgpr7
	s_and_saveexec_b64 s[78:79], vcc
	s_cbranch_execz .LBB175_419
; %bb.351:
	s_andn2_b64 vcc, exec, s[48:49]
	s_cbranch_vccnz .LBB175_356
; %bb.352:
	s_andn2_b64 vcc, exec, s[64:65]
	s_cbranch_vccnz .LBB175_357
; %bb.353:
	s_add_i32 s83, s83, 1
	s_cmp_eq_u32 s80, 2
	s_cbranch_scc1 .LBB175_358
; %bb.354:
	s_and_b32 s82, s83, 28
	s_mov_b32 s84, 0
	v_mov_b32_e32 v2, 0
	s_mov_b64 s[64:65], s[34:35]
	v_mov_b32_e32 v3, v8
.LBB175_355:                            ; =>This Inner Loop Header: Depth=1
	s_load_dwordx8 s[20:27], s[64:65], 0x4
	s_load_dwordx4 s[40:43], s[64:65], 0x24
	s_load_dwordx4 s[44:47], s[62:63], 0x0
	s_add_u32 s64, s64, 48
	s_addc_u32 s65, s65, 0
	s_waitcnt lgkmcnt(0)
	v_mul_hi_u32 v5, s21, v3
	s_add_i32 s84, s84, 4
	s_add_u32 s62, s62, 16
	s_addc_u32 s63, s63, 0
	v_add_u32_e32 v5, v3, v5
	v_lshrrev_b32_e32 v5, s22, v5
	v_mul_lo_u32 v6, v5, s20
	v_mul_hi_u32 v7, s24, v5
	s_cmp_eq_u32 s82, s84
	v_sub_u32_e32 v3, v3, v6
	v_add_u32_e32 v6, v5, v7
	v_lshrrev_b32_e32 v6, s25, v6
	v_mul_lo_u32 v7, v3, s44
	v_mul_hi_u32 v3, s27, v6
	v_mul_lo_u32 v24, v6, s23
	v_add_u32_e32 v3, v6, v3
	v_lshrrev_b32_e32 v23, s40, v3
	v_mul_hi_u32 v3, s42, v23
	v_sub_u32_e32 v5, v5, v24
	v_mul_lo_u32 v24, v23, s26
	v_mul_lo_u32 v5, v5, s45
	v_add_u32_e32 v3, v23, v3
	v_lshrrev_b32_e32 v3, s43, v3
	v_mul_lo_u32 v25, v3, s41
	v_sub_u32_e32 v6, v6, v24
	v_mul_lo_u32 v6, v6, s46
	v_add3_u32 v2, v7, v2, v5
	v_sub_u32_e32 v23, v23, v25
	v_mul_lo_u32 v23, v23, s47
	v_add3_u32 v2, v6, v2, v23
	s_cbranch_scc0 .LBB175_355
	s_branch .LBB175_359
.LBB175_356:
	s_mov_b64 s[20:21], -1
                                        ; implicit-def: $vgpr2
	s_branch .LBB175_363
.LBB175_357:
	v_mov_b32_e32 v2, 0
	s_branch .LBB175_362
.LBB175_358:
	v_mov_b32_e32 v2, 0
	s_mov_b32 s82, 0
	v_mov_b32_e32 v3, v8
.LBB175_359:
	s_and_b32 s24, s83, 3
	s_cmp_eq_u32 s24, 0
	s_cbranch_scc1 .LBB175_362
; %bb.360:
	s_lshl_b32 s20, s82, 2
	s_add_u32 s20, s34, s20
	s_addc_u32 s21, s35, 0
	s_add_u32 s20, s20, 0xc4
	s_addc_u32 s21, s21, 0
	s_mul_i32 s22, s82, 12
	s_add_u32 s22, s34, s22
	s_addc_u32 s23, s35, 0
.LBB175_361:                            ; =>This Inner Loop Header: Depth=1
	s_load_dwordx2 s[26:27], s[22:23], 0x4
	s_load_dword s25, s[22:23], 0xc
	s_add_u32 s22, s22, 12
	s_addc_u32 s23, s23, 0
	s_waitcnt lgkmcnt(0)
	v_mul_hi_u32 v5, s27, v3
	s_load_dword s27, s[20:21], 0x0
	s_add_u32 s20, s20, 4
	s_addc_u32 s21, s21, 0
	v_add_u32_e32 v5, v3, v5
	v_lshrrev_b32_e32 v5, s25, v5
	v_mul_lo_u32 v6, v5, s26
	s_add_i32 s24, s24, -1
	s_cmp_lg_u32 s24, 0
	v_sub_u32_e32 v3, v3, v6
	s_waitcnt lgkmcnt(0)
	v_mad_u64_u32 v[2:3], s[26:27], v3, s27, v[2:3]
	v_mov_b32_e32 v3, v5
	s_cbranch_scc1 .LBB175_361
.LBB175_362:
	s_mov_b64 s[20:21], 0
.LBB175_363:
	s_andn2_b64 vcc, exec, s[20:21]
	s_cbranch_vccnz .LBB175_366
; %bb.364:
	s_waitcnt lgkmcnt(0)
	v_mul_hi_u32 v2, s37, v8
	s_andn2_b64 vcc, exec, s[58:59]
	v_add_u32_e32 v2, v8, v2
	v_lshrrev_b32_e32 v3, s38, v2
	v_mul_lo_u32 v2, v3, s36
	v_sub_u32_e32 v2, v8, v2
	v_mul_lo_u32 v2, v2, s56
	s_cbranch_vccnz .LBB175_366
; %bb.365:
	v_mul_hi_u32 v5, s60, v3
	v_add_u32_e32 v5, v3, v5
	v_lshrrev_b32_e32 v5, s61, v5
	v_mul_lo_u32 v5, v5, s39
	v_sub_u32_e32 v3, v3, v5
	v_mad_u64_u32 v[2:3], s[20:21], v3, s57, v[2:3]
.LBB175_366:
	v_mov_b32_e32 v3, s29
	s_waitcnt lgkmcnt(0)
	s_and_b32 s40, s81, 0xff
	v_add_co_u32_e32 v6, vcc, s28, v2
	s_cmp_lt_i32 s40, 11
	v_addc_co_u32_e32 v7, vcc, 0, v3, vcc
	s_cbranch_scc1 .LBB175_416
; %bb.367:
	s_and_b32 s24, 0xffff, s40
	s_mov_b64 s[22:23], -1
	s_cmp_gt_i32 s24, 25
	s_mov_b64 s[20:21], s[76:77]
	s_cbranch_scc0 .LBB175_395
; %bb.368:
	s_cmp_gt_i32 s24, 28
	s_mov_b64 s[20:21], s[76:77]
	s_cbranch_scc0 .LBB175_382
; %bb.369:
	;; [unrolled: 4-line block ×4, first 2 shown]
	s_cmp_eq_u32 s24, 46
	s_mov_b64 s[20:21], -1
	s_cbranch_scc0 .LBB175_373
; %bb.372:
	global_store_dword v[6:7], v11, off
	s_mov_b64 s[20:21], 0
.LBB175_373:
	s_mov_b64 s[22:23], 0
.LBB175_374:
	s_and_b64 vcc, exec, s[22:23]
	s_cbranch_vccz .LBB175_377
; %bb.375:
	s_cmp_eq_u32 s24, 44
	s_mov_b64 s[20:21], -1
	s_cbranch_scc0 .LBB175_377
; %bb.376:
	v_mov_b32_e32 v2, 0xffff
	v_cndmask_b32_e64 v2, v22, v2, s[16:17]
	global_store_byte v[6:7], v2, off
	s_mov_b64 s[20:21], 0
.LBB175_377:
	s_mov_b64 s[22:23], 0
.LBB175_378:
	s_and_b64 vcc, exec, s[22:23]
	s_cbranch_vccz .LBB175_381
; %bb.379:
	s_cmp_eq_u32 s24, 29
	s_mov_b64 s[20:21], -1
	s_cbranch_scc0 .LBB175_381
; %bb.380:
	v_mov_b32_e32 v2, s30
	v_mov_b32_e32 v3, s31
	global_store_dwordx2 v[6:7], v[2:3], off
	s_mov_b64 s[20:21], 0
.LBB175_381:
	s_mov_b64 s[22:23], 0
.LBB175_382:
	s_and_b64 vcc, exec, s[22:23]
	s_cbranch_vccz .LBB175_394
; %bb.383:
	s_cmp_lt_i32 s24, 27
	s_mov_b64 s[16:17], -1
	s_cbranch_scc1 .LBB175_389
; %bb.384:
	s_cmp_gt_i32 s24, 27
	s_cbranch_scc0 .LBB175_386
; %bb.385:
	v_mov_b32_e32 v2, s30
	s_mov_b64 s[16:17], 0
	global_store_dword v[6:7], v2, off
.LBB175_386:
	s_andn2_b64 vcc, exec, s[16:17]
	s_cbranch_vccnz .LBB175_388
; %bb.387:
	v_mov_b32_e32 v2, s30
	global_store_short v[6:7], v2, off
.LBB175_388:
	s_mov_b64 s[16:17], 0
.LBB175_389:
	s_andn2_b64 vcc, exec, s[16:17]
	s_cbranch_vccnz .LBB175_394
; %bb.390:
	s_andn2_b64 vcc, exec, s[14:15]
	v_mov_b32_e32 v2, 0x80
	s_cbranch_vccnz .LBB175_393
; %bb.391:
	s_or_b64 s[14:15], s[12:13], s[54:55]
	s_andn2_b64 vcc, exec, s[14:15]
	v_mov_b32_e32 v2, 0
	s_cbranch_vccnz .LBB175_393
; %bb.392:
	v_cndmask_b32_e64 v2, v21, v20, s[12:13]
.LBB175_393:
	global_store_byte v[6:7], v2, off
.LBB175_394:
	s_mov_b64 s[22:23], 0
.LBB175_395:
	s_mov_b64 s[12:13], 0
	s_and_b64 vcc, exec, s[22:23]
	s_cbranch_vccz .LBB175_417
; %bb.396:
	s_cmp_gt_i32 s24, 22
	s_mov_b64 s[14:15], -1
	s_cbranch_scc0 .LBB175_409
; %bb.397:
	s_cmp_lt_i32 s24, 24
	s_cbranch_scc1 .LBB175_406
; %bb.398:
	s_cmp_gt_i32 s24, 24
	s_cbranch_scc0 .LBB175_403
; %bb.399:
	s_andn2_b64 vcc, exec, s[10:11]
	v_mov_b32_e32 v2, 0x80
	s_cbranch_vccnz .LBB175_402
; %bb.400:
	s_or_b64 s[10:11], s[8:9], s[52:53]
	s_andn2_b64 vcc, exec, s[10:11]
	v_mov_b32_e32 v2, 0
	s_cbranch_vccnz .LBB175_402
; %bb.401:
	v_cndmask_b32_e64 v2, v16, v15, s[8:9]
.LBB175_402:
	s_mov_b64 s[14:15], 0
	global_store_byte v[6:7], v2, off
.LBB175_403:
	s_and_b64 vcc, exec, s[14:15]
	s_cbranch_vccz .LBB175_405
; %bb.404:
	v_cndmask_b32_e64 v2, v13, v14, s[6:7]
	v_cndmask_b32_e64 v2, v2, v19, s[4:5]
	global_store_byte v[6:7], v2, off
.LBB175_405:
	s_mov_b64 s[14:15], 0
.LBB175_406:
	s_andn2_b64 vcc, exec, s[14:15]
	s_cbranch_vccnz .LBB175_408
; %bb.407:
	v_cndmask_b32_e64 v2, v12, v17, s[2:3]
	v_cndmask_b32_e64 v2, v2, v18, s[0:1]
	global_store_byte v[6:7], v2, off
.LBB175_408:
	s_mov_b64 s[14:15], 0
.LBB175_409:
	s_andn2_b64 vcc, exec, s[14:15]
	s_mov_b64 s[0:1], 0
	s_cbranch_vccnz .LBB175_418
; %bb.410:
	s_cmp_gt_i32 s24, 14
	s_mov_b64 s[2:3], -1
	s_cbranch_scc0 .LBB175_414
; %bb.411:
	s_cmp_eq_u32 s24, 15
	s_mov_b64 s[20:21], -1
	s_cbranch_scc0 .LBB175_413
; %bb.412:
	global_store_short v[6:7], v11, off
	s_mov_b64 s[20:21], 0
.LBB175_413:
	s_mov_b64 s[2:3], 0
.LBB175_414:
	s_and_b64 vcc, exec, s[2:3]
	s_cbranch_vccz .LBB175_418
; %bb.415:
	s_cmp_lg_u32 s24, 11
	s_cselect_b64 s[2:3], -1, 0
	s_andn2_b64 s[4:5], s[20:21], exec
	s_and_b64 s[2:3], s[2:3], exec
	s_mov_b64 s[0:1], -1
	s_or_b64 s[20:21], s[4:5], s[2:3]
	s_branch .LBB175_418
.LBB175_416:
	s_mov_b64 s[0:1], 0
	s_mov_b64 s[12:13], -1
	s_mov_b64 s[20:21], s[76:77]
	s_branch .LBB175_418
.LBB175_417:
	s_mov_b64 s[0:1], 0
.LBB175_418:
	s_and_b64 s[22:23], s[0:1], exec
	s_andn2_b64 s[0:1], s[76:77], exec
	s_and_b64 s[2:3], s[20:21], exec
	s_and_b64 s[26:27], s[12:13], exec
	s_or_b64 s[24:25], s[0:1], s[2:3]
.LBB175_419:
	s_or_b64 exec, exec, s[78:79]
	s_andn2_b64 s[0:1], s[76:77], exec
	s_and_b64 s[2:3], s[24:25], exec
	s_and_b64 s[26:27], s[26:27], exec
	;; [unrolled: 1-line block ×3, first 2 shown]
	s_or_b64 s[76:77], s[0:1], s[2:3]
.LBB175_420:
	s_or_b64 exec, exec, s[74:75]
	s_andn2_b64 s[0:1], s[70:71], exec
	s_and_b64 s[2:3], s[76:77], exec
	s_and_b64 s[24:25], s[26:27], exec
	;; [unrolled: 1-line block ×3, first 2 shown]
	s_or_b64 s[70:71], s[0:1], s[2:3]
.LBB175_421:
	s_or_b64 exec, exec, s[72:73]
	s_andn2_b64 s[0:1], s[66:67], exec
	s_and_b64 s[2:3], s[70:71], exec
	s_and_b64 s[20:21], s[24:25], exec
	;; [unrolled: 1-line block ×3, first 2 shown]
	s_or_b64 s[66:67], s[0:1], s[2:3]
	s_or_b64 exec, exec, s[68:69]
	s_mov_b64 s[0:1], 0
	s_and_saveexec_b64 s[2:3], s[66:67]
	s_cbranch_execz .LBB175_122
.LBB175_422:
	s_mov_b64 s[0:1], exec
	s_andn2_b64 s[72:73], s[72:73], exec
	s_trap 2
	s_or_b64 exec, exec, s[2:3]
	s_and_saveexec_b64 s[2:3], s[72:73]
	s_xor_b64 s[2:3], exec, s[2:3]
	s_cbranch_execnz .LBB175_123
.LBB175_423:
	s_or_b64 exec, exec, s[2:3]
	s_and_saveexec_b64 s[2:3], s[20:21]
	s_xor_b64 s[2:3], exec, s[2:3]
	s_cbranch_execz .LBB175_461
.LBB175_424:
	s_sext_i32_i16 s6, s40
	s_cmp_lt_i32 s6, 5
	s_mov_b64 s[4:5], -1
	s_cbranch_scc1 .LBB175_445
; %bb.425:
	s_cmp_lt_i32 s6, 8
	s_cbranch_scc1 .LBB175_435
; %bb.426:
	s_cmp_lt_i32 s6, 9
	s_cbranch_scc1 .LBB175_432
; %bb.427:
	s_cmp_gt_i32 s6, 9
	s_cbranch_scc0 .LBB175_429
; %bb.428:
	v_mov_b32_e32 v2, 0
	v_mov_b32_e32 v3, v2
	s_mov_b64 s[4:5], 0
	global_store_dwordx4 v[6:7], v[0:3], off
.LBB175_429:
	s_andn2_b64 vcc, exec, s[4:5]
	s_cbranch_vccnz .LBB175_431
; %bb.430:
	v_mov_b32_e32 v5, 0
	global_store_dwordx2 v[6:7], v[4:5], off
.LBB175_431:
	s_mov_b64 s[4:5], 0
.LBB175_432:
	s_andn2_b64 vcc, exec, s[4:5]
	s_cbranch_vccnz .LBB175_434
; %bb.433:
	global_store_dword v[6:7], v9, off
.LBB175_434:
	s_mov_b64 s[4:5], 0
.LBB175_435:
	s_andn2_b64 vcc, exec, s[4:5]
	s_cbranch_vccnz .LBB175_444
; %bb.436:
	s_sext_i32_i16 s6, s40
	s_cmp_lt_i32 s6, 6
	s_mov_b64 s[4:5], -1
	s_cbranch_scc1 .LBB175_442
; %bb.437:
	s_cmp_gt_i32 s6, 6
	s_cbranch_scc0 .LBB175_439
; %bb.438:
	s_mov_b64 s[4:5], 0
	global_store_dwordx2 v[6:7], v[0:1], off
.LBB175_439:
	s_andn2_b64 vcc, exec, s[4:5]
	s_cbranch_vccnz .LBB175_441
; %bb.440:
	global_store_dword v[6:7], v4, off
.LBB175_441:
	s_mov_b64 s[4:5], 0
.LBB175_442:
	s_andn2_b64 vcc, exec, s[4:5]
	s_cbranch_vccnz .LBB175_444
; %bb.443:
	global_store_short v[6:7], v9, off
.LBB175_444:
	s_mov_b64 s[4:5], 0
.LBB175_445:
	s_andn2_b64 vcc, exec, s[4:5]
	s_cbranch_vccnz .LBB175_461
; %bb.446:
	s_sext_i32_i16 s6, s40
	s_cmp_lt_i32 s6, 2
	s_mov_b64 s[4:5], -1
	s_cbranch_scc1 .LBB175_456
; %bb.447:
	s_cmp_lt_i32 s6, 3
	s_cbranch_scc1 .LBB175_453
; %bb.448:
	s_cmp_gt_i32 s6, 3
	s_cbranch_scc0 .LBB175_450
; %bb.449:
	v_mov_b32_e32 v0, s30
	v_mov_b32_e32 v1, s31
	s_mov_b64 s[4:5], 0
	global_store_dwordx2 v[6:7], v[0:1], off
.LBB175_450:
	s_andn2_b64 vcc, exec, s[4:5]
	s_cbranch_vccnz .LBB175_452
; %bb.451:
	v_mov_b32_e32 v0, s30
	global_store_dword v[6:7], v0, off
.LBB175_452:
	s_mov_b64 s[4:5], 0
.LBB175_453:
	s_andn2_b64 vcc, exec, s[4:5]
	s_cbranch_vccnz .LBB175_455
; %bb.454:
	v_mov_b32_e32 v0, s30
	global_store_short v[6:7], v0, off
.LBB175_455:
	s_mov_b64 s[4:5], 0
.LBB175_456:
	s_andn2_b64 vcc, exec, s[4:5]
	s_cbranch_vccnz .LBB175_461
; %bb.457:
	s_sext_i32_i16 s4, s40
	s_cmp_gt_i32 s4, 0
	s_mov_b64 s[4:5], -1
	s_cbranch_scc0 .LBB175_459
; %bb.458:
	v_mov_b32_e32 v0, s30
	s_mov_b64 s[4:5], 0
	global_store_byte v[6:7], v0, off
.LBB175_459:
	s_andn2_b64 vcc, exec, s[4:5]
	s_cbranch_vccnz .LBB175_461
; %bb.460:
	v_mov_b32_e32 v0, s30
	global_store_byte v[6:7], v0, off
.LBB175_461:
	s_or_b64 exec, exec, s[2:3]
	s_and_b64 s[20:21], s[0:1], exec
                                        ; implicit-def: $vgpr9
                                        ; implicit-def: $vgpr8
.LBB175_462:
	s_or_saveexec_b64 s[22:23], s[50:51]
	s_mov_b64 s[0:1], 0
                                        ; implicit-def: $sgpr14
                                        ; implicit-def: $vgpr0_vgpr1
                                        ; implicit-def: $sgpr2_sgpr3
	s_xor_b64 exec, exec, s[22:23]
	s_cbranch_execz .LBB175_945
; %bb.463:
	v_cndmask_b32_e64 v0, 0, 1, s[48:49]
	v_cmp_ne_u32_e64 s[0:1], 1, v0
	s_andn2_b64 vcc, exec, s[48:49]
	s_cbranch_vccnz .LBB175_469
; %bb.464:
	s_cmp_lg_u32 s33, 0
	s_mov_b32 s26, 0
	s_cbranch_scc0 .LBB175_470
; %bb.465:
	s_min_u32 s27, s80, 15
	s_add_i32 s27, s27, 1
	s_cmp_eq_u32 s80, 2
	s_cbranch_scc1 .LBB175_471
; %bb.466:
	s_and_b32 s26, s27, 28
	s_add_u32 s2, s34, 0xc4
	s_addc_u32 s3, s35, 0
	s_mov_b32 s28, 0
	v_mov_b32_e32 v6, 0
	s_mov_b64 s[24:25], s[34:35]
	v_mov_b32_e32 v0, v8
.LBB175_467:                            ; =>This Inner Loop Header: Depth=1
	s_load_dwordx8 s[4:11], s[24:25], 0x4
	s_load_dwordx4 s[12:15], s[24:25], 0x24
	s_load_dwordx4 s[16:19], s[2:3], 0x0
	s_add_u32 s24, s24, 48
	s_addc_u32 s25, s25, 0
	s_waitcnt lgkmcnt(0)
	v_mul_hi_u32 v1, s5, v0
	s_add_i32 s28, s28, 4
	s_add_u32 s2, s2, 16
	s_addc_u32 s3, s3, 0
	v_add_u32_e32 v1, v0, v1
	v_lshrrev_b32_e32 v1, s6, v1
	v_mul_lo_u32 v2, v1, s4
	v_mul_hi_u32 v3, s8, v1
	s_cmp_lg_u32 s26, s28
	v_sub_u32_e32 v0, v0, v2
	v_add_u32_e32 v2, v1, v3
	v_lshrrev_b32_e32 v2, s9, v2
	v_mul_lo_u32 v3, v0, s16
	v_mul_hi_u32 v0, s11, v2
	v_mul_lo_u32 v5, v2, s7
	v_add_u32_e32 v0, v2, v0
	v_lshrrev_b32_e32 v4, s12, v0
	v_mul_hi_u32 v0, s14, v4
	v_sub_u32_e32 v1, v1, v5
	v_mul_lo_u32 v5, v4, s10
	v_mul_lo_u32 v1, v1, s17
	v_add_u32_e32 v0, v4, v0
	v_lshrrev_b32_e32 v0, s15, v0
	v_mul_lo_u32 v7, v0, s13
	v_sub_u32_e32 v2, v2, v5
	v_mul_lo_u32 v2, v2, s18
	v_add3_u32 v1, v3, v6, v1
	v_sub_u32_e32 v4, v4, v7
	v_mul_lo_u32 v4, v4, s19
	v_add3_u32 v6, v2, v1, v4
	s_cbranch_scc1 .LBB175_467
; %bb.468:
	s_and_b32 s6, s27, 3
	s_cmp_eq_u32 s6, 0
	s_cbranch_scc0 .LBB175_472
	s_branch .LBB175_474
.LBB175_469:
                                        ; implicit-def: $vgpr6
	s_branch .LBB175_475
.LBB175_470:
	v_mov_b32_e32 v6, 0
	s_branch .LBB175_474
.LBB175_471:
	v_mov_b32_e32 v6, 0
	v_mov_b32_e32 v0, v8
	s_and_b32 s6, s27, 3
	s_cmp_eq_u32 s6, 0
	s_cbranch_scc1 .LBB175_474
.LBB175_472:
	s_lshl_b32 s2, s26, 2
	s_add_u32 s2, s34, s2
	s_addc_u32 s3, s35, 0
	s_add_u32 s2, s2, 0xc4
	s_addc_u32 s3, s3, 0
	s_mul_i32 s4, s26, 12
	s_add_u32 s4, s34, s4
	s_addc_u32 s5, s35, 0
.LBB175_473:                            ; =>This Inner Loop Header: Depth=1
	s_load_dwordx2 s[8:9], s[4:5], 0x4
	s_load_dword s7, s[4:5], 0xc
	s_add_u32 s4, s4, 12
	s_addc_u32 s5, s5, 0
	s_waitcnt lgkmcnt(0)
	v_mul_hi_u32 v1, s9, v0
	s_load_dword s9, s[2:3], 0x0
	s_add_u32 s2, s2, 4
	s_addc_u32 s3, s3, 0
	v_add_u32_e32 v1, v0, v1
	v_lshrrev_b32_e32 v1, s7, v1
	v_mul_lo_u32 v2, v1, s8
	s_add_i32 s6, s6, -1
	s_cmp_lg_u32 s6, 0
	v_sub_u32_e32 v0, v0, v2
	s_waitcnt lgkmcnt(0)
	v_mad_u64_u32 v[6:7], s[8:9], v0, s9, v[6:7]
	v_mov_b32_e32 v0, v1
	s_cbranch_scc1 .LBB175_473
.LBB175_474:
	s_cbranch_execnz .LBB175_477
.LBB175_475:
	s_load_dwordx4 s[4:7], s[34:35], 0x4
	s_load_dword s2, s[34:35], 0xc4
	s_cmp_lt_u32 s33, 2
	s_waitcnt lgkmcnt(0)
	v_mul_hi_u32 v0, s5, v8
	v_add_u32_e32 v0, v8, v0
	v_lshrrev_b32_e32 v0, s6, v0
	v_mul_lo_u32 v1, v0, s4
	v_sub_u32_e32 v1, v8, v1
	v_mul_lo_u32 v6, v1, s2
	s_cbranch_scc1 .LBB175_477
; %bb.476:
	s_load_dwordx4 s[4:7], s[34:35], 0x10
	s_load_dword s2, s[34:35], 0xc8
	s_waitcnt lgkmcnt(0)
	v_mul_hi_u32 v1, s5, v0
	v_add_u32_e32 v1, v0, v1
	v_lshrrev_b32_e32 v1, s6, v1
	v_mul_lo_u32 v1, v1, s4
	v_sub_u32_e32 v0, v0, v1
	v_mad_u64_u32 v[6:7], s[2:3], v0, s2, v[6:7]
.LBB175_477:
	s_and_b64 vcc, exec, s[0:1]
	v_add_u32_e32 v0, 0x80, v8
	s_cbranch_vccnz .LBB175_483
; %bb.478:
	s_cmp_lg_u32 s33, 0
	s_mov_b32 s26, 0
	s_cbranch_scc0 .LBB175_484
; %bb.479:
	s_min_u32 s27, s80, 15
	s_add_i32 s27, s27, 1
	s_cmp_eq_u32 s80, 2
	s_cbranch_scc1 .LBB175_485
; %bb.480:
	s_and_b32 s26, s27, 28
	s_add_u32 s2, s34, 0xc4
	s_addc_u32 s3, s35, 0
	s_mov_b32 s28, 0
	v_mov_b32_e32 v4, 0
	s_mov_b64 s[24:25], s[34:35]
	v_mov_b32_e32 v1, v0
.LBB175_481:                            ; =>This Inner Loop Header: Depth=1
	s_load_dwordx8 s[4:11], s[24:25], 0x4
	s_load_dwordx4 s[12:15], s[24:25], 0x24
	s_load_dwordx4 s[16:19], s[2:3], 0x0
	s_add_u32 s24, s24, 48
	s_addc_u32 s25, s25, 0
	s_waitcnt lgkmcnt(0)
	v_mul_hi_u32 v2, s5, v1
	s_add_i32 s28, s28, 4
	s_add_u32 s2, s2, 16
	s_addc_u32 s3, s3, 0
	v_add_u32_e32 v2, v1, v2
	v_lshrrev_b32_e32 v2, s6, v2
	v_mul_lo_u32 v3, v2, s4
	v_mul_hi_u32 v5, s8, v2
	s_cmp_lg_u32 s26, s28
	v_sub_u32_e32 v1, v1, v3
	v_add_u32_e32 v3, v2, v5
	v_lshrrev_b32_e32 v3, s9, v3
	v_mul_lo_u32 v5, v1, s16
	v_mul_hi_u32 v1, s11, v3
	v_mul_lo_u32 v10, v3, s7
	v_add_u32_e32 v1, v3, v1
	v_lshrrev_b32_e32 v7, s12, v1
	v_mul_hi_u32 v1, s14, v7
	v_sub_u32_e32 v2, v2, v10
	v_mul_lo_u32 v10, v7, s10
	v_mul_lo_u32 v2, v2, s17
	v_add_u32_e32 v1, v7, v1
	v_lshrrev_b32_e32 v1, s15, v1
	v_mul_lo_u32 v11, v1, s13
	v_sub_u32_e32 v3, v3, v10
	v_mul_lo_u32 v3, v3, s18
	v_add3_u32 v2, v5, v4, v2
	v_sub_u32_e32 v7, v7, v11
	v_mul_lo_u32 v7, v7, s19
	v_add3_u32 v4, v3, v2, v7
	s_cbranch_scc1 .LBB175_481
; %bb.482:
	s_and_b32 s6, s27, 3
	s_cmp_eq_u32 s6, 0
	s_cbranch_scc0 .LBB175_486
	s_branch .LBB175_488
.LBB175_483:
                                        ; implicit-def: $vgpr4
	s_branch .LBB175_489
.LBB175_484:
	v_mov_b32_e32 v4, 0
	s_branch .LBB175_488
.LBB175_485:
	v_mov_b32_e32 v4, 0
	v_mov_b32_e32 v1, v0
	s_and_b32 s6, s27, 3
	s_cmp_eq_u32 s6, 0
	s_cbranch_scc1 .LBB175_488
.LBB175_486:
	s_lshl_b32 s2, s26, 2
	s_add_u32 s2, s34, s2
	s_addc_u32 s3, s35, 0
	s_add_u32 s2, s2, 0xc4
	s_addc_u32 s3, s3, 0
	s_mul_i32 s4, s26, 12
	s_add_u32 s4, s34, s4
	s_addc_u32 s5, s35, 0
.LBB175_487:                            ; =>This Inner Loop Header: Depth=1
	s_load_dwordx2 s[8:9], s[4:5], 0x4
	s_load_dword s7, s[4:5], 0xc
	s_add_u32 s4, s4, 12
	s_addc_u32 s5, s5, 0
	s_waitcnt lgkmcnt(0)
	v_mul_hi_u32 v2, s9, v1
	s_load_dword s9, s[2:3], 0x0
	s_add_u32 s2, s2, 4
	s_addc_u32 s3, s3, 0
	v_add_u32_e32 v2, v1, v2
	v_lshrrev_b32_e32 v2, s7, v2
	v_mul_lo_u32 v3, v2, s8
	s_add_i32 s6, s6, -1
	s_cmp_lg_u32 s6, 0
	v_sub_u32_e32 v1, v1, v3
	s_waitcnt lgkmcnt(0)
	v_mad_u64_u32 v[4:5], s[8:9], v1, s9, v[4:5]
	v_mov_b32_e32 v1, v2
	s_cbranch_scc1 .LBB175_487
.LBB175_488:
	s_cbranch_execnz .LBB175_491
.LBB175_489:
	s_load_dwordx4 s[4:7], s[34:35], 0x4
	s_load_dword s2, s[34:35], 0xc4
	s_cmp_lt_u32 s33, 2
	s_waitcnt lgkmcnt(0)
	v_mul_hi_u32 v1, s5, v0
	v_add_u32_e32 v1, v0, v1
	v_lshrrev_b32_e32 v1, s6, v1
	v_mul_lo_u32 v2, v1, s4
	v_sub_u32_e32 v0, v0, v2
	v_mul_lo_u32 v4, v0, s2
	s_cbranch_scc1 .LBB175_491
; %bb.490:
	s_load_dwordx4 s[4:7], s[34:35], 0x10
	s_load_dword s2, s[34:35], 0xc8
	s_waitcnt lgkmcnt(0)
	v_mul_hi_u32 v0, s5, v1
	v_add_u32_e32 v0, v1, v0
	v_lshrrev_b32_e32 v0, s6, v0
	v_mul_lo_u32 v0, v0, s4
	v_sub_u32_e32 v0, v1, v0
	v_mad_u64_u32 v[4:5], s[2:3], v0, s2, v[4:5]
.LBB175_491:
	s_and_b64 vcc, exec, s[0:1]
	v_add_u32_e32 v0, 0x100, v8
	s_cbranch_vccnz .LBB175_497
; %bb.492:
	s_cmp_lg_u32 s33, 0
	s_mov_b32 s26, 0
	s_cbranch_scc0 .LBB175_498
; %bb.493:
	s_min_u32 s27, s80, 15
	s_add_i32 s27, s27, 1
	s_cmp_eq_u32 s80, 2
	s_cbranch_scc1 .LBB175_499
; %bb.494:
	s_and_b32 s26, s27, 28
	s_add_u32 s2, s34, 0xc4
	s_addc_u32 s3, s35, 0
	s_mov_b32 s28, 0
	v_mov_b32_e32 v2, 0
	s_mov_b64 s[24:25], s[34:35]
	v_mov_b32_e32 v1, v0
.LBB175_495:                            ; =>This Inner Loop Header: Depth=1
	s_load_dwordx8 s[4:11], s[24:25], 0x4
	s_load_dwordx4 s[12:15], s[24:25], 0x24
	s_load_dwordx4 s[16:19], s[2:3], 0x0
	s_add_u32 s24, s24, 48
	s_addc_u32 s25, s25, 0
	s_waitcnt lgkmcnt(0)
	v_mul_hi_u32 v3, s5, v1
	s_add_i32 s28, s28, 4
	s_add_u32 s2, s2, 16
	s_addc_u32 s3, s3, 0
	v_add_u32_e32 v3, v1, v3
	v_lshrrev_b32_e32 v3, s6, v3
	v_mul_lo_u32 v5, v3, s4
	v_mul_hi_u32 v7, s8, v3
	s_cmp_lg_u32 s26, s28
	v_sub_u32_e32 v1, v1, v5
	v_add_u32_e32 v5, v3, v7
	v_lshrrev_b32_e32 v5, s9, v5
	v_mul_lo_u32 v7, v1, s16
	v_mul_hi_u32 v1, s11, v5
	v_mul_lo_u32 v10, v5, s7
	v_add_u32_e32 v1, v5, v1
	v_lshrrev_b32_e32 v8, s12, v1
	v_mul_hi_u32 v1, s14, v8
	v_sub_u32_e32 v3, v3, v10
	v_mul_lo_u32 v10, v8, s10
	v_mul_lo_u32 v3, v3, s17
	v_add_u32_e32 v1, v8, v1
	v_lshrrev_b32_e32 v1, s15, v1
	v_mul_lo_u32 v11, v1, s13
	v_sub_u32_e32 v5, v5, v10
	v_mul_lo_u32 v5, v5, s18
	v_add3_u32 v2, v7, v2, v3
	v_sub_u32_e32 v8, v8, v11
	v_mul_lo_u32 v8, v8, s19
	v_add3_u32 v2, v5, v2, v8
	s_cbranch_scc1 .LBB175_495
; %bb.496:
	s_and_b32 s6, s27, 3
	s_cmp_eq_u32 s6, 0
	s_cbranch_scc0 .LBB175_500
	s_branch .LBB175_502
.LBB175_497:
                                        ; implicit-def: $vgpr2
	s_branch .LBB175_503
.LBB175_498:
	v_mov_b32_e32 v2, 0
	s_branch .LBB175_502
.LBB175_499:
	v_mov_b32_e32 v2, 0
	v_mov_b32_e32 v1, v0
	s_and_b32 s6, s27, 3
	s_cmp_eq_u32 s6, 0
	s_cbranch_scc1 .LBB175_502
.LBB175_500:
	s_lshl_b32 s2, s26, 2
	s_add_u32 s2, s34, s2
	s_addc_u32 s3, s35, 0
	s_add_u32 s2, s2, 0xc4
	s_addc_u32 s3, s3, 0
	s_mul_i32 s4, s26, 12
	s_add_u32 s4, s34, s4
	s_addc_u32 s5, s35, 0
.LBB175_501:                            ; =>This Inner Loop Header: Depth=1
	s_load_dwordx2 s[8:9], s[4:5], 0x4
	s_load_dword s7, s[4:5], 0xc
	s_add_u32 s4, s4, 12
	s_addc_u32 s5, s5, 0
	s_waitcnt lgkmcnt(0)
	v_mul_hi_u32 v3, s9, v1
	s_load_dword s9, s[2:3], 0x0
	s_add_u32 s2, s2, 4
	s_addc_u32 s3, s3, 0
	v_add_u32_e32 v3, v1, v3
	v_lshrrev_b32_e32 v5, s7, v3
	v_mul_lo_u32 v3, v5, s8
	s_add_i32 s6, s6, -1
	s_cmp_lg_u32 s6, 0
	v_sub_u32_e32 v1, v1, v3
	s_waitcnt lgkmcnt(0)
	v_mad_u64_u32 v[2:3], s[8:9], v1, s9, v[2:3]
	v_mov_b32_e32 v1, v5
	s_cbranch_scc1 .LBB175_501
.LBB175_502:
	s_cbranch_execnz .LBB175_505
.LBB175_503:
	s_load_dwordx4 s[4:7], s[34:35], 0x4
	s_load_dword s2, s[34:35], 0xc4
	s_cmp_lt_u32 s33, 2
	s_waitcnt lgkmcnt(0)
	v_mul_hi_u32 v1, s5, v0
	v_add_u32_e32 v1, v0, v1
	v_lshrrev_b32_e32 v1, s6, v1
	v_mul_lo_u32 v2, v1, s4
	v_sub_u32_e32 v0, v0, v2
	v_mul_lo_u32 v2, v0, s2
	s_cbranch_scc1 .LBB175_505
; %bb.504:
	s_load_dwordx4 s[4:7], s[34:35], 0x10
	s_load_dword s2, s[34:35], 0xc8
	s_waitcnt lgkmcnt(0)
	v_mul_hi_u32 v0, s5, v1
	v_add_u32_e32 v0, v1, v0
	v_lshrrev_b32_e32 v0, s6, v0
	v_mul_lo_u32 v0, v0, s4
	v_sub_u32_e32 v0, v1, v0
	v_mad_u64_u32 v[2:3], s[2:3], v0, s2, v[2:3]
.LBB175_505:
	s_and_b64 vcc, exec, s[0:1]
	s_cbranch_vccnz .LBB175_511
; %bb.506:
	s_cmp_lg_u32 s33, 0
	s_mov_b32 s24, 0
	s_cbranch_scc0 .LBB175_512
; %bb.507:
	s_min_u32 s25, s80, 15
	s_add_i32 s25, s25, 1
	s_cmp_eq_u32 s80, 2
	s_cbranch_scc1 .LBB175_513
; %bb.508:
	s_and_b32 s24, s25, 28
	s_add_u32 s16, s34, 0xc4
	s_addc_u32 s17, s35, 0
	s_mov_b32 s26, 0
	v_mov_b32_e32 v0, 0
	s_mov_b64 s[18:19], s[34:35]
	v_mov_b32_e32 v1, v9
.LBB175_509:                            ; =>This Inner Loop Header: Depth=1
	s_load_dwordx8 s[0:7], s[18:19], 0x4
	s_load_dwordx4 s[8:11], s[18:19], 0x24
	s_load_dwordx4 s[12:15], s[16:17], 0x0
	s_add_u32 s18, s18, 48
	s_addc_u32 s19, s19, 0
	s_waitcnt lgkmcnt(0)
	v_mul_hi_u32 v3, s1, v1
	s_add_i32 s26, s26, 4
	s_add_u32 s16, s16, 16
	s_addc_u32 s17, s17, 0
	v_add_u32_e32 v3, v1, v3
	v_lshrrev_b32_e32 v3, s2, v3
	v_mul_lo_u32 v5, v3, s0
	v_mul_hi_u32 v7, s4, v3
	s_cmp_lg_u32 s24, s26
	v_sub_u32_e32 v1, v1, v5
	v_add_u32_e32 v5, v3, v7
	v_lshrrev_b32_e32 v5, s5, v5
	v_mul_lo_u32 v7, v1, s12
	v_mul_hi_u32 v1, s7, v5
	v_mul_lo_u32 v10, v5, s3
	v_add_u32_e32 v1, v5, v1
	v_lshrrev_b32_e32 v8, s8, v1
	v_mul_hi_u32 v1, s10, v8
	v_sub_u32_e32 v3, v3, v10
	v_mul_lo_u32 v10, v8, s6
	v_mul_lo_u32 v3, v3, s13
	v_add_u32_e32 v1, v8, v1
	v_lshrrev_b32_e32 v1, s11, v1
	v_mul_lo_u32 v11, v1, s9
	v_sub_u32_e32 v5, v5, v10
	v_mul_lo_u32 v5, v5, s14
	v_add3_u32 v0, v7, v0, v3
	v_sub_u32_e32 v8, v8, v11
	v_mul_lo_u32 v8, v8, s15
	v_add3_u32 v0, v5, v0, v8
	s_cbranch_scc1 .LBB175_509
; %bb.510:
	s_and_b32 s4, s25, 3
	s_cmp_eq_u32 s4, 0
	s_cbranch_scc0 .LBB175_514
	s_branch .LBB175_516
.LBB175_511:
                                        ; implicit-def: $vgpr0
	s_branch .LBB175_517
.LBB175_512:
	v_mov_b32_e32 v0, 0
	s_branch .LBB175_516
.LBB175_513:
	v_mov_b32_e32 v0, 0
	v_mov_b32_e32 v1, v9
	s_and_b32 s4, s25, 3
	s_cmp_eq_u32 s4, 0
	s_cbranch_scc1 .LBB175_516
.LBB175_514:
	s_lshl_b32 s0, s24, 2
	s_add_u32 s0, s34, s0
	s_addc_u32 s1, s35, 0
	s_add_u32 s0, s0, 0xc4
	s_addc_u32 s1, s1, 0
	s_mul_i32 s2, s24, 12
	s_add_u32 s2, s34, s2
	s_addc_u32 s3, s35, 0
.LBB175_515:                            ; =>This Inner Loop Header: Depth=1
	s_load_dwordx2 s[6:7], s[2:3], 0x4
	s_load_dword s5, s[2:3], 0xc
	s_add_u32 s2, s2, 12
	s_addc_u32 s3, s3, 0
	s_waitcnt lgkmcnt(0)
	v_mul_hi_u32 v3, s7, v1
	s_load_dword s7, s[0:1], 0x0
	s_add_u32 s0, s0, 4
	s_addc_u32 s1, s1, 0
	v_add_u32_e32 v3, v1, v3
	v_lshrrev_b32_e32 v3, s5, v3
	v_mul_lo_u32 v5, v3, s6
	s_add_i32 s4, s4, -1
	s_cmp_lg_u32 s4, 0
	v_sub_u32_e32 v1, v1, v5
	s_waitcnt lgkmcnt(0)
	v_mad_u64_u32 v[0:1], s[6:7], v1, s7, v[0:1]
	v_mov_b32_e32 v1, v3
	s_cbranch_scc1 .LBB175_515
.LBB175_516:
	s_cbranch_execnz .LBB175_519
.LBB175_517:
	s_load_dwordx4 s[0:3], s[34:35], 0x4
	s_waitcnt lgkmcnt(0)
	s_load_dword s3, s[34:35], 0xc4
	s_cmp_lt_u32 s33, 2
	v_mul_hi_u32 v0, s1, v9
	v_add_u32_e32 v0, v9, v0
	v_lshrrev_b32_e32 v1, s2, v0
	v_mul_lo_u32 v0, v1, s0
	v_sub_u32_e32 v0, v9, v0
	s_waitcnt lgkmcnt(0)
	v_mul_lo_u32 v0, v0, s3
	s_cbranch_scc1 .LBB175_519
; %bb.518:
	s_load_dwordx4 s[0:3], s[34:35], 0x10
	s_waitcnt lgkmcnt(0)
	s_load_dword s3, s[34:35], 0xc8
	v_mul_hi_u32 v3, s1, v1
	v_add_u32_e32 v3, v1, v3
	v_lshrrev_b32_e32 v3, s2, v3
	v_mul_lo_u32 v3, v3, s0
	v_sub_u32_e32 v1, v1, v3
	s_waitcnt lgkmcnt(0)
	v_mad_u64_u32 v[0:1], s[0:1], v1, s3, v[0:1]
.LBB175_519:
	s_load_dwordx4 s[0:3], s[34:35], 0x108
	s_load_dword s4, s[34:35], 0x118
	s_waitcnt lgkmcnt(0)
	v_mov_b32_e32 v1, s1
	s_and_b32 s14, s4, 0xff
	v_add_co_u32_e32 v5, vcc, s0, v6
	s_cmp_lt_i32 s14, 11
	v_addc_co_u32_e32 v6, vcc, 0, v1, vcc
	s_cbranch_scc1 .LBB175_547
; %bb.520:
	s_and_b32 s12, 0xffff, s14
	s_mov_b64 s[10:11], -1
	s_mov_b64 s[6:7], 0
	s_cmp_gt_i32 s12, 25
	s_mov_b64 s[8:9], 0
	s_mov_b64 s[4:5], 0
	s_cbranch_scc0 .LBB175_557
; %bb.521:
	s_cmp_gt_i32 s12, 28
	s_cbranch_scc0 .LBB175_536
; %bb.522:
	s_cmp_gt_i32 s12, 43
	;; [unrolled: 3-line block ×3, first 2 shown]
	s_cbranch_scc0 .LBB175_526
; %bb.524:
	s_mov_b64 s[4:5], -1
	s_mov_b64 s[10:11], 0
	s_cmp_eq_u32 s12, 46
	s_cbranch_scc0 .LBB175_526
; %bb.525:
	s_flbit_i32_b32 s4, s3
	s_min_u32 s8, s4, 32
	s_lshl_b64 s[4:5], s[2:3], s8
	s_min_u32 s4, s4, 1
	s_or_b32 s4, s5, s4
	v_cvt_f32_u32_e32 v1, s4
	s_sub_i32 s8, 32, s8
	s_mov_b64 s[4:5], 0
	v_ldexp_f32 v1, v1, s8
	v_bfe_u32 v3, v1, 16, 1
	v_add_u32_e32 v1, v1, v3
	v_add_u32_e32 v1, 0x7fff, v1
	v_lshrrev_b32_e32 v1, 16, v1
	global_store_dword v[5:6], v1, off
	s_mov_b64 s[8:9], -1
.LBB175_526:
	s_and_b64 vcc, exec, s[10:11]
	s_cbranch_vccz .LBB175_531
; %bb.527:
	s_cmp_eq_u32 s12, 44
	s_mov_b64 s[4:5], -1
	s_cbranch_scc0 .LBB175_531
; %bb.528:
	s_flbit_i32_b32 s4, s3
	s_min_u32 s8, s4, 32
	s_lshl_b64 s[4:5], s[2:3], s8
	s_min_u32 s4, s4, 1
	s_or_b32 s4, s5, s4
	v_cvt_f32_u32_e32 v1, s4
	s_sub_i32 s4, 32, s8
	v_ldexp_f32 v1, v1, s4
	v_readfirstlane_b32 s5, v1
	s_lshr_b32 s4, s5, 23
	s_cmpk_eq_i32 s4, 0xff
	v_mov_b32_e32 v1, 0xff
	s_cbranch_scc1 .LBB175_530
; %bb.529:
	s_bitcmp1_b32 s5, 22
	s_cselect_b64 s[8:9], -1, 0
	s_and_b32 s5, s5, 0x3fffff
	s_or_b32 s5, s4, s5
	s_cmp_lg_u32 s5, 0
	s_cselect_b64 s[10:11], -1, 0
	s_and_b64 s[8:9], s[8:9], s[10:11]
	v_cndmask_b32_e64 v1, 0, 1, s[8:9]
	v_add_u32_e32 v1, s4, v1
.LBB175_530:
	s_mov_b64 s[4:5], 0
	s_mov_b64 s[8:9], -1
	global_store_byte v[5:6], v1, off
.LBB175_531:
	s_mov_b64 s[10:11], 0
.LBB175_532:
	s_and_b64 vcc, exec, s[10:11]
	s_cbranch_vccz .LBB175_535
; %bb.533:
	s_cmp_eq_u32 s12, 29
	s_mov_b64 s[4:5], -1
	s_cbranch_scc0 .LBB175_535
; %bb.534:
	v_mov_b32_e32 v8, s3
	v_mov_b32_e32 v7, s2
	global_store_dwordx2 v[5:6], v[7:8], off
	s_mov_b64 s[4:5], 0
	s_mov_b64 s[8:9], -1
.LBB175_535:
	s_mov_b64 s[10:11], 0
.LBB175_536:
	s_and_b64 vcc, exec, s[10:11]
	s_cbranch_vccz .LBB175_556
; %bb.537:
	s_cmp_lt_i32 s12, 27
	s_mov_b64 s[8:9], -1
	s_cbranch_scc1 .LBB175_543
; %bb.538:
	s_cmp_gt_i32 s12, 27
	s_cbranch_scc0 .LBB175_540
; %bb.539:
	v_mov_b32_e32 v1, s2
	s_mov_b64 s[8:9], 0
	global_store_dword v[5:6], v1, off
.LBB175_540:
	s_andn2_b64 vcc, exec, s[8:9]
	s_cbranch_vccnz .LBB175_542
; %bb.541:
	v_mov_b32_e32 v1, s2
	global_store_short v[5:6], v1, off
.LBB175_542:
	s_mov_b64 s[8:9], 0
.LBB175_543:
	s_andn2_b64 vcc, exec, s[8:9]
	s_cbranch_vccnz .LBB175_555
; %bb.544:
	s_flbit_i32_b32 s8, s3
	s_min_u32 s10, s8, 32
	s_lshl_b64 s[8:9], s[2:3], s10
	s_min_u32 s8, s8, 1
	s_or_b32 s8, s9, s8
	v_cvt_f32_u32_e32 v1, s8
	s_sub_i32 s8, 32, s10
	s_mov_b32 s9, 0x437fffff
	v_mov_b32_e32 v7, 0x80
	v_ldexp_f32 v1, v1, s8
	v_cmp_lt_u32_e32 vcc, s9, v1
	v_readfirstlane_b32 s8, v1
	s_cbranch_vccnz .LBB175_554
; %bb.545:
	s_cmp_gt_u32 s8, 0x3bffffff
	s_cbranch_scc0 .LBB175_549
; %bb.546:
	s_bfe_u32 s9, s8, 0x10014
	s_add_i32 s8, s8, s9
	s_add_i32 s8, s8, 0x487ffff
	s_lshr_b32 s13, s8, 20
	s_mov_b64 s[10:11], 0
	s_mov_b64 s[8:9], -1
	s_branch .LBB175_550
.LBB175_547:
	s_mov_b64 s[8:9], 0
	s_mov_b64 s[4:5], s[20:21]
	s_cbranch_execnz .LBB175_607
.LBB175_548:
	s_andn2_b64 vcc, exec, s[8:9]
	s_cbranch_vccz .LBB175_645
	s_branch .LBB175_943
.LBB175_549:
	s_mov_b64 s[10:11], -1
	s_mov_b64 s[8:9], 0
                                        ; implicit-def: $sgpr13
.LBB175_550:
	s_andn2_b64 vcc, exec, s[10:11]
	v_mov_b32_e32 v3, s13
	s_cbranch_vccnz .LBB175_552
; %bb.551:
	v_add_f32_e32 v1, 0x46000000, v1
	v_and_b32_e32 v3, 0xff, v1
	v_cmp_ne_u32_e64 s[8:9], 0, v3
.LBB175_552:
	s_andn2_b64 vcc, exec, s[8:9]
	v_mov_b32_e32 v7, 0
	s_cbranch_vccnz .LBB175_554
; %bb.553:
	v_mov_b32_e32 v7, v3
.LBB175_554:
	global_store_byte v[5:6], v7, off
.LBB175_555:
	s_mov_b64 s[8:9], -1
.LBB175_556:
	s_mov_b64 s[10:11], 0
.LBB175_557:
	s_and_b64 vcc, exec, s[10:11]
	s_cbranch_vccz .LBB175_603
; %bb.558:
	s_cmp_gt_i32 s12, 22
	s_mov_b64 s[6:7], -1
	s_cbranch_scc0 .LBB175_596
; %bb.559:
	s_cmp_lt_i32 s12, 24
	s_cbranch_scc1 .LBB175_583
; %bb.560:
	s_cmp_gt_i32 s12, 24
	s_cbranch_scc0 .LBB175_570
; %bb.561:
	s_flbit_i32_b32 s6, s3
	s_min_u32 s8, s6, 32
	s_lshl_b64 s[6:7], s[2:3], s8
	s_min_u32 s6, s6, 1
	s_or_b32 s6, s7, s6
	v_cvt_f32_u32_e32 v1, s6
	s_sub_i32 s6, 32, s8
	s_mov_b32 s7, 0x477fffff
	v_mov_b32_e32 v7, 0x80
	v_ldexp_f32 v1, v1, s6
	v_cmp_lt_u32_e32 vcc, s7, v1
	v_readfirstlane_b32 s6, v1
	s_cbranch_vccnz .LBB175_569
; %bb.562:
	s_cmp_gt_u32 s6, 0x37ffffff
	s_cbranch_scc0 .LBB175_564
; %bb.563:
	s_bfe_u32 s7, s6, 0x10015
	s_add_i32 s6, s6, s7
	s_add_i32 s6, s6, 0x88fffff
	s_lshr_b32 s10, s6, 21
	s_mov_b64 s[8:9], 0
	s_mov_b64 s[6:7], -1
	s_branch .LBB175_565
.LBB175_564:
	s_mov_b64 s[8:9], -1
	s_mov_b64 s[6:7], 0
                                        ; implicit-def: $sgpr10
.LBB175_565:
	s_andn2_b64 vcc, exec, s[8:9]
	v_mov_b32_e32 v3, s10
	s_cbranch_vccnz .LBB175_567
; %bb.566:
	v_add_f32_e32 v1, 0x42800000, v1
	v_and_b32_e32 v3, 0xff, v1
	v_cmp_ne_u32_e64 s[6:7], 0, v3
.LBB175_567:
	s_andn2_b64 vcc, exec, s[6:7]
	v_mov_b32_e32 v7, 0
	s_cbranch_vccnz .LBB175_569
; %bb.568:
	v_mov_b32_e32 v7, v3
.LBB175_569:
	s_mov_b64 s[6:7], 0
	global_store_byte v[5:6], v7, off
.LBB175_570:
	s_and_b64 vcc, exec, s[6:7]
	s_cbranch_vccz .LBB175_582
; %bb.571:
	s_flbit_i32_b32 s6, s3
	s_min_u32 s8, s6, 32
	s_lshl_b64 s[6:7], s[2:3], s8
	s_min_u32 s6, s6, 1
	s_or_b32 s6, s7, s6
	v_cvt_f32_u32_e32 v1, s6
	s_sub_i32 s6, 32, s8
	v_ldexp_f32 v1, v1, s6
	s_mov_b32 s6, 0x43f00000
	v_cmp_gt_u32_e32 vcc, s6, v1
	v_readfirstlane_b32 s8, v1
	s_cbranch_vccz .LBB175_574
; %bb.572:
	s_cmp_gt_u32 s8, 0x3c7fffff
	s_cbranch_scc0 .LBB175_575
; %bb.573:
	s_bfe_u32 s6, s8, 0x10014
	s_add_i32 s6, s8, s6
	s_add_i32 s6, s6, 0x407ffff
	s_lshr_b32 s7, s6, 20
	s_and_b32 s6, s6, 0xff00000
	s_cmp_lg_u32 s6, 0x7f00000
	s_cselect_b32 s9, s7, 0x7e
	s_mov_b64 s[6:7], 0
	s_branch .LBB175_576
.LBB175_574:
	s_mov_b64 s[6:7], -1
                                        ; implicit-def: $vgpr3
	s_branch .LBB175_579
.LBB175_575:
	s_mov_b64 s[6:7], -1
                                        ; implicit-def: $sgpr9
.LBB175_576:
	s_andn2_b64 vcc, exec, s[6:7]
	v_mov_b32_e32 v3, s9
	s_cbranch_vccnz .LBB175_578
; %bb.577:
	v_add_f32_e32 v3, 0x46800000, v1
.LBB175_578:
	s_mov_b64 s[6:7], 0
.LBB175_579:
	s_andn2_b64 vcc, exec, s[6:7]
	s_cbranch_vccnz .LBB175_581
; %bb.580:
	s_cmp_gt_u32 s8, 0x7f800000
	s_movk_i32 s6, 0x7f
	s_cselect_b32 s6, s6, 0x7e
	v_mov_b32_e32 v3, s6
.LBB175_581:
	global_store_byte v[5:6], v3, off
.LBB175_582:
	s_mov_b64 s[6:7], 0
.LBB175_583:
	s_andn2_b64 vcc, exec, s[6:7]
	s_cbranch_vccnz .LBB175_595
; %bb.584:
	s_flbit_i32_b32 s6, s3
	s_min_u32 s8, s6, 32
	s_lshl_b64 s[6:7], s[2:3], s8
	s_min_u32 s6, s6, 1
	s_or_b32 s6, s7, s6
	v_cvt_f32_u32_e32 v1, s6
	s_sub_i32 s6, 32, s8
	v_ldexp_f32 v1, v1, s6
	s_mov_b32 s6, 0x47800000
	v_cmp_gt_u32_e32 vcc, s6, v1
	v_readfirstlane_b32 s8, v1
	s_cbranch_vccz .LBB175_587
; %bb.585:
	s_cmp_gt_u32 s8, 0x387fffff
	s_cbranch_scc0 .LBB175_588
; %bb.586:
	s_bfe_u32 s6, s8, 0x10015
	s_add_i32 s6, s8, s6
	s_add_i32 s6, s6, 0x80fffff
	s_lshr_b32 s9, s6, 21
	s_mov_b64 s[6:7], 0
	s_branch .LBB175_589
.LBB175_587:
	s_mov_b64 s[6:7], -1
                                        ; implicit-def: $vgpr3
	s_branch .LBB175_592
.LBB175_588:
	s_mov_b64 s[6:7], -1
                                        ; implicit-def: $sgpr9
.LBB175_589:
	s_andn2_b64 vcc, exec, s[6:7]
	v_mov_b32_e32 v3, s9
	s_cbranch_vccnz .LBB175_591
; %bb.590:
	v_add_f32_e32 v3, 0x43000000, v1
.LBB175_591:
	s_mov_b64 s[6:7], 0
.LBB175_592:
	s_andn2_b64 vcc, exec, s[6:7]
	s_cbranch_vccnz .LBB175_594
; %bb.593:
	s_cmp_gt_u32 s8, 0x7f800000
	s_movk_i32 s6, 0x7f
	s_cselect_b32 s6, s6, 0x7c
	v_mov_b32_e32 v3, s6
.LBB175_594:
	global_store_byte v[5:6], v3, off
.LBB175_595:
	s_mov_b64 s[6:7], 0
	s_mov_b64 s[8:9], -1
.LBB175_596:
	s_andn2_b64 vcc, exec, s[6:7]
	s_mov_b64 s[6:7], 0
	s_cbranch_vccnz .LBB175_603
; %bb.597:
	s_cmp_gt_i32 s12, 14
	s_mov_b64 s[10:11], -1
	s_cbranch_scc0 .LBB175_601
; %bb.598:
	s_cmp_eq_u32 s12, 15
	s_mov_b64 s[4:5], -1
	s_cbranch_scc0 .LBB175_600
; %bb.599:
	s_flbit_i32_b32 s4, s3
	s_min_u32 s6, s4, 32
	s_lshl_b64 s[4:5], s[2:3], s6
	s_min_u32 s4, s4, 1
	s_or_b32 s4, s5, s4
	v_cvt_f32_u32_e32 v1, s4
	s_sub_i32 s6, 32, s6
	s_mov_b64 s[4:5], 0
	s_mov_b64 s[8:9], -1
	v_ldexp_f32 v1, v1, s6
	v_bfe_u32 v3, v1, 16, 1
	v_add_u32_e32 v1, v1, v3
	v_add_u32_e32 v1, 0x7fff, v1
	global_store_short_d16_hi v[5:6], v1, off
.LBB175_600:
	s_mov_b64 s[10:11], 0
.LBB175_601:
	s_mov_b64 s[6:7], 0
	s_and_b64 vcc, exec, s[10:11]
	s_cbranch_vccz .LBB175_603
; %bb.602:
	s_cmp_lg_u32 s12, 11
	s_mov_b64 s[6:7], -1
	s_cselect_b64 s[4:5], -1, 0
.LBB175_603:
	s_and_b64 vcc, exec, s[4:5]
	s_mov_b64 s[4:5], s[20:21]
	s_cbranch_vccnz .LBB175_675
; %bb.604:
	s_andn2_b64 vcc, exec, s[6:7]
	s_cbranch_vccnz .LBB175_606
.LBB175_605:
	s_cmp_lg_u64 s[2:3], 0
	s_cselect_b64 s[6:7], -1, 0
	v_cndmask_b32_e64 v1, 0, 1, s[6:7]
	global_store_byte v[5:6], v1, off
	s_mov_b64 s[8:9], -1
.LBB175_606:
	s_branch .LBB175_548
.LBB175_607:
	s_and_b32 s8, 0xffff, s14
	s_cmp_lt_i32 s8, 5
	s_mov_b64 s[6:7], -1
	s_cbranch_scc1 .LBB175_628
; %bb.608:
	s_cmp_lt_i32 s8, 8
	s_cbranch_scc1 .LBB175_618
; %bb.609:
	s_cmp_lt_i32 s8, 9
	s_cbranch_scc1 .LBB175_615
; %bb.610:
	s_cmp_gt_i32 s8, 9
	s_cbranch_scc0 .LBB175_612
; %bb.611:
	v_cvt_f64_u32_e32 v[7:8], s3
	v_cvt_f64_u32_e32 v[9:10], s2
	s_mov_b64 s[6:7], 0
	v_ldexp_f64 v[7:8], v[7:8], 32
	v_add_f64 v[7:8], v[7:8], v[9:10]
	v_mov_b32_e32 v9, 0
	v_mov_b32_e32 v10, v9
	global_store_dwordx4 v[5:6], v[7:10], off
.LBB175_612:
	s_andn2_b64 vcc, exec, s[6:7]
	s_cbranch_vccnz .LBB175_614
; %bb.613:
	s_flbit_i32_b32 s6, s3
	s_min_u32 s9, s6, 32
	s_lshl_b64 s[6:7], s[2:3], s9
	s_min_u32 s6, s6, 1
	s_or_b32 s6, s7, s6
	v_cvt_f32_u32_e32 v1, s6
	s_sub_i32 s6, 32, s9
	v_mov_b32_e32 v8, 0
	v_ldexp_f32 v7, v1, s6
	global_store_dwordx2 v[5:6], v[7:8], off
.LBB175_614:
	s_mov_b64 s[6:7], 0
.LBB175_615:
	s_andn2_b64 vcc, exec, s[6:7]
	s_cbranch_vccnz .LBB175_617
; %bb.616:
	s_flbit_i32_b32 s6, s3
	s_min_u32 s9, s6, 32
	s_lshl_b64 s[6:7], s[2:3], s9
	s_min_u32 s6, s6, 1
	s_or_b32 s6, s7, s6
	v_cvt_f32_u32_e32 v1, s6
	s_sub_i32 s6, 32, s9
	v_ldexp_f32 v1, v1, s6
	v_cvt_f16_f32_e32 v1, v1
	global_store_dword v[5:6], v1, off
.LBB175_617:
	s_mov_b64 s[6:7], 0
.LBB175_618:
	s_andn2_b64 vcc, exec, s[6:7]
	s_cbranch_vccnz .LBB175_627
; %bb.619:
	s_cmp_lt_i32 s8, 6
	s_mov_b64 s[6:7], -1
	s_cbranch_scc1 .LBB175_625
; %bb.620:
	s_cmp_gt_i32 s8, 6
	s_cbranch_scc0 .LBB175_622
; %bb.621:
	v_cvt_f64_u32_e32 v[7:8], s3
	v_cvt_f64_u32_e32 v[9:10], s2
	s_mov_b64 s[6:7], 0
	v_ldexp_f64 v[7:8], v[7:8], 32
	v_add_f64 v[7:8], v[7:8], v[9:10]
	global_store_dwordx2 v[5:6], v[7:8], off
.LBB175_622:
	s_andn2_b64 vcc, exec, s[6:7]
	s_cbranch_vccnz .LBB175_624
; %bb.623:
	s_flbit_i32_b32 s6, s3
	s_min_u32 s9, s6, 32
	s_lshl_b64 s[6:7], s[2:3], s9
	s_min_u32 s6, s6, 1
	s_or_b32 s6, s7, s6
	v_cvt_f32_u32_e32 v1, s6
	s_sub_i32 s6, 32, s9
	v_ldexp_f32 v1, v1, s6
	global_store_dword v[5:6], v1, off
.LBB175_624:
	s_mov_b64 s[6:7], 0
.LBB175_625:
	s_andn2_b64 vcc, exec, s[6:7]
	s_cbranch_vccnz .LBB175_627
; %bb.626:
	s_flbit_i32_b32 s6, s3
	s_min_u32 s9, s6, 32
	s_lshl_b64 s[6:7], s[2:3], s9
	s_min_u32 s6, s6, 1
	s_or_b32 s6, s7, s6
	v_cvt_f32_u32_e32 v1, s6
	s_sub_i32 s6, 32, s9
	v_ldexp_f32 v1, v1, s6
	v_cvt_f16_f32_e32 v1, v1
	global_store_short v[5:6], v1, off
.LBB175_627:
	s_mov_b64 s[6:7], 0
.LBB175_628:
	s_andn2_b64 vcc, exec, s[6:7]
	s_cbranch_vccnz .LBB175_644
; %bb.629:
	s_cmp_lt_i32 s8, 2
	s_mov_b64 s[6:7], -1
	s_cbranch_scc1 .LBB175_639
; %bb.630:
	s_cmp_lt_i32 s8, 3
	s_cbranch_scc1 .LBB175_636
; %bb.631:
	s_cmp_gt_i32 s8, 3
	s_cbranch_scc0 .LBB175_633
; %bb.632:
	v_mov_b32_e32 v8, s3
	v_mov_b32_e32 v7, s2
	global_store_dwordx2 v[5:6], v[7:8], off
	s_mov_b64 s[6:7], 0
.LBB175_633:
	s_andn2_b64 vcc, exec, s[6:7]
	s_cbranch_vccnz .LBB175_635
; %bb.634:
	v_mov_b32_e32 v1, s2
	global_store_dword v[5:6], v1, off
.LBB175_635:
	s_mov_b64 s[6:7], 0
.LBB175_636:
	s_andn2_b64 vcc, exec, s[6:7]
	s_cbranch_vccnz .LBB175_638
; %bb.637:
	v_mov_b32_e32 v1, s2
	global_store_short v[5:6], v1, off
.LBB175_638:
	s_mov_b64 s[6:7], 0
.LBB175_639:
	s_andn2_b64 vcc, exec, s[6:7]
	s_cbranch_vccnz .LBB175_644
; %bb.640:
	s_cmp_gt_i32 s8, 0
	s_mov_b64 s[6:7], -1
	s_cbranch_scc0 .LBB175_642
; %bb.641:
	v_mov_b32_e32 v1, s2
	global_store_byte v[5:6], v1, off
	s_mov_b64 s[6:7], 0
.LBB175_642:
	s_andn2_b64 vcc, exec, s[6:7]
	s_cbranch_vccnz .LBB175_644
; %bb.643:
	v_mov_b32_e32 v1, s2
	global_store_byte v[5:6], v1, off
.LBB175_644:
.LBB175_645:
	v_mov_b32_e32 v1, s1
	s_and_b32 s15, 0xffff, s14
	v_add_co_u32_e32 v3, vcc, s0, v4
	s_cmp_lt_i32 s15, 11
	v_addc_co_u32_e32 v4, vcc, 0, v1, vcc
	s_cbranch_scc1 .LBB175_673
; %bb.646:
	s_mov_b64 s[12:13], -1
	s_mov_b64 s[8:9], 0
	s_cmp_gt_i32 s15, 25
	s_mov_b64 s[10:11], 0
	s_mov_b64 s[6:7], 0
	s_cbranch_scc0 .LBB175_684
; %bb.647:
	s_cmp_gt_i32 s15, 28
	s_cbranch_scc0 .LBB175_662
; %bb.648:
	s_cmp_gt_i32 s15, 43
	;; [unrolled: 3-line block ×3, first 2 shown]
	s_cbranch_scc0 .LBB175_652
; %bb.650:
	s_mov_b64 s[6:7], -1
	s_mov_b64 s[12:13], 0
	s_cmp_eq_u32 s15, 46
	s_cbranch_scc0 .LBB175_652
; %bb.651:
	s_flbit_i32_b32 s6, s3
	s_min_u32 s10, s6, 32
	s_lshl_b64 s[6:7], s[2:3], s10
	s_min_u32 s6, s6, 1
	s_or_b32 s6, s7, s6
	v_cvt_f32_u32_e32 v1, s6
	s_sub_i32 s10, 32, s10
	s_mov_b64 s[6:7], 0
	v_ldexp_f32 v1, v1, s10
	v_bfe_u32 v5, v1, 16, 1
	v_add_u32_e32 v1, v1, v5
	v_add_u32_e32 v1, 0x7fff, v1
	v_lshrrev_b32_e32 v1, 16, v1
	global_store_dword v[3:4], v1, off
	s_mov_b64 s[10:11], -1
.LBB175_652:
	s_and_b64 vcc, exec, s[12:13]
	s_cbranch_vccz .LBB175_657
; %bb.653:
	s_cmp_eq_u32 s15, 44
	s_mov_b64 s[6:7], -1
	s_cbranch_scc0 .LBB175_657
; %bb.654:
	s_flbit_i32_b32 s6, s3
	s_min_u32 s10, s6, 32
	s_lshl_b64 s[6:7], s[2:3], s10
	s_min_u32 s6, s6, 1
	s_or_b32 s6, s7, s6
	v_cvt_f32_u32_e32 v1, s6
	s_sub_i32 s6, 32, s10
	v_ldexp_f32 v1, v1, s6
	v_readfirstlane_b32 s7, v1
	s_lshr_b32 s6, s7, 23
	s_cmpk_eq_i32 s6, 0xff
	v_mov_b32_e32 v1, 0xff
	s_cbranch_scc1 .LBB175_656
; %bb.655:
	s_bitcmp1_b32 s7, 22
	s_cselect_b64 s[10:11], -1, 0
	s_and_b32 s7, s7, 0x3fffff
	s_or_b32 s7, s6, s7
	s_cmp_lg_u32 s7, 0
	s_cselect_b64 s[12:13], -1, 0
	s_and_b64 s[10:11], s[10:11], s[12:13]
	v_cndmask_b32_e64 v1, 0, 1, s[10:11]
	v_add_u32_e32 v1, s6, v1
.LBB175_656:
	s_mov_b64 s[6:7], 0
	s_mov_b64 s[10:11], -1
	global_store_byte v[3:4], v1, off
.LBB175_657:
	s_mov_b64 s[12:13], 0
.LBB175_658:
	s_and_b64 vcc, exec, s[12:13]
	s_cbranch_vccz .LBB175_661
; %bb.659:
	s_cmp_eq_u32 s15, 29
	s_mov_b64 s[6:7], -1
	s_cbranch_scc0 .LBB175_661
; %bb.660:
	v_mov_b32_e32 v6, s3
	v_mov_b32_e32 v5, s2
	global_store_dwordx2 v[3:4], v[5:6], off
	s_mov_b64 s[6:7], 0
	s_mov_b64 s[10:11], -1
.LBB175_661:
	s_mov_b64 s[12:13], 0
.LBB175_662:
	s_and_b64 vcc, exec, s[12:13]
	s_cbranch_vccz .LBB175_683
; %bb.663:
	s_cmp_lt_i32 s15, 27
	s_mov_b64 s[10:11], -1
	s_cbranch_scc1 .LBB175_669
; %bb.664:
	s_cmp_gt_i32 s15, 27
	s_cbranch_scc0 .LBB175_666
; %bb.665:
	v_mov_b32_e32 v1, s2
	s_mov_b64 s[10:11], 0
	global_store_dword v[3:4], v1, off
.LBB175_666:
	s_andn2_b64 vcc, exec, s[10:11]
	s_cbranch_vccnz .LBB175_668
; %bb.667:
	v_mov_b32_e32 v1, s2
	global_store_short v[3:4], v1, off
.LBB175_668:
	s_mov_b64 s[10:11], 0
.LBB175_669:
	s_andn2_b64 vcc, exec, s[10:11]
	s_cbranch_vccnz .LBB175_682
; %bb.670:
	s_flbit_i32_b32 s10, s3
	s_min_u32 s12, s10, 32
	s_lshl_b64 s[10:11], s[2:3], s12
	s_min_u32 s10, s10, 1
	s_or_b32 s10, s11, s10
	v_cvt_f32_u32_e32 v1, s10
	s_sub_i32 s10, 32, s12
	s_mov_b32 s11, 0x437fffff
	v_mov_b32_e32 v6, 0x80
	v_ldexp_f32 v1, v1, s10
	v_cmp_lt_u32_e32 vcc, s11, v1
	v_readfirstlane_b32 s10, v1
	s_cbranch_vccnz .LBB175_681
; %bb.671:
	s_cmp_gt_u32 s10, 0x3bffffff
	s_cbranch_scc0 .LBB175_676
; %bb.672:
	s_bfe_u32 s11, s10, 0x10014
	s_add_i32 s10, s10, s11
	s_add_i32 s10, s10, 0x487ffff
	s_lshr_b32 s16, s10, 20
	s_mov_b64 s[12:13], 0
	s_mov_b64 s[10:11], -1
	s_branch .LBB175_677
.LBB175_673:
	s_mov_b64 s[10:11], 0
	s_cbranch_execnz .LBB175_734
.LBB175_674:
	s_andn2_b64 vcc, exec, s[10:11]
	s_cbranch_vccz .LBB175_772
	s_branch .LBB175_943
.LBB175_675:
	s_or_b64 s[4:5], s[20:21], exec
	s_trap 2
	s_cbranch_execz .LBB175_605
	s_branch .LBB175_606
.LBB175_676:
	s_mov_b64 s[12:13], -1
	s_mov_b64 s[10:11], 0
                                        ; implicit-def: $sgpr16
.LBB175_677:
	s_andn2_b64 vcc, exec, s[12:13]
	v_mov_b32_e32 v5, s16
	s_cbranch_vccnz .LBB175_679
; %bb.678:
	v_add_f32_e32 v1, 0x46000000, v1
	v_and_b32_e32 v5, 0xff, v1
	v_cmp_ne_u32_e64 s[10:11], 0, v5
.LBB175_679:
	s_andn2_b64 vcc, exec, s[10:11]
	v_mov_b32_e32 v6, 0
	s_cbranch_vccnz .LBB175_681
; %bb.680:
	v_mov_b32_e32 v6, v5
.LBB175_681:
	global_store_byte v[3:4], v6, off
.LBB175_682:
	s_mov_b64 s[10:11], -1
.LBB175_683:
	s_mov_b64 s[12:13], 0
.LBB175_684:
	s_and_b64 vcc, exec, s[12:13]
	s_cbranch_vccz .LBB175_730
; %bb.685:
	s_cmp_gt_i32 s15, 22
	s_mov_b64 s[8:9], -1
	s_cbranch_scc0 .LBB175_723
; %bb.686:
	s_cmp_lt_i32 s15, 24
	s_cbranch_scc1 .LBB175_710
; %bb.687:
	s_cmp_gt_i32 s15, 24
	s_cbranch_scc0 .LBB175_697
; %bb.688:
	s_flbit_i32_b32 s8, s3
	s_min_u32 s10, s8, 32
	s_lshl_b64 s[8:9], s[2:3], s10
	s_min_u32 s8, s8, 1
	s_or_b32 s8, s9, s8
	v_cvt_f32_u32_e32 v1, s8
	s_sub_i32 s8, 32, s10
	s_mov_b32 s9, 0x477fffff
	v_mov_b32_e32 v6, 0x80
	v_ldexp_f32 v1, v1, s8
	v_cmp_lt_u32_e32 vcc, s9, v1
	v_readfirstlane_b32 s8, v1
	s_cbranch_vccnz .LBB175_696
; %bb.689:
	s_cmp_gt_u32 s8, 0x37ffffff
	s_cbranch_scc0 .LBB175_691
; %bb.690:
	s_bfe_u32 s9, s8, 0x10015
	s_add_i32 s8, s8, s9
	s_add_i32 s8, s8, 0x88fffff
	s_lshr_b32 s12, s8, 21
	s_mov_b64 s[10:11], 0
	s_mov_b64 s[8:9], -1
	s_branch .LBB175_692
.LBB175_691:
	s_mov_b64 s[10:11], -1
	s_mov_b64 s[8:9], 0
                                        ; implicit-def: $sgpr12
.LBB175_692:
	s_andn2_b64 vcc, exec, s[10:11]
	v_mov_b32_e32 v5, s12
	s_cbranch_vccnz .LBB175_694
; %bb.693:
	v_add_f32_e32 v1, 0x42800000, v1
	v_and_b32_e32 v5, 0xff, v1
	v_cmp_ne_u32_e64 s[8:9], 0, v5
.LBB175_694:
	s_andn2_b64 vcc, exec, s[8:9]
	v_mov_b32_e32 v6, 0
	s_cbranch_vccnz .LBB175_696
; %bb.695:
	v_mov_b32_e32 v6, v5
.LBB175_696:
	s_mov_b64 s[8:9], 0
	global_store_byte v[3:4], v6, off
.LBB175_697:
	s_and_b64 vcc, exec, s[8:9]
	s_cbranch_vccz .LBB175_709
; %bb.698:
	s_flbit_i32_b32 s8, s3
	s_min_u32 s10, s8, 32
	s_lshl_b64 s[8:9], s[2:3], s10
	s_min_u32 s8, s8, 1
	s_or_b32 s8, s9, s8
	v_cvt_f32_u32_e32 v1, s8
	s_sub_i32 s8, 32, s10
	v_ldexp_f32 v1, v1, s8
	s_mov_b32 s8, 0x43f00000
	v_cmp_gt_u32_e32 vcc, s8, v1
	v_readfirstlane_b32 s10, v1
	s_cbranch_vccz .LBB175_701
; %bb.699:
	s_cmp_gt_u32 s10, 0x3c7fffff
	s_cbranch_scc0 .LBB175_702
; %bb.700:
	s_bfe_u32 s8, s10, 0x10014
	s_add_i32 s8, s10, s8
	s_add_i32 s8, s8, 0x407ffff
	s_lshr_b32 s9, s8, 20
	s_and_b32 s8, s8, 0xff00000
	s_cmp_lg_u32 s8, 0x7f00000
	s_cselect_b32 s11, s9, 0x7e
	s_mov_b64 s[8:9], 0
	s_branch .LBB175_703
.LBB175_701:
	s_mov_b64 s[8:9], -1
                                        ; implicit-def: $vgpr5
	s_branch .LBB175_706
.LBB175_702:
	s_mov_b64 s[8:9], -1
                                        ; implicit-def: $sgpr11
.LBB175_703:
	s_andn2_b64 vcc, exec, s[8:9]
	v_mov_b32_e32 v5, s11
	s_cbranch_vccnz .LBB175_705
; %bb.704:
	v_add_f32_e32 v5, 0x46800000, v1
.LBB175_705:
	s_mov_b64 s[8:9], 0
.LBB175_706:
	s_andn2_b64 vcc, exec, s[8:9]
	s_cbranch_vccnz .LBB175_708
; %bb.707:
	s_cmp_gt_u32 s10, 0x7f800000
	s_movk_i32 s8, 0x7f
	s_cselect_b32 s8, s8, 0x7e
	v_mov_b32_e32 v5, s8
.LBB175_708:
	global_store_byte v[3:4], v5, off
.LBB175_709:
	s_mov_b64 s[8:9], 0
.LBB175_710:
	s_andn2_b64 vcc, exec, s[8:9]
	s_cbranch_vccnz .LBB175_722
; %bb.711:
	s_flbit_i32_b32 s8, s3
	s_min_u32 s10, s8, 32
	s_lshl_b64 s[8:9], s[2:3], s10
	s_min_u32 s8, s8, 1
	s_or_b32 s8, s9, s8
	v_cvt_f32_u32_e32 v1, s8
	s_sub_i32 s8, 32, s10
	v_ldexp_f32 v1, v1, s8
	s_mov_b32 s8, 0x47800000
	v_cmp_gt_u32_e32 vcc, s8, v1
	v_readfirstlane_b32 s10, v1
	s_cbranch_vccz .LBB175_714
; %bb.712:
	s_cmp_gt_u32 s10, 0x387fffff
	s_cbranch_scc0 .LBB175_715
; %bb.713:
	s_bfe_u32 s8, s10, 0x10015
	s_add_i32 s8, s10, s8
	s_add_i32 s8, s8, 0x80fffff
	s_lshr_b32 s11, s8, 21
	s_mov_b64 s[8:9], 0
	s_branch .LBB175_716
.LBB175_714:
	s_mov_b64 s[8:9], -1
                                        ; implicit-def: $vgpr5
	s_branch .LBB175_719
.LBB175_715:
	s_mov_b64 s[8:9], -1
                                        ; implicit-def: $sgpr11
.LBB175_716:
	s_andn2_b64 vcc, exec, s[8:9]
	v_mov_b32_e32 v5, s11
	s_cbranch_vccnz .LBB175_718
; %bb.717:
	v_add_f32_e32 v5, 0x43000000, v1
.LBB175_718:
	s_mov_b64 s[8:9], 0
.LBB175_719:
	s_andn2_b64 vcc, exec, s[8:9]
	s_cbranch_vccnz .LBB175_721
; %bb.720:
	s_cmp_gt_u32 s10, 0x7f800000
	s_movk_i32 s8, 0x7f
	s_cselect_b32 s8, s8, 0x7c
	v_mov_b32_e32 v5, s8
.LBB175_721:
	global_store_byte v[3:4], v5, off
.LBB175_722:
	s_mov_b64 s[8:9], 0
	s_mov_b64 s[10:11], -1
.LBB175_723:
	s_andn2_b64 vcc, exec, s[8:9]
	s_mov_b64 s[8:9], 0
	s_cbranch_vccnz .LBB175_730
; %bb.724:
	s_cmp_gt_i32 s15, 14
	s_mov_b64 s[12:13], -1
	s_cbranch_scc0 .LBB175_728
; %bb.725:
	s_cmp_eq_u32 s15, 15
	s_mov_b64 s[6:7], -1
	s_cbranch_scc0 .LBB175_727
; %bb.726:
	s_flbit_i32_b32 s6, s3
	s_min_u32 s8, s6, 32
	s_lshl_b64 s[6:7], s[2:3], s8
	s_min_u32 s6, s6, 1
	s_or_b32 s6, s7, s6
	v_cvt_f32_u32_e32 v1, s6
	s_sub_i32 s8, 32, s8
	s_mov_b64 s[6:7], 0
	s_mov_b64 s[10:11], -1
	v_ldexp_f32 v1, v1, s8
	v_bfe_u32 v5, v1, 16, 1
	v_add_u32_e32 v1, v1, v5
	v_add_u32_e32 v1, 0x7fff, v1
	global_store_short_d16_hi v[3:4], v1, off
.LBB175_727:
	s_mov_b64 s[12:13], 0
.LBB175_728:
	s_mov_b64 s[8:9], 0
	s_and_b64 vcc, exec, s[12:13]
	s_cbranch_vccz .LBB175_730
; %bb.729:
	s_cmp_lg_u32 s15, 11
	s_mov_b64 s[8:9], -1
	s_cselect_b64 s[6:7], -1, 0
.LBB175_730:
	s_and_b64 vcc, exec, s[6:7]
	s_cbranch_vccnz .LBB175_832
; %bb.731:
	s_andn2_b64 vcc, exec, s[8:9]
	s_cbranch_vccnz .LBB175_733
.LBB175_732:
	s_cmp_lg_u64 s[2:3], 0
	s_cselect_b64 s[6:7], -1, 0
	v_cndmask_b32_e64 v1, 0, 1, s[6:7]
	s_mov_b64 s[10:11], -1
	global_store_byte v[3:4], v1, off
.LBB175_733:
	s_branch .LBB175_674
.LBB175_734:
	s_cmp_lt_i32 s15, 5
	s_mov_b64 s[6:7], -1
	s_cbranch_scc1 .LBB175_755
; %bb.735:
	s_cmp_lt_i32 s15, 8
	s_cbranch_scc1 .LBB175_745
; %bb.736:
	s_cmp_lt_i32 s15, 9
	s_cbranch_scc1 .LBB175_742
; %bb.737:
	s_cmp_gt_i32 s15, 9
	s_cbranch_scc0 .LBB175_739
; %bb.738:
	v_cvt_f64_u32_e32 v[5:6], s3
	v_cvt_f64_u32_e32 v[7:8], s2
	s_mov_b64 s[6:7], 0
	v_ldexp_f64 v[5:6], v[5:6], 32
	v_add_f64 v[5:6], v[5:6], v[7:8]
	v_mov_b32_e32 v7, 0
	v_mov_b32_e32 v8, v7
	global_store_dwordx4 v[3:4], v[5:8], off
.LBB175_739:
	s_andn2_b64 vcc, exec, s[6:7]
	s_cbranch_vccnz .LBB175_741
; %bb.740:
	s_flbit_i32_b32 s6, s3
	s_min_u32 s8, s6, 32
	s_lshl_b64 s[6:7], s[2:3], s8
	s_min_u32 s6, s6, 1
	s_or_b32 s6, s7, s6
	v_cvt_f32_u32_e32 v1, s6
	s_sub_i32 s6, 32, s8
	v_mov_b32_e32 v6, 0
	v_ldexp_f32 v5, v1, s6
	global_store_dwordx2 v[3:4], v[5:6], off
.LBB175_741:
	s_mov_b64 s[6:7], 0
.LBB175_742:
	s_andn2_b64 vcc, exec, s[6:7]
	s_cbranch_vccnz .LBB175_744
; %bb.743:
	s_flbit_i32_b32 s6, s3
	s_min_u32 s8, s6, 32
	s_lshl_b64 s[6:7], s[2:3], s8
	s_min_u32 s6, s6, 1
	s_or_b32 s6, s7, s6
	v_cvt_f32_u32_e32 v1, s6
	s_sub_i32 s6, 32, s8
	v_ldexp_f32 v1, v1, s6
	v_cvt_f16_f32_e32 v1, v1
	global_store_dword v[3:4], v1, off
.LBB175_744:
	s_mov_b64 s[6:7], 0
.LBB175_745:
	s_andn2_b64 vcc, exec, s[6:7]
	s_cbranch_vccnz .LBB175_754
; %bb.746:
	s_cmp_lt_i32 s15, 6
	s_mov_b64 s[6:7], -1
	s_cbranch_scc1 .LBB175_752
; %bb.747:
	s_cmp_gt_i32 s15, 6
	s_cbranch_scc0 .LBB175_749
; %bb.748:
	v_cvt_f64_u32_e32 v[5:6], s3
	v_cvt_f64_u32_e32 v[7:8], s2
	s_mov_b64 s[6:7], 0
	v_ldexp_f64 v[5:6], v[5:6], 32
	v_add_f64 v[5:6], v[5:6], v[7:8]
	global_store_dwordx2 v[3:4], v[5:6], off
.LBB175_749:
	s_andn2_b64 vcc, exec, s[6:7]
	s_cbranch_vccnz .LBB175_751
; %bb.750:
	s_flbit_i32_b32 s6, s3
	s_min_u32 s8, s6, 32
	s_lshl_b64 s[6:7], s[2:3], s8
	s_min_u32 s6, s6, 1
	s_or_b32 s6, s7, s6
	v_cvt_f32_u32_e32 v1, s6
	s_sub_i32 s6, 32, s8
	v_ldexp_f32 v1, v1, s6
	global_store_dword v[3:4], v1, off
.LBB175_751:
	s_mov_b64 s[6:7], 0
.LBB175_752:
	s_andn2_b64 vcc, exec, s[6:7]
	s_cbranch_vccnz .LBB175_754
; %bb.753:
	s_flbit_i32_b32 s6, s3
	s_min_u32 s8, s6, 32
	s_lshl_b64 s[6:7], s[2:3], s8
	s_min_u32 s6, s6, 1
	s_or_b32 s6, s7, s6
	v_cvt_f32_u32_e32 v1, s6
	s_sub_i32 s6, 32, s8
	v_ldexp_f32 v1, v1, s6
	v_cvt_f16_f32_e32 v1, v1
	global_store_short v[3:4], v1, off
.LBB175_754:
	s_mov_b64 s[6:7], 0
.LBB175_755:
	s_andn2_b64 vcc, exec, s[6:7]
	s_cbranch_vccnz .LBB175_771
; %bb.756:
	s_cmp_lt_i32 s15, 2
	s_mov_b64 s[6:7], -1
	s_cbranch_scc1 .LBB175_766
; %bb.757:
	s_cmp_lt_i32 s15, 3
	s_cbranch_scc1 .LBB175_763
; %bb.758:
	s_cmp_gt_i32 s15, 3
	s_cbranch_scc0 .LBB175_760
; %bb.759:
	v_mov_b32_e32 v6, s3
	v_mov_b32_e32 v5, s2
	global_store_dwordx2 v[3:4], v[5:6], off
	s_mov_b64 s[6:7], 0
.LBB175_760:
	s_andn2_b64 vcc, exec, s[6:7]
	s_cbranch_vccnz .LBB175_762
; %bb.761:
	v_mov_b32_e32 v1, s2
	global_store_dword v[3:4], v1, off
.LBB175_762:
	s_mov_b64 s[6:7], 0
.LBB175_763:
	s_andn2_b64 vcc, exec, s[6:7]
	s_cbranch_vccnz .LBB175_765
; %bb.764:
	v_mov_b32_e32 v1, s2
	global_store_short v[3:4], v1, off
.LBB175_765:
	s_mov_b64 s[6:7], 0
.LBB175_766:
	s_andn2_b64 vcc, exec, s[6:7]
	s_cbranch_vccnz .LBB175_771
; %bb.767:
	s_cmp_gt_i32 s15, 0
	s_mov_b64 s[6:7], -1
	s_cbranch_scc0 .LBB175_769
; %bb.768:
	v_mov_b32_e32 v1, s2
	global_store_byte v[3:4], v1, off
	s_mov_b64 s[6:7], 0
.LBB175_769:
	s_andn2_b64 vcc, exec, s[6:7]
	s_cbranch_vccnz .LBB175_771
; %bb.770:
	v_mov_b32_e32 v1, s2
	global_store_byte v[3:4], v1, off
.LBB175_771:
.LBB175_772:
	v_mov_b32_e32 v3, s1
	v_add_co_u32_e32 v1, vcc, s0, v2
	s_cmp_lt_i32 s15, 11
	v_addc_co_u32_e32 v2, vcc, 0, v3, vcc
	s_cbranch_scc1 .LBB175_800
; %bb.773:
	s_mov_b64 s[12:13], -1
	s_mov_b64 s[8:9], 0
	s_cmp_gt_i32 s15, 25
	s_mov_b64 s[10:11], 0
	s_mov_b64 s[6:7], 0
	s_cbranch_scc0 .LBB175_841
; %bb.774:
	s_cmp_gt_i32 s15, 28
	s_cbranch_scc0 .LBB175_789
; %bb.775:
	s_cmp_gt_i32 s15, 43
	;; [unrolled: 3-line block ×3, first 2 shown]
	s_cbranch_scc0 .LBB175_779
; %bb.777:
	s_mov_b64 s[6:7], -1
	s_mov_b64 s[12:13], 0
	s_cmp_eq_u32 s15, 46
	s_cbranch_scc0 .LBB175_779
; %bb.778:
	s_flbit_i32_b32 s6, s3
	s_min_u32 s10, s6, 32
	s_lshl_b64 s[6:7], s[2:3], s10
	s_min_u32 s6, s6, 1
	s_or_b32 s6, s7, s6
	v_cvt_f32_u32_e32 v3, s6
	s_sub_i32 s10, 32, s10
	s_mov_b64 s[6:7], 0
	v_ldexp_f32 v3, v3, s10
	v_bfe_u32 v4, v3, 16, 1
	v_add_u32_e32 v3, v3, v4
	v_add_u32_e32 v3, 0x7fff, v3
	v_lshrrev_b32_e32 v3, 16, v3
	global_store_dword v[1:2], v3, off
	s_mov_b64 s[10:11], -1
.LBB175_779:
	s_and_b64 vcc, exec, s[12:13]
	s_cbranch_vccz .LBB175_784
; %bb.780:
	s_cmp_eq_u32 s15, 44
	s_mov_b64 s[6:7], -1
	s_cbranch_scc0 .LBB175_784
; %bb.781:
	s_flbit_i32_b32 s6, s3
	s_min_u32 s10, s6, 32
	s_lshl_b64 s[6:7], s[2:3], s10
	s_min_u32 s6, s6, 1
	s_or_b32 s6, s7, s6
	v_cvt_f32_u32_e32 v3, s6
	s_sub_i32 s6, 32, s10
	v_ldexp_f32 v3, v3, s6
	v_readfirstlane_b32 s7, v3
	s_lshr_b32 s6, s7, 23
	s_cmpk_eq_i32 s6, 0xff
	v_mov_b32_e32 v3, 0xff
	s_cbranch_scc1 .LBB175_783
; %bb.782:
	s_bitcmp1_b32 s7, 22
	s_cselect_b64 s[10:11], -1, 0
	s_and_b32 s7, s7, 0x3fffff
	s_or_b32 s7, s6, s7
	s_cmp_lg_u32 s7, 0
	s_cselect_b64 s[12:13], -1, 0
	s_and_b64 s[10:11], s[10:11], s[12:13]
	v_cndmask_b32_e64 v3, 0, 1, s[10:11]
	v_add_u32_e32 v3, s6, v3
.LBB175_783:
	s_mov_b64 s[6:7], 0
	s_mov_b64 s[10:11], -1
	global_store_byte v[1:2], v3, off
.LBB175_784:
	s_mov_b64 s[12:13], 0
.LBB175_785:
	s_and_b64 vcc, exec, s[12:13]
	s_cbranch_vccz .LBB175_788
; %bb.786:
	s_cmp_eq_u32 s15, 29
	s_mov_b64 s[6:7], -1
	s_cbranch_scc0 .LBB175_788
; %bb.787:
	v_mov_b32_e32 v4, s3
	v_mov_b32_e32 v3, s2
	global_store_dwordx2 v[1:2], v[3:4], off
	s_mov_b64 s[6:7], 0
	s_mov_b64 s[10:11], -1
.LBB175_788:
	s_mov_b64 s[12:13], 0
.LBB175_789:
	s_and_b64 vcc, exec, s[12:13]
	s_cbranch_vccz .LBB175_840
; %bb.790:
	s_cmp_lt_i32 s15, 27
	s_mov_b64 s[10:11], -1
	s_cbranch_scc1 .LBB175_796
; %bb.791:
	s_cmp_gt_i32 s15, 27
	s_cbranch_scc0 .LBB175_793
; %bb.792:
	v_mov_b32_e32 v3, s2
	s_mov_b64 s[10:11], 0
	global_store_dword v[1:2], v3, off
.LBB175_793:
	s_andn2_b64 vcc, exec, s[10:11]
	s_cbranch_vccnz .LBB175_795
; %bb.794:
	v_mov_b32_e32 v3, s2
	global_store_short v[1:2], v3, off
.LBB175_795:
	s_mov_b64 s[10:11], 0
.LBB175_796:
	s_andn2_b64 vcc, exec, s[10:11]
	s_cbranch_vccnz .LBB175_839
; %bb.797:
	s_flbit_i32_b32 s10, s3
	s_min_u32 s12, s10, 32
	s_lshl_b64 s[10:11], s[2:3], s12
	s_min_u32 s10, s10, 1
	s_or_b32 s10, s11, s10
	v_cvt_f32_u32_e32 v3, s10
	s_sub_i32 s10, 32, s12
	s_mov_b32 s11, 0x437fffff
	v_mov_b32_e32 v5, 0x80
	v_ldexp_f32 v3, v3, s10
	v_cmp_lt_u32_e32 vcc, s11, v3
	v_readfirstlane_b32 s10, v3
	s_cbranch_vccnz .LBB175_838
; %bb.798:
	s_cmp_gt_u32 s10, 0x3bffffff
	s_cbranch_scc0 .LBB175_833
; %bb.799:
	s_bfe_u32 s11, s10, 0x10014
	s_add_i32 s10, s10, s11
	s_add_i32 s10, s10, 0x487ffff
	s_lshr_b32 s16, s10, 20
	s_mov_b64 s[12:13], 0
	s_mov_b64 s[10:11], -1
	s_branch .LBB175_834
.LBB175_800:
	s_mov_b64 s[10:11], 0
	s_cbranch_execnz .LBB175_905
.LBB175_801:
	s_andn2_b64 vcc, exec, s[10:11]
	s_cbranch_vccnz .LBB175_943
.LBB175_802:
	v_mov_b32_e32 v1, s1
	v_add_co_u32_e32 v0, vcc, s0, v0
	s_cmp_lt_i32 s15, 11
	v_addc_co_u32_e32 v1, vcc, 0, v1, vcc
	s_cbranch_scc1 .LBB175_831
; %bb.803:
	s_mov_b64 s[8:9], -1
	s_mov_b64 s[6:7], 0
	s_cmp_gt_i32 s15, 25
	s_mov_b64 s[0:1], 0
	s_cbranch_scc0 .LBB175_855
; %bb.804:
	s_cmp_gt_i32 s15, 28
	s_cbranch_scc0 .LBB175_820
; %bb.805:
	s_cmp_gt_i32 s15, 43
	;; [unrolled: 3-line block ×3, first 2 shown]
	s_cbranch_scc0 .LBB175_810
; %bb.807:
	s_cmp_eq_u32 s15, 46
	s_mov_b64 s[0:1], -1
	s_cbranch_scc0 .LBB175_809
; %bb.808:
	s_flbit_i32_b32 s0, s3
	s_min_u32 s8, s0, 32
	s_lshl_b64 s[0:1], s[2:3], s8
	s_min_u32 s0, s0, 1
	s_or_b32 s0, s1, s0
	v_cvt_f32_u32_e32 v2, s0
	s_sub_i32 s0, 32, s8
	v_ldexp_f32 v2, v2, s0
	v_bfe_u32 v3, v2, 16, 1
	v_add_u32_e32 v2, v2, v3
	v_add_u32_e32 v2, 0x7fff, v2
	v_lshrrev_b32_e32 v2, 16, v2
	global_store_dword v[0:1], v2, off
	s_mov_b64 s[0:1], 0
.LBB175_809:
	s_mov_b64 s[8:9], 0
.LBB175_810:
	s_and_b64 vcc, exec, s[8:9]
	s_cbranch_vccz .LBB175_815
; %bb.811:
	s_cmp_eq_u32 s15, 44
	s_mov_b64 s[0:1], -1
	s_cbranch_scc0 .LBB175_815
; %bb.812:
	s_flbit_i32_b32 s0, s3
	s_min_u32 s8, s0, 32
	s_lshl_b64 s[0:1], s[2:3], s8
	s_min_u32 s0, s0, 1
	s_or_b32 s0, s1, s0
	v_cvt_f32_u32_e32 v2, s0
	s_sub_i32 s0, 32, s8
	v_ldexp_f32 v2, v2, s0
	v_readfirstlane_b32 s1, v2
	s_lshr_b32 s0, s1, 23
	s_cmpk_eq_i32 s0, 0xff
	v_mov_b32_e32 v2, 0xff
	s_cbranch_scc1 .LBB175_814
; %bb.813:
	s_bitcmp1_b32 s1, 22
	s_cselect_b64 s[8:9], -1, 0
	s_and_b32 s1, s1, 0x3fffff
	s_or_b32 s1, s0, s1
	s_cmp_lg_u32 s1, 0
	s_cselect_b64 s[10:11], -1, 0
	s_and_b64 s[8:9], s[8:9], s[10:11]
	v_cndmask_b32_e64 v2, 0, 1, s[8:9]
	v_add_u32_e32 v2, s0, v2
.LBB175_814:
	s_mov_b64 s[0:1], 0
	global_store_byte v[0:1], v2, off
.LBB175_815:
	s_mov_b64 s[8:9], 0
.LBB175_816:
	s_and_b64 vcc, exec, s[8:9]
	s_cbranch_vccz .LBB175_819
; %bb.817:
	s_cmp_eq_u32 s15, 29
	s_mov_b64 s[0:1], -1
	s_cbranch_scc0 .LBB175_819
; %bb.818:
	v_mov_b32_e32 v2, s2
	v_mov_b32_e32 v3, s3
	global_store_dwordx2 v[0:1], v[2:3], off
	s_mov_b64 s[0:1], 0
.LBB175_819:
	s_mov_b64 s[8:9], 0
.LBB175_820:
	s_and_b64 vcc, exec, s[8:9]
	s_cbranch_vccz .LBB175_854
; %bb.821:
	s_cmp_lt_i32 s15, 27
	s_mov_b64 s[8:9], -1
	s_cbranch_scc1 .LBB175_827
; %bb.822:
	s_cmp_gt_i32 s15, 27
	s_cbranch_scc0 .LBB175_824
; %bb.823:
	v_mov_b32_e32 v2, s2
	global_store_dword v[0:1], v2, off
	s_mov_b64 s[8:9], 0
.LBB175_824:
	s_andn2_b64 vcc, exec, s[8:9]
	s_cbranch_vccnz .LBB175_826
; %bb.825:
	v_mov_b32_e32 v2, s2
	global_store_short v[0:1], v2, off
.LBB175_826:
	s_mov_b64 s[8:9], 0
.LBB175_827:
	s_andn2_b64 vcc, exec, s[8:9]
	s_cbranch_vccnz .LBB175_854
; %bb.828:
	s_flbit_i32_b32 s8, s3
	s_min_u32 s10, s8, 32
	s_lshl_b64 s[8:9], s[2:3], s10
	s_min_u32 s8, s8, 1
	s_or_b32 s8, s9, s8
	v_cvt_f32_u32_e32 v2, s8
	s_sub_i32 s8, 32, s10
	s_mov_b32 s9, 0x437fffff
	v_mov_b32_e32 v4, 0x80
	v_ldexp_f32 v2, v2, s8
	v_cmp_lt_u32_e32 vcc, s9, v2
	v_readfirstlane_b32 s8, v2
	s_cbranch_vccnz .LBB175_853
; %bb.829:
	s_cmp_gt_u32 s8, 0x3bffffff
	s_cbranch_scc0 .LBB175_848
; %bb.830:
	s_bfe_u32 s9, s8, 0x10014
	s_add_i32 s8, s8, s9
	s_add_i32 s8, s8, 0x487ffff
	s_lshr_b32 s12, s8, 20
	s_mov_b64 s[10:11], 0
	s_mov_b64 s[8:9], -1
	s_branch .LBB175_849
.LBB175_831:
	s_mov_b64 s[6:7], 0
	s_mov_b64 s[0:1], -1
	s_branch .LBB175_944
.LBB175_832:
	s_trap 2
	s_or_b64 s[4:5], s[4:5], exec
	s_cbranch_execz .LBB175_732
	s_branch .LBB175_733
.LBB175_833:
	s_mov_b64 s[12:13], -1
	s_mov_b64 s[10:11], 0
                                        ; implicit-def: $sgpr16
.LBB175_834:
	s_andn2_b64 vcc, exec, s[12:13]
	v_mov_b32_e32 v4, s16
	s_cbranch_vccnz .LBB175_836
; %bb.835:
	v_add_f32_e32 v3, 0x46000000, v3
	v_and_b32_e32 v4, 0xff, v3
	v_cmp_ne_u32_e64 s[10:11], 0, v4
.LBB175_836:
	s_andn2_b64 vcc, exec, s[10:11]
	v_mov_b32_e32 v5, 0
	s_cbranch_vccnz .LBB175_838
; %bb.837:
	v_mov_b32_e32 v5, v4
.LBB175_838:
	global_store_byte v[1:2], v5, off
.LBB175_839:
	s_mov_b64 s[10:11], -1
.LBB175_840:
	s_mov_b64 s[12:13], 0
.LBB175_841:
	s_and_b64 vcc, exec, s[12:13]
	s_cbranch_vccz .LBB175_901
; %bb.842:
	s_cmp_gt_i32 s15, 22
	s_mov_b64 s[8:9], -1
	s_cbranch_scc0 .LBB175_894
; %bb.843:
	s_cmp_lt_i32 s15, 24
	s_cbranch_scc1 .LBB175_881
; %bb.844:
	s_cmp_gt_i32 s15, 24
	s_cbranch_scc0 .LBB175_868
; %bb.845:
	s_flbit_i32_b32 s8, s3
	s_min_u32 s10, s8, 32
	s_lshl_b64 s[8:9], s[2:3], s10
	s_min_u32 s8, s8, 1
	s_or_b32 s8, s9, s8
	v_cvt_f32_u32_e32 v3, s8
	s_sub_i32 s8, 32, s10
	s_mov_b32 s9, 0x477fffff
	v_mov_b32_e32 v5, 0x80
	v_ldexp_f32 v3, v3, s8
	v_cmp_lt_u32_e32 vcc, s9, v3
	v_readfirstlane_b32 s8, v3
	s_cbranch_vccnz .LBB175_867
; %bb.846:
	s_cmp_gt_u32 s8, 0x37ffffff
	s_cbranch_scc0 .LBB175_862
; %bb.847:
	s_bfe_u32 s9, s8, 0x10015
	s_add_i32 s8, s8, s9
	s_add_i32 s8, s8, 0x88fffff
	s_lshr_b32 s12, s8, 21
	s_mov_b64 s[10:11], 0
	s_mov_b64 s[8:9], -1
	s_branch .LBB175_863
.LBB175_848:
	s_mov_b64 s[10:11], -1
	s_mov_b64 s[8:9], 0
                                        ; implicit-def: $sgpr12
.LBB175_849:
	s_andn2_b64 vcc, exec, s[10:11]
	v_mov_b32_e32 v3, s12
	s_cbranch_vccnz .LBB175_851
; %bb.850:
	v_add_f32_e32 v2, 0x46000000, v2
	v_and_b32_e32 v3, 0xff, v2
	v_cmp_ne_u32_e64 s[8:9], 0, v3
.LBB175_851:
	s_andn2_b64 vcc, exec, s[8:9]
	v_mov_b32_e32 v4, 0
	s_cbranch_vccnz .LBB175_853
; %bb.852:
	v_mov_b32_e32 v4, v3
.LBB175_853:
	global_store_byte v[0:1], v4, off
.LBB175_854:
	s_mov_b64 s[8:9], 0
.LBB175_855:
	s_and_b64 vcc, exec, s[8:9]
	s_cbranch_vccz .LBB175_1028
; %bb.856:
	s_cmp_gt_i32 s15, 22
	s_mov_b64 s[6:7], -1
	s_cbranch_scc0 .LBB175_1021
; %bb.857:
	s_cmp_lt_i32 s15, 24
	s_cbranch_scc1 .LBB175_1008
; %bb.858:
	s_cmp_gt_i32 s15, 24
	s_cbranch_scc0 .LBB175_995
; %bb.859:
	s_flbit_i32_b32 s6, s3
	s_min_u32 s8, s6, 32
	s_lshl_b64 s[6:7], s[2:3], s8
	s_min_u32 s6, s6, 1
	s_or_b32 s6, s7, s6
	v_cvt_f32_u32_e32 v2, s6
	s_sub_i32 s6, 32, s8
	s_mov_b32 s7, 0x477fffff
	v_mov_b32_e32 v4, 0x80
	v_ldexp_f32 v2, v2, s6
	v_cmp_lt_u32_e32 vcc, s7, v2
	v_readfirstlane_b32 s6, v2
	s_cbranch_vccnz .LBB175_994
; %bb.860:
	s_cmp_gt_u32 s6, 0x37ffffff
	s_cbranch_scc0 .LBB175_989
; %bb.861:
	s_bfe_u32 s7, s6, 0x10015
	s_add_i32 s6, s6, s7
	s_add_i32 s6, s6, 0x88fffff
	s_lshr_b32 s10, s6, 21
	s_mov_b64 s[8:9], 0
	s_mov_b64 s[6:7], -1
	s_branch .LBB175_990
.LBB175_862:
	s_mov_b64 s[10:11], -1
	s_mov_b64 s[8:9], 0
                                        ; implicit-def: $sgpr12
.LBB175_863:
	s_andn2_b64 vcc, exec, s[10:11]
	v_mov_b32_e32 v4, s12
	s_cbranch_vccnz .LBB175_865
; %bb.864:
	v_add_f32_e32 v3, 0x42800000, v3
	v_and_b32_e32 v4, 0xff, v3
	v_cmp_ne_u32_e64 s[8:9], 0, v4
.LBB175_865:
	s_andn2_b64 vcc, exec, s[8:9]
	v_mov_b32_e32 v5, 0
	s_cbranch_vccnz .LBB175_867
; %bb.866:
	v_mov_b32_e32 v5, v4
.LBB175_867:
	s_mov_b64 s[8:9], 0
	global_store_byte v[1:2], v5, off
.LBB175_868:
	s_and_b64 vcc, exec, s[8:9]
	s_cbranch_vccz .LBB175_880
; %bb.869:
	s_flbit_i32_b32 s8, s3
	s_min_u32 s10, s8, 32
	s_lshl_b64 s[8:9], s[2:3], s10
	s_min_u32 s8, s8, 1
	s_or_b32 s8, s9, s8
	v_cvt_f32_u32_e32 v3, s8
	s_sub_i32 s8, 32, s10
	v_ldexp_f32 v3, v3, s8
	s_mov_b32 s8, 0x43f00000
	v_cmp_gt_u32_e32 vcc, s8, v3
	v_readfirstlane_b32 s10, v3
	s_cbranch_vccz .LBB175_872
; %bb.870:
	s_cmp_gt_u32 s10, 0x3c7fffff
	s_cbranch_scc0 .LBB175_873
; %bb.871:
	s_bfe_u32 s8, s10, 0x10014
	s_add_i32 s8, s10, s8
	s_add_i32 s8, s8, 0x407ffff
	s_lshr_b32 s9, s8, 20
	s_and_b32 s8, s8, 0xff00000
	s_cmp_lg_u32 s8, 0x7f00000
	s_cselect_b32 s11, s9, 0x7e
	s_mov_b64 s[8:9], 0
	s_branch .LBB175_874
.LBB175_872:
	s_mov_b64 s[8:9], -1
                                        ; implicit-def: $vgpr4
	s_branch .LBB175_877
.LBB175_873:
	s_mov_b64 s[8:9], -1
                                        ; implicit-def: $sgpr11
.LBB175_874:
	s_andn2_b64 vcc, exec, s[8:9]
	v_mov_b32_e32 v4, s11
	s_cbranch_vccnz .LBB175_876
; %bb.875:
	v_add_f32_e32 v4, 0x46800000, v3
.LBB175_876:
	s_mov_b64 s[8:9], 0
.LBB175_877:
	s_andn2_b64 vcc, exec, s[8:9]
	s_cbranch_vccnz .LBB175_879
; %bb.878:
	s_cmp_gt_u32 s10, 0x7f800000
	s_movk_i32 s8, 0x7f
	s_cselect_b32 s8, s8, 0x7e
	v_mov_b32_e32 v4, s8
.LBB175_879:
	global_store_byte v[1:2], v4, off
.LBB175_880:
	s_mov_b64 s[8:9], 0
.LBB175_881:
	s_andn2_b64 vcc, exec, s[8:9]
	s_cbranch_vccnz .LBB175_893
; %bb.882:
	s_flbit_i32_b32 s8, s3
	s_min_u32 s10, s8, 32
	s_lshl_b64 s[8:9], s[2:3], s10
	s_min_u32 s8, s8, 1
	s_or_b32 s8, s9, s8
	v_cvt_f32_u32_e32 v3, s8
	s_sub_i32 s8, 32, s10
	v_ldexp_f32 v3, v3, s8
	s_mov_b32 s8, 0x47800000
	v_cmp_gt_u32_e32 vcc, s8, v3
	v_readfirstlane_b32 s10, v3
	s_cbranch_vccz .LBB175_885
; %bb.883:
	s_cmp_gt_u32 s10, 0x387fffff
	s_cbranch_scc0 .LBB175_886
; %bb.884:
	s_bfe_u32 s8, s10, 0x10015
	s_add_i32 s8, s10, s8
	s_add_i32 s8, s8, 0x80fffff
	s_lshr_b32 s11, s8, 21
	s_mov_b64 s[8:9], 0
	s_branch .LBB175_887
.LBB175_885:
	s_mov_b64 s[8:9], -1
                                        ; implicit-def: $vgpr4
	s_branch .LBB175_890
.LBB175_886:
	s_mov_b64 s[8:9], -1
                                        ; implicit-def: $sgpr11
.LBB175_887:
	s_andn2_b64 vcc, exec, s[8:9]
	v_mov_b32_e32 v4, s11
	s_cbranch_vccnz .LBB175_889
; %bb.888:
	v_add_f32_e32 v4, 0x43000000, v3
.LBB175_889:
	s_mov_b64 s[8:9], 0
.LBB175_890:
	s_andn2_b64 vcc, exec, s[8:9]
	s_cbranch_vccnz .LBB175_892
; %bb.891:
	s_cmp_gt_u32 s10, 0x7f800000
	s_movk_i32 s8, 0x7f
	s_cselect_b32 s8, s8, 0x7c
	v_mov_b32_e32 v4, s8
.LBB175_892:
	global_store_byte v[1:2], v4, off
.LBB175_893:
	s_mov_b64 s[8:9], 0
	s_mov_b64 s[10:11], -1
.LBB175_894:
	s_andn2_b64 vcc, exec, s[8:9]
	s_mov_b64 s[8:9], 0
	s_cbranch_vccnz .LBB175_901
; %bb.895:
	s_cmp_gt_i32 s15, 14
	s_mov_b64 s[12:13], -1
	s_cbranch_scc0 .LBB175_899
; %bb.896:
	s_cmp_eq_u32 s15, 15
	s_mov_b64 s[6:7], -1
	s_cbranch_scc0 .LBB175_898
; %bb.897:
	s_flbit_i32_b32 s6, s3
	s_min_u32 s8, s6, 32
	s_lshl_b64 s[6:7], s[2:3], s8
	s_min_u32 s6, s6, 1
	s_or_b32 s6, s7, s6
	v_cvt_f32_u32_e32 v3, s6
	s_sub_i32 s8, 32, s8
	s_mov_b64 s[6:7], 0
	s_mov_b64 s[10:11], -1
	v_ldexp_f32 v3, v3, s8
	v_bfe_u32 v4, v3, 16, 1
	v_add_u32_e32 v3, v3, v4
	v_add_u32_e32 v3, 0x7fff, v3
	global_store_short_d16_hi v[1:2], v3, off
.LBB175_898:
	s_mov_b64 s[12:13], 0
.LBB175_899:
	s_mov_b64 s[8:9], 0
	s_and_b64 vcc, exec, s[12:13]
	s_cbranch_vccz .LBB175_901
; %bb.900:
	s_cmp_lg_u32 s15, 11
	s_mov_b64 s[8:9], -1
	s_cselect_b64 s[6:7], -1, 0
.LBB175_901:
	s_and_b64 vcc, exec, s[6:7]
	s_cbranch_vccnz .LBB175_988
; %bb.902:
	s_andn2_b64 vcc, exec, s[8:9]
	s_cbranch_vccnz .LBB175_904
.LBB175_903:
	s_cmp_lg_u64 s[2:3], 0
	s_cselect_b64 s[6:7], -1, 0
	v_cndmask_b32_e64 v3, 0, 1, s[6:7]
	s_mov_b64 s[10:11], -1
	global_store_byte v[1:2], v3, off
.LBB175_904:
	s_branch .LBB175_801
.LBB175_905:
	s_cmp_lt_i32 s15, 5
	s_mov_b64 s[6:7], -1
	s_cbranch_scc1 .LBB175_926
; %bb.906:
	s_cmp_lt_i32 s15, 8
	s_cbranch_scc1 .LBB175_916
; %bb.907:
	s_cmp_lt_i32 s15, 9
	s_cbranch_scc1 .LBB175_913
; %bb.908:
	s_cmp_gt_i32 s15, 9
	s_cbranch_scc0 .LBB175_910
; %bb.909:
	v_cvt_f64_u32_e32 v[3:4], s3
	v_cvt_f64_u32_e32 v[5:6], s2
	s_mov_b64 s[6:7], 0
	v_ldexp_f64 v[3:4], v[3:4], 32
	v_add_f64 v[3:4], v[3:4], v[5:6]
	v_mov_b32_e32 v5, 0
	v_mov_b32_e32 v6, v5
	global_store_dwordx4 v[1:2], v[3:6], off
.LBB175_910:
	s_andn2_b64 vcc, exec, s[6:7]
	s_cbranch_vccnz .LBB175_912
; %bb.911:
	s_flbit_i32_b32 s6, s3
	s_min_u32 s8, s6, 32
	s_lshl_b64 s[6:7], s[2:3], s8
	s_min_u32 s6, s6, 1
	s_or_b32 s6, s7, s6
	v_cvt_f32_u32_e32 v3, s6
	s_sub_i32 s6, 32, s8
	v_mov_b32_e32 v4, 0
	v_ldexp_f32 v3, v3, s6
	global_store_dwordx2 v[1:2], v[3:4], off
.LBB175_912:
	s_mov_b64 s[6:7], 0
.LBB175_913:
	s_andn2_b64 vcc, exec, s[6:7]
	s_cbranch_vccnz .LBB175_915
; %bb.914:
	s_flbit_i32_b32 s6, s3
	s_min_u32 s8, s6, 32
	s_lshl_b64 s[6:7], s[2:3], s8
	s_min_u32 s6, s6, 1
	s_or_b32 s6, s7, s6
	v_cvt_f32_u32_e32 v3, s6
	s_sub_i32 s6, 32, s8
	v_ldexp_f32 v3, v3, s6
	v_cvt_f16_f32_e32 v3, v3
	global_store_dword v[1:2], v3, off
.LBB175_915:
	s_mov_b64 s[6:7], 0
.LBB175_916:
	s_andn2_b64 vcc, exec, s[6:7]
	s_cbranch_vccnz .LBB175_925
; %bb.917:
	s_cmp_lt_i32 s15, 6
	s_mov_b64 s[6:7], -1
	s_cbranch_scc1 .LBB175_923
; %bb.918:
	s_cmp_gt_i32 s15, 6
	s_cbranch_scc0 .LBB175_920
; %bb.919:
	v_cvt_f64_u32_e32 v[3:4], s3
	v_cvt_f64_u32_e32 v[5:6], s2
	s_mov_b64 s[6:7], 0
	v_ldexp_f64 v[3:4], v[3:4], 32
	v_add_f64 v[3:4], v[3:4], v[5:6]
	global_store_dwordx2 v[1:2], v[3:4], off
.LBB175_920:
	s_andn2_b64 vcc, exec, s[6:7]
	s_cbranch_vccnz .LBB175_922
; %bb.921:
	s_flbit_i32_b32 s6, s3
	s_min_u32 s8, s6, 32
	s_lshl_b64 s[6:7], s[2:3], s8
	s_min_u32 s6, s6, 1
	s_or_b32 s6, s7, s6
	v_cvt_f32_u32_e32 v3, s6
	s_sub_i32 s6, 32, s8
	v_ldexp_f32 v3, v3, s6
	global_store_dword v[1:2], v3, off
.LBB175_922:
	s_mov_b64 s[6:7], 0
.LBB175_923:
	s_andn2_b64 vcc, exec, s[6:7]
	s_cbranch_vccnz .LBB175_925
; %bb.924:
	s_flbit_i32_b32 s6, s3
	s_min_u32 s8, s6, 32
	s_lshl_b64 s[6:7], s[2:3], s8
	s_min_u32 s6, s6, 1
	s_or_b32 s6, s7, s6
	v_cvt_f32_u32_e32 v3, s6
	s_sub_i32 s6, 32, s8
	v_ldexp_f32 v3, v3, s6
	v_cvt_f16_f32_e32 v3, v3
	global_store_short v[1:2], v3, off
.LBB175_925:
	s_mov_b64 s[6:7], 0
.LBB175_926:
	s_andn2_b64 vcc, exec, s[6:7]
	s_cbranch_vccnz .LBB175_942
; %bb.927:
	s_cmp_lt_i32 s15, 2
	s_mov_b64 s[6:7], -1
	s_cbranch_scc1 .LBB175_937
; %bb.928:
	s_cmp_lt_i32 s15, 3
	s_cbranch_scc1 .LBB175_934
; %bb.929:
	s_cmp_gt_i32 s15, 3
	s_cbranch_scc0 .LBB175_931
; %bb.930:
	v_mov_b32_e32 v4, s3
	v_mov_b32_e32 v3, s2
	global_store_dwordx2 v[1:2], v[3:4], off
	s_mov_b64 s[6:7], 0
.LBB175_931:
	s_andn2_b64 vcc, exec, s[6:7]
	s_cbranch_vccnz .LBB175_933
; %bb.932:
	v_mov_b32_e32 v3, s2
	global_store_dword v[1:2], v3, off
.LBB175_933:
	s_mov_b64 s[6:7], 0
.LBB175_934:
	s_andn2_b64 vcc, exec, s[6:7]
	s_cbranch_vccnz .LBB175_936
; %bb.935:
	v_mov_b32_e32 v3, s2
	global_store_short v[1:2], v3, off
.LBB175_936:
	s_mov_b64 s[6:7], 0
.LBB175_937:
	s_andn2_b64 vcc, exec, s[6:7]
	s_cbranch_vccnz .LBB175_942
; %bb.938:
	s_cmp_gt_i32 s15, 0
	s_mov_b64 s[6:7], -1
	s_cbranch_scc0 .LBB175_940
; %bb.939:
	v_mov_b32_e32 v3, s2
	global_store_byte v[1:2], v3, off
	s_mov_b64 s[6:7], 0
.LBB175_940:
	s_andn2_b64 vcc, exec, s[6:7]
	s_cbranch_vccnz .LBB175_942
; %bb.941:
	v_mov_b32_e32 v3, s2
	global_store_byte v[1:2], v3, off
.LBB175_942:
	s_branch .LBB175_802
.LBB175_943:
	s_mov_b64 s[0:1], 0
	s_mov_b64 s[6:7], 0
                                        ; implicit-def: $sgpr14
                                        ; implicit-def: $vgpr0_vgpr1
.LBB175_944:
	s_and_b64 s[18:19], s[6:7], exec
	s_andn2_b64 s[6:7], s[20:21], exec
	s_and_b64 s[4:5], s[4:5], exec
	s_and_b64 s[0:1], s[0:1], exec
	s_or_b64 s[20:21], s[6:7], s[4:5]
.LBB175_945:
	s_or_b64 exec, exec, s[22:23]
	s_and_saveexec_b64 s[4:5], s[20:21]
	s_cbranch_execz .LBB175_948
; %bb.946:
	; divergent unreachable
	s_or_b64 exec, exec, s[4:5]
	s_and_saveexec_b64 s[4:5], s[18:19]
	s_xor_b64 s[4:5], exec, s[4:5]
	s_cbranch_execnz .LBB175_949
.LBB175_947:
	s_or_b64 exec, exec, s[4:5]
	s_and_saveexec_b64 s[4:5], s[0:1]
	s_cbranch_execnz .LBB175_950
	s_branch .LBB175_987
.LBB175_948:
	s_or_b64 exec, exec, s[4:5]
	s_and_saveexec_b64 s[4:5], s[18:19]
	s_xor_b64 s[4:5], exec, s[4:5]
	s_cbranch_execz .LBB175_947
.LBB175_949:
	s_cmp_lg_u64 s[2:3], 0
	s_cselect_b64 s[6:7], -1, 0
	v_cndmask_b32_e64 v2, 0, 1, s[6:7]
	global_store_byte v[0:1], v2, off
	s_or_b64 exec, exec, s[4:5]
	s_and_saveexec_b64 s[4:5], s[0:1]
	s_cbranch_execz .LBB175_987
.LBB175_950:
	s_sext_i32_i16 s4, s14
	s_cmp_lt_i32 s4, 5
	s_mov_b64 s[0:1], -1
	s_cbranch_scc1 .LBB175_971
; %bb.951:
	s_cmp_lt_i32 s4, 8
	s_cbranch_scc1 .LBB175_961
; %bb.952:
	s_cmp_lt_i32 s4, 9
	s_cbranch_scc1 .LBB175_958
; %bb.953:
	s_cmp_gt_i32 s4, 9
	s_cbranch_scc0 .LBB175_955
; %bb.954:
	v_cvt_f64_u32_e32 v[2:3], s3
	v_cvt_f64_u32_e32 v[4:5], s2
	s_mov_b64 s[0:1], 0
	v_ldexp_f64 v[2:3], v[2:3], 32
	v_add_f64 v[2:3], v[2:3], v[4:5]
	v_mov_b32_e32 v4, 0
	v_mov_b32_e32 v5, v4
	global_store_dwordx4 v[0:1], v[2:5], off
.LBB175_955:
	s_andn2_b64 vcc, exec, s[0:1]
	s_cbranch_vccnz .LBB175_957
; %bb.956:
	s_flbit_i32_b32 s0, s3
	s_min_u32 s4, s0, 32
	s_lshl_b64 s[0:1], s[2:3], s4
	s_min_u32 s0, s0, 1
	s_or_b32 s0, s1, s0
	v_cvt_f32_u32_e32 v2, s0
	s_sub_i32 s0, 32, s4
	v_mov_b32_e32 v3, 0
	v_ldexp_f32 v2, v2, s0
	global_store_dwordx2 v[0:1], v[2:3], off
.LBB175_957:
	s_mov_b64 s[0:1], 0
.LBB175_958:
	s_andn2_b64 vcc, exec, s[0:1]
	s_cbranch_vccnz .LBB175_960
; %bb.959:
	s_flbit_i32_b32 s0, s3
	s_min_u32 s4, s0, 32
	s_lshl_b64 s[0:1], s[2:3], s4
	s_min_u32 s0, s0, 1
	s_or_b32 s0, s1, s0
	v_cvt_f32_u32_e32 v2, s0
	s_sub_i32 s0, 32, s4
	v_ldexp_f32 v2, v2, s0
	v_cvt_f16_f32_e32 v2, v2
	global_store_dword v[0:1], v2, off
.LBB175_960:
	s_mov_b64 s[0:1], 0
.LBB175_961:
	s_andn2_b64 vcc, exec, s[0:1]
	s_cbranch_vccnz .LBB175_970
; %bb.962:
	s_sext_i32_i16 s4, s14
	s_cmp_lt_i32 s4, 6
	s_mov_b64 s[0:1], -1
	s_cbranch_scc1 .LBB175_968
; %bb.963:
	s_cmp_gt_i32 s4, 6
	s_cbranch_scc0 .LBB175_965
; %bb.964:
	v_cvt_f64_u32_e32 v[2:3], s3
	v_cvt_f64_u32_e32 v[4:5], s2
	s_mov_b64 s[0:1], 0
	v_ldexp_f64 v[2:3], v[2:3], 32
	v_add_f64 v[2:3], v[2:3], v[4:5]
	global_store_dwordx2 v[0:1], v[2:3], off
.LBB175_965:
	s_andn2_b64 vcc, exec, s[0:1]
	s_cbranch_vccnz .LBB175_967
; %bb.966:
	s_flbit_i32_b32 s0, s3
	s_min_u32 s4, s0, 32
	s_lshl_b64 s[0:1], s[2:3], s4
	s_min_u32 s0, s0, 1
	s_or_b32 s0, s1, s0
	v_cvt_f32_u32_e32 v2, s0
	s_sub_i32 s0, 32, s4
	v_ldexp_f32 v2, v2, s0
	global_store_dword v[0:1], v2, off
.LBB175_967:
	s_mov_b64 s[0:1], 0
.LBB175_968:
	s_andn2_b64 vcc, exec, s[0:1]
	s_cbranch_vccnz .LBB175_970
; %bb.969:
	s_flbit_i32_b32 s0, s3
	s_min_u32 s4, s0, 32
	s_lshl_b64 s[0:1], s[2:3], s4
	s_min_u32 s0, s0, 1
	s_or_b32 s0, s1, s0
	v_cvt_f32_u32_e32 v2, s0
	s_sub_i32 s0, 32, s4
	v_ldexp_f32 v2, v2, s0
	v_cvt_f16_f32_e32 v2, v2
	global_store_short v[0:1], v2, off
.LBB175_970:
	s_mov_b64 s[0:1], 0
.LBB175_971:
	s_andn2_b64 vcc, exec, s[0:1]
	s_cbranch_vccnz .LBB175_987
; %bb.972:
	s_sext_i32_i16 s4, s14
	s_cmp_lt_i32 s4, 2
	s_mov_b64 s[0:1], -1
	s_cbranch_scc1 .LBB175_982
; %bb.973:
	s_cmp_lt_i32 s4, 3
	s_cbranch_scc1 .LBB175_979
; %bb.974:
	s_cmp_gt_i32 s4, 3
	s_cbranch_scc0 .LBB175_976
; %bb.975:
	v_mov_b32_e32 v2, s2
	v_mov_b32_e32 v3, s3
	global_store_dwordx2 v[0:1], v[2:3], off
	s_mov_b64 s[0:1], 0
.LBB175_976:
	s_andn2_b64 vcc, exec, s[0:1]
	s_cbranch_vccnz .LBB175_978
; %bb.977:
	v_mov_b32_e32 v2, s2
	global_store_dword v[0:1], v2, off
.LBB175_978:
	s_mov_b64 s[0:1], 0
.LBB175_979:
	s_andn2_b64 vcc, exec, s[0:1]
	s_cbranch_vccnz .LBB175_981
; %bb.980:
	v_mov_b32_e32 v2, s2
	global_store_short v[0:1], v2, off
.LBB175_981:
	s_mov_b64 s[0:1], 0
.LBB175_982:
	s_andn2_b64 vcc, exec, s[0:1]
	s_cbranch_vccnz .LBB175_987
; %bb.983:
	s_sext_i32_i16 s0, s14
	s_cmp_gt_i32 s0, 0
	s_mov_b64 s[0:1], -1
	s_cbranch_scc0 .LBB175_985
; %bb.984:
	v_mov_b32_e32 v2, s2
	global_store_byte v[0:1], v2, off
	s_mov_b64 s[0:1], 0
.LBB175_985:
	s_andn2_b64 vcc, exec, s[0:1]
	s_cbranch_vccnz .LBB175_987
; %bb.986:
	v_mov_b32_e32 v2, s2
	global_store_byte v[0:1], v2, off
	s_endpgm
.LBB175_987:
	s_endpgm
.LBB175_988:
	s_trap 2
	s_or_b64 s[4:5], s[4:5], exec
	s_cbranch_execz .LBB175_903
	s_branch .LBB175_904
.LBB175_989:
	s_mov_b64 s[8:9], -1
	s_mov_b64 s[6:7], 0
                                        ; implicit-def: $sgpr10
.LBB175_990:
	s_andn2_b64 vcc, exec, s[8:9]
	v_mov_b32_e32 v3, s10
	s_cbranch_vccnz .LBB175_992
; %bb.991:
	v_add_f32_e32 v2, 0x42800000, v2
	v_and_b32_e32 v3, 0xff, v2
	v_cmp_ne_u32_e64 s[6:7], 0, v3
.LBB175_992:
	s_andn2_b64 vcc, exec, s[6:7]
	v_mov_b32_e32 v4, 0
	s_cbranch_vccnz .LBB175_994
; %bb.993:
	v_mov_b32_e32 v4, v3
.LBB175_994:
	s_mov_b64 s[6:7], 0
	global_store_byte v[0:1], v4, off
.LBB175_995:
	s_and_b64 vcc, exec, s[6:7]
	s_cbranch_vccz .LBB175_1007
; %bb.996:
	s_flbit_i32_b32 s6, s3
	s_min_u32 s8, s6, 32
	s_lshl_b64 s[6:7], s[2:3], s8
	s_min_u32 s6, s6, 1
	s_or_b32 s6, s7, s6
	v_cvt_f32_u32_e32 v2, s6
	s_sub_i32 s6, 32, s8
	v_ldexp_f32 v2, v2, s6
	s_mov_b32 s6, 0x43f00000
	v_cmp_gt_u32_e32 vcc, s6, v2
	v_readfirstlane_b32 s8, v2
	s_cbranch_vccz .LBB175_999
; %bb.997:
	s_cmp_gt_u32 s8, 0x3c7fffff
	s_cbranch_scc0 .LBB175_1000
; %bb.998:
	s_bfe_u32 s6, s8, 0x10014
	s_add_i32 s6, s8, s6
	s_add_i32 s6, s6, 0x407ffff
	s_lshr_b32 s7, s6, 20
	s_and_b32 s6, s6, 0xff00000
	s_cmp_lg_u32 s6, 0x7f00000
	s_cselect_b32 s9, s7, 0x7e
	s_mov_b64 s[6:7], 0
	s_branch .LBB175_1001
.LBB175_999:
	s_mov_b64 s[6:7], -1
                                        ; implicit-def: $vgpr3
	s_branch .LBB175_1004
.LBB175_1000:
	s_mov_b64 s[6:7], -1
                                        ; implicit-def: $sgpr9
.LBB175_1001:
	s_andn2_b64 vcc, exec, s[6:7]
	v_mov_b32_e32 v3, s9
	s_cbranch_vccnz .LBB175_1003
; %bb.1002:
	v_add_f32_e32 v3, 0x46800000, v2
.LBB175_1003:
	s_mov_b64 s[6:7], 0
.LBB175_1004:
	s_andn2_b64 vcc, exec, s[6:7]
	s_cbranch_vccnz .LBB175_1006
; %bb.1005:
	s_cmp_gt_u32 s8, 0x7f800000
	s_movk_i32 s6, 0x7f
	s_cselect_b32 s6, s6, 0x7e
	v_mov_b32_e32 v3, s6
.LBB175_1006:
	global_store_byte v[0:1], v3, off
.LBB175_1007:
	s_mov_b64 s[6:7], 0
.LBB175_1008:
	s_andn2_b64 vcc, exec, s[6:7]
	s_cbranch_vccnz .LBB175_1020
; %bb.1009:
	s_flbit_i32_b32 s6, s3
	s_min_u32 s8, s6, 32
	s_lshl_b64 s[6:7], s[2:3], s8
	s_min_u32 s6, s6, 1
	s_or_b32 s6, s7, s6
	v_cvt_f32_u32_e32 v2, s6
	s_sub_i32 s6, 32, s8
	v_ldexp_f32 v2, v2, s6
	s_mov_b32 s6, 0x47800000
	v_cmp_gt_u32_e32 vcc, s6, v2
	v_readfirstlane_b32 s8, v2
	s_cbranch_vccz .LBB175_1012
; %bb.1010:
	s_cmp_gt_u32 s8, 0x387fffff
	s_cbranch_scc0 .LBB175_1013
; %bb.1011:
	s_bfe_u32 s6, s8, 0x10015
	s_add_i32 s6, s8, s6
	s_add_i32 s6, s6, 0x80fffff
	s_lshr_b32 s9, s6, 21
	s_mov_b64 s[6:7], 0
	s_branch .LBB175_1014
.LBB175_1012:
	s_mov_b64 s[6:7], -1
                                        ; implicit-def: $vgpr3
	s_branch .LBB175_1017
.LBB175_1013:
	s_mov_b64 s[6:7], -1
                                        ; implicit-def: $sgpr9
.LBB175_1014:
	s_andn2_b64 vcc, exec, s[6:7]
	v_mov_b32_e32 v3, s9
	s_cbranch_vccnz .LBB175_1016
; %bb.1015:
	v_add_f32_e32 v3, 0x43000000, v2
.LBB175_1016:
	s_mov_b64 s[6:7], 0
.LBB175_1017:
	s_andn2_b64 vcc, exec, s[6:7]
	s_cbranch_vccnz .LBB175_1019
; %bb.1018:
	s_cmp_gt_u32 s8, 0x7f800000
	s_movk_i32 s6, 0x7f
	s_cselect_b32 s6, s6, 0x7c
	v_mov_b32_e32 v3, s6
.LBB175_1019:
	global_store_byte v[0:1], v3, off
.LBB175_1020:
	s_mov_b64 s[6:7], 0
.LBB175_1021:
	s_andn2_b64 vcc, exec, s[6:7]
	s_mov_b64 s[6:7], 0
	s_cbranch_vccnz .LBB175_1028
; %bb.1022:
	s_cmp_gt_i32 s15, 14
	s_mov_b64 s[8:9], -1
	s_cbranch_scc0 .LBB175_1026
; %bb.1023:
	s_cmp_eq_u32 s15, 15
	s_mov_b64 s[0:1], -1
	s_cbranch_scc0 .LBB175_1025
; %bb.1024:
	s_flbit_i32_b32 s0, s3
	s_min_u32 s6, s0, 32
	s_lshl_b64 s[0:1], s[2:3], s6
	s_min_u32 s0, s0, 1
	s_or_b32 s0, s1, s0
	v_cvt_f32_u32_e32 v2, s0
	s_sub_i32 s0, 32, s6
	v_ldexp_f32 v2, v2, s0
	v_bfe_u32 v3, v2, 16, 1
	v_add_u32_e32 v2, v2, v3
	v_add_u32_e32 v2, 0x7fff, v2
	global_store_short_d16_hi v[0:1], v2, off
	s_mov_b64 s[0:1], 0
.LBB175_1025:
	s_mov_b64 s[8:9], 0
.LBB175_1026:
	s_mov_b64 s[6:7], 0
	s_and_b64 vcc, exec, s[8:9]
	s_cbranch_vccz .LBB175_1028
; %bb.1027:
	s_cmp_lg_u32 s15, 11
	s_mov_b64 s[6:7], -1
	s_cselect_b64 s[0:1], -1, 0
.LBB175_1028:
	s_and_b64 vcc, exec, s[0:1]
	s_cbranch_vccnz .LBB175_1030
.LBB175_1029:
	s_mov_b64 s[0:1], 0
	s_branch .LBB175_944
.LBB175_1030:
	s_mov_b64 s[6:7], 0
	s_or_b64 s[4:5], s[4:5], exec
	s_trap 2
	s_branch .LBB175_1029
	.section	.rodata,"a",@progbits
	.p2align	6, 0x0
	.amdhsa_kernel _ZN2at6native32elementwise_kernel_manual_unrollILi128ELi4EZNS0_15gpu_kernel_implINS0_11FillFunctorImEEEEvRNS_18TensorIteratorBaseERKT_EUlibE0_EEviT1_
		.amdhsa_group_segment_fixed_size 0
		.amdhsa_private_segment_fixed_size 0
		.amdhsa_kernarg_size 296
		.amdhsa_user_sgpr_count 6
		.amdhsa_user_sgpr_private_segment_buffer 1
		.amdhsa_user_sgpr_dispatch_ptr 0
		.amdhsa_user_sgpr_queue_ptr 0
		.amdhsa_user_sgpr_kernarg_segment_ptr 1
		.amdhsa_user_sgpr_dispatch_id 0
		.amdhsa_user_sgpr_flat_scratch_init 0
		.amdhsa_user_sgpr_private_segment_size 0
		.amdhsa_uses_dynamic_stack 0
		.amdhsa_system_sgpr_private_segment_wavefront_offset 0
		.amdhsa_system_sgpr_workgroup_id_x 1
		.amdhsa_system_sgpr_workgroup_id_y 0
		.amdhsa_system_sgpr_workgroup_id_z 0
		.amdhsa_system_sgpr_workgroup_info 0
		.amdhsa_system_vgpr_workitem_id 0
		.amdhsa_next_free_vgpr 26
		.amdhsa_next_free_sgpr 87
		.amdhsa_reserve_vcc 1
		.amdhsa_reserve_flat_scratch 0
		.amdhsa_float_round_mode_32 0
		.amdhsa_float_round_mode_16_64 0
		.amdhsa_float_denorm_mode_32 3
		.amdhsa_float_denorm_mode_16_64 3
		.amdhsa_dx10_clamp 1
		.amdhsa_ieee_mode 1
		.amdhsa_fp16_overflow 0
		.amdhsa_exception_fp_ieee_invalid_op 0
		.amdhsa_exception_fp_denorm_src 0
		.amdhsa_exception_fp_ieee_div_zero 0
		.amdhsa_exception_fp_ieee_overflow 0
		.amdhsa_exception_fp_ieee_underflow 0
		.amdhsa_exception_fp_ieee_inexact 0
		.amdhsa_exception_int_div_zero 0
	.end_amdhsa_kernel
	.section	.text._ZN2at6native32elementwise_kernel_manual_unrollILi128ELi4EZNS0_15gpu_kernel_implINS0_11FillFunctorImEEEEvRNS_18TensorIteratorBaseERKT_EUlibE0_EEviT1_,"axG",@progbits,_ZN2at6native32elementwise_kernel_manual_unrollILi128ELi4EZNS0_15gpu_kernel_implINS0_11FillFunctorImEEEEvRNS_18TensorIteratorBaseERKT_EUlibE0_EEviT1_,comdat
.Lfunc_end175:
	.size	_ZN2at6native32elementwise_kernel_manual_unrollILi128ELi4EZNS0_15gpu_kernel_implINS0_11FillFunctorImEEEEvRNS_18TensorIteratorBaseERKT_EUlibE0_EEviT1_, .Lfunc_end175-_ZN2at6native32elementwise_kernel_manual_unrollILi128ELi4EZNS0_15gpu_kernel_implINS0_11FillFunctorImEEEEvRNS_18TensorIteratorBaseERKT_EUlibE0_EEviT1_
                                        ; -- End function
	.set _ZN2at6native32elementwise_kernel_manual_unrollILi128ELi4EZNS0_15gpu_kernel_implINS0_11FillFunctorImEEEEvRNS_18TensorIteratorBaseERKT_EUlibE0_EEviT1_.num_vgpr, 26
	.set _ZN2at6native32elementwise_kernel_manual_unrollILi128ELi4EZNS0_15gpu_kernel_implINS0_11FillFunctorImEEEEvRNS_18TensorIteratorBaseERKT_EUlibE0_EEviT1_.num_agpr, 0
	.set _ZN2at6native32elementwise_kernel_manual_unrollILi128ELi4EZNS0_15gpu_kernel_implINS0_11FillFunctorImEEEEvRNS_18TensorIteratorBaseERKT_EUlibE0_EEviT1_.numbered_sgpr, 87
	.set _ZN2at6native32elementwise_kernel_manual_unrollILi128ELi4EZNS0_15gpu_kernel_implINS0_11FillFunctorImEEEEvRNS_18TensorIteratorBaseERKT_EUlibE0_EEviT1_.num_named_barrier, 0
	.set _ZN2at6native32elementwise_kernel_manual_unrollILi128ELi4EZNS0_15gpu_kernel_implINS0_11FillFunctorImEEEEvRNS_18TensorIteratorBaseERKT_EUlibE0_EEviT1_.private_seg_size, 0
	.set _ZN2at6native32elementwise_kernel_manual_unrollILi128ELi4EZNS0_15gpu_kernel_implINS0_11FillFunctorImEEEEvRNS_18TensorIteratorBaseERKT_EUlibE0_EEviT1_.uses_vcc, 1
	.set _ZN2at6native32elementwise_kernel_manual_unrollILi128ELi4EZNS0_15gpu_kernel_implINS0_11FillFunctorImEEEEvRNS_18TensorIteratorBaseERKT_EUlibE0_EEviT1_.uses_flat_scratch, 0
	.set _ZN2at6native32elementwise_kernel_manual_unrollILi128ELi4EZNS0_15gpu_kernel_implINS0_11FillFunctorImEEEEvRNS_18TensorIteratorBaseERKT_EUlibE0_EEviT1_.has_dyn_sized_stack, 0
	.set _ZN2at6native32elementwise_kernel_manual_unrollILi128ELi4EZNS0_15gpu_kernel_implINS0_11FillFunctorImEEEEvRNS_18TensorIteratorBaseERKT_EUlibE0_EEviT1_.has_recursion, 0
	.set _ZN2at6native32elementwise_kernel_manual_unrollILi128ELi4EZNS0_15gpu_kernel_implINS0_11FillFunctorImEEEEvRNS_18TensorIteratorBaseERKT_EUlibE0_EEviT1_.has_indirect_call, 0
	.section	.AMDGPU.csdata,"",@progbits
; Kernel info:
; codeLenInByte = 17940
; TotalNumSgprs: 91
; NumVgprs: 26
; ScratchSize: 0
; MemoryBound: 0
; FloatMode: 240
; IeeeMode: 1
; LDSByteSize: 0 bytes/workgroup (compile time only)
; SGPRBlocks: 11
; VGPRBlocks: 6
; NumSGPRsForWavesPerEU: 91
; NumVGPRsForWavesPerEU: 26
; Occupancy: 8
; WaveLimiterHint : 1
; COMPUTE_PGM_RSRC2:SCRATCH_EN: 0
; COMPUTE_PGM_RSRC2:USER_SGPR: 6
; COMPUTE_PGM_RSRC2:TRAP_HANDLER: 0
; COMPUTE_PGM_RSRC2:TGID_X_EN: 1
; COMPUTE_PGM_RSRC2:TGID_Y_EN: 0
; COMPUTE_PGM_RSRC2:TGID_Z_EN: 0
; COMPUTE_PGM_RSRC2:TIDIG_COMP_CNT: 0
	.section	.AMDGPU.gpr_maximums,"",@progbits
	.set amdgpu.max_num_vgpr, 0
	.set amdgpu.max_num_agpr, 0
	.set amdgpu.max_num_sgpr, 0
	.section	.AMDGPU.csdata,"",@progbits
	.type	__hip_cuid_8f4af62cbbf099f3,@object ; @__hip_cuid_8f4af62cbbf099f3
	.section	.bss,"aw",@nobits
	.globl	__hip_cuid_8f4af62cbbf099f3
__hip_cuid_8f4af62cbbf099f3:
	.byte	0                               ; 0x0
	.size	__hip_cuid_8f4af62cbbf099f3, 1

	.ident	"AMD clang version 22.0.0git (https://github.com/RadeonOpenCompute/llvm-project roc-7.2.4 26084 f58b06dce1f9c15707c5f808fd002e18c2accf7e)"
	.section	".note.GNU-stack","",@progbits
	.addrsig
	.addrsig_sym __hip_cuid_8f4af62cbbf099f3
	.amdgpu_metadata
---
amdhsa.kernels:
  - .args:
      - .offset:         0
        .size:           4
        .value_kind:     by_value
      - .offset:         4
        .size:           1
        .value_kind:     by_value
      - .address_space:  global
        .offset:         8
        .size:           8
        .value_kind:     global_buffer
    .group_segment_fixed_size: 0
    .kernarg_segment_align: 8
    .kernarg_segment_size: 16
    .language:       OpenCL C
    .language_version:
      - 2
      - 0
    .max_flat_workgroup_size: 256
    .name:           _ZN2at6native29vectorized_elementwise_kernelILi16ENS0_11FillFunctorIhEESt5arrayIPcLm1EEEEviT0_T1_
    .private_segment_fixed_size: 0
    .sgpr_count:     35
    .sgpr_spill_count: 0
    .symbol:         _ZN2at6native29vectorized_elementwise_kernelILi16ENS0_11FillFunctorIhEESt5arrayIPcLm1EEEEviT0_T1_.kd
    .uniform_work_group_size: 1
    .uses_dynamic_stack: false
    .vgpr_count:     25
    .vgpr_spill_count: 0
    .wavefront_size: 64
  - .args:
      - .offset:         0
        .size:           4
        .value_kind:     by_value
      - .offset:         4
        .size:           1
        .value_kind:     by_value
      - .address_space:  global
        .offset:         8
        .size:           8
        .value_kind:     global_buffer
    .group_segment_fixed_size: 0
    .kernarg_segment_align: 8
    .kernarg_segment_size: 16
    .language:       OpenCL C
    .language_version:
      - 2
      - 0
    .max_flat_workgroup_size: 256
    .name:           _ZN2at6native29vectorized_elementwise_kernelILi8ENS0_11FillFunctorIhEESt5arrayIPcLm1EEEEviT0_T1_
    .private_segment_fixed_size: 0
    .sgpr_count:     35
    .sgpr_spill_count: 0
    .symbol:         _ZN2at6native29vectorized_elementwise_kernelILi8ENS0_11FillFunctorIhEESt5arrayIPcLm1EEEEviT0_T1_.kd
    .uniform_work_group_size: 1
    .uses_dynamic_stack: false
    .vgpr_count:     25
    .vgpr_spill_count: 0
    .wavefront_size: 64
  - .args:
      - .offset:         0
        .size:           4
        .value_kind:     by_value
      - .offset:         4
        .size:           1
        .value_kind:     by_value
      - .address_space:  global
        .offset:         8
        .size:           8
        .value_kind:     global_buffer
    .group_segment_fixed_size: 0
    .kernarg_segment_align: 8
    .kernarg_segment_size: 16
    .language:       OpenCL C
    .language_version:
      - 2
      - 0
    .max_flat_workgroup_size: 256
    .name:           _ZN2at6native29vectorized_elementwise_kernelILi4ENS0_11FillFunctorIhEESt5arrayIPcLm1EEEEviT0_T1_
    .private_segment_fixed_size: 0
    .sgpr_count:     35
    .sgpr_spill_count: 0
    .symbol:         _ZN2at6native29vectorized_elementwise_kernelILi4ENS0_11FillFunctorIhEESt5arrayIPcLm1EEEEviT0_T1_.kd
    .uniform_work_group_size: 1
    .uses_dynamic_stack: false
    .vgpr_count:     25
    .vgpr_spill_count: 0
    .wavefront_size: 64
  - .args:
      - .offset:         0
        .size:           4
        .value_kind:     by_value
      - .offset:         4
        .size:           1
        .value_kind:     by_value
      - .address_space:  global
        .offset:         8
        .size:           8
        .value_kind:     global_buffer
    .group_segment_fixed_size: 0
    .kernarg_segment_align: 8
    .kernarg_segment_size: 16
    .language:       OpenCL C
    .language_version:
      - 2
      - 0
    .max_flat_workgroup_size: 256
    .name:           _ZN2at6native29vectorized_elementwise_kernelILi2ENS0_11FillFunctorIhEESt5arrayIPcLm1EEEEviT0_T1_
    .private_segment_fixed_size: 0
    .sgpr_count:     35
    .sgpr_spill_count: 0
    .symbol:         _ZN2at6native29vectorized_elementwise_kernelILi2ENS0_11FillFunctorIhEESt5arrayIPcLm1EEEEviT0_T1_.kd
    .uniform_work_group_size: 1
    .uses_dynamic_stack: false
    .vgpr_count:     25
    .vgpr_spill_count: 0
    .wavefront_size: 64
  - .args:
      - .offset:         0
        .size:           4
        .value_kind:     by_value
      - .offset:         4
        .size:           1
        .value_kind:     by_value
      - .address_space:  global
        .offset:         8
        .size:           8
        .value_kind:     global_buffer
      - .offset:         16
        .size:           1
        .value_kind:     by_value
      - .offset:         17
        .size:           1
        .value_kind:     by_value
      - .offset:         18
        .size:           1
        .value_kind:     by_value
      - .offset:         19
        .size:           1
        .value_kind:     by_value
    .group_segment_fixed_size: 0
    .kernarg_segment_align: 8
    .kernarg_segment_size: 20
    .language:       OpenCL C
    .language_version:
      - 2
      - 0
    .max_flat_workgroup_size: 256
    .name:           _ZN2at6native27unrolled_elementwise_kernelINS0_11FillFunctorIhEESt5arrayIPcLm1EELi4E23TrivialOffsetCalculatorILi0EjES7_ILi1EjENS0_6memory15LoadWithoutCastENSA_16StoreWithoutCastEEEviT_T0_T2_T3_T4_T5_
    .private_segment_fixed_size: 0
    .sgpr_count:     11
    .sgpr_spill_count: 0
    .symbol:         _ZN2at6native27unrolled_elementwise_kernelINS0_11FillFunctorIhEESt5arrayIPcLm1EELi4E23TrivialOffsetCalculatorILi0EjES7_ILi1EjENS0_6memory15LoadWithoutCastENSA_16StoreWithoutCastEEEviT_T0_T2_T3_T4_T5_.kd
    .uniform_work_group_size: 1
    .uses_dynamic_stack: false
    .vgpr_count:     6
    .vgpr_spill_count: 0
    .wavefront_size: 64
  - .args:
      - .offset:         0
        .size:           4
        .value_kind:     by_value
      - .offset:         8
        .size:           280
        .value_kind:     by_value
    .group_segment_fixed_size: 0
    .kernarg_segment_align: 8
    .kernarg_segment_size: 288
    .language:       OpenCL C
    .language_version:
      - 2
      - 0
    .max_flat_workgroup_size: 128
    .name:           _ZN2at6native32elementwise_kernel_manual_unrollILi128ELi8EZNS0_22gpu_kernel_impl_nocastINS0_11FillFunctorIhEEEEvRNS_18TensorIteratorBaseERKT_EUlibE_EEviT1_
    .private_segment_fixed_size: 0
    .sgpr_count:     57
    .sgpr_spill_count: 0
    .symbol:         _ZN2at6native32elementwise_kernel_manual_unrollILi128ELi8EZNS0_22gpu_kernel_impl_nocastINS0_11FillFunctorIhEEEEvRNS_18TensorIteratorBaseERKT_EUlibE_EEviT1_.kd
    .uniform_work_group_size: 1
    .uses_dynamic_stack: false
    .vgpr_count:     16
    .vgpr_spill_count: 0
    .wavefront_size: 64
  - .args:
      - .offset:         0
        .size:           4
        .value_kind:     by_value
      - .offset:         8
        .size:           16
        .value_kind:     by_value
    .group_segment_fixed_size: 0
    .kernarg_segment_align: 8
    .kernarg_segment_size: 24
    .language:       OpenCL C
    .language_version:
      - 2
      - 0
    .max_flat_workgroup_size: 128
    .name:           _ZN2at6native32elementwise_kernel_manual_unrollILi128ELi4EZNS0_15gpu_kernel_implINS0_11FillFunctorIhEEEEvRNS_18TensorIteratorBaseERKT_EUlibE_EEviT1_
    .private_segment_fixed_size: 0
    .sgpr_count:     58
    .sgpr_spill_count: 0
    .symbol:         _ZN2at6native32elementwise_kernel_manual_unrollILi128ELi4EZNS0_15gpu_kernel_implINS0_11FillFunctorIhEEEEvRNS_18TensorIteratorBaseERKT_EUlibE_EEviT1_.kd
    .uniform_work_group_size: 1
    .uses_dynamic_stack: false
    .vgpr_count:     23
    .vgpr_spill_count: 0
    .wavefront_size: 64
  - .args:
      - .offset:         0
        .size:           4
        .value_kind:     by_value
      - .offset:         8
        .size:           280
        .value_kind:     by_value
    .group_segment_fixed_size: 0
    .kernarg_segment_align: 8
    .kernarg_segment_size: 288
    .language:       OpenCL C
    .language_version:
      - 2
      - 0
    .max_flat_workgroup_size: 128
    .name:           _ZN2at6native32elementwise_kernel_manual_unrollILi128ELi4EZNS0_15gpu_kernel_implINS0_11FillFunctorIhEEEEvRNS_18TensorIteratorBaseERKT_EUlibE0_EEviT1_
    .private_segment_fixed_size: 0
    .sgpr_count:     92
    .sgpr_spill_count: 0
    .symbol:         _ZN2at6native32elementwise_kernel_manual_unrollILi128ELi4EZNS0_15gpu_kernel_implINS0_11FillFunctorIhEEEEvRNS_18TensorIteratorBaseERKT_EUlibE0_EEviT1_.kd
    .uniform_work_group_size: 1
    .uses_dynamic_stack: false
    .vgpr_count:     26
    .vgpr_spill_count: 0
    .wavefront_size: 64
  - .args:
      - .offset:         0
        .size:           4
        .value_kind:     by_value
      - .offset:         4
        .size:           1
        .value_kind:     by_value
      - .address_space:  global
        .offset:         8
        .size:           8
        .value_kind:     global_buffer
    .group_segment_fixed_size: 0
    .kernarg_segment_align: 8
    .kernarg_segment_size: 16
    .language:       OpenCL C
    .language_version:
      - 2
      - 0
    .max_flat_workgroup_size: 256
    .name:           _ZN2at6native29vectorized_elementwise_kernelILi16ENS0_11FillFunctorIaEESt5arrayIPcLm1EEEEviT0_T1_
    .private_segment_fixed_size: 0
    .sgpr_count:     16
    .sgpr_spill_count: 0
    .symbol:         _ZN2at6native29vectorized_elementwise_kernelILi16ENS0_11FillFunctorIaEESt5arrayIPcLm1EEEEviT0_T1_.kd
    .uniform_work_group_size: 1
    .uses_dynamic_stack: false
    .vgpr_count:     13
    .vgpr_spill_count: 0
    .wavefront_size: 64
  - .args:
      - .offset:         0
        .size:           4
        .value_kind:     by_value
      - .offset:         4
        .size:           1
        .value_kind:     by_value
      - .address_space:  global
        .offset:         8
        .size:           8
        .value_kind:     global_buffer
    .group_segment_fixed_size: 0
    .kernarg_segment_align: 8
    .kernarg_segment_size: 16
    .language:       OpenCL C
    .language_version:
      - 2
      - 0
    .max_flat_workgroup_size: 256
    .name:           _ZN2at6native29vectorized_elementwise_kernelILi8ENS0_11FillFunctorIaEESt5arrayIPcLm1EEEEviT0_T1_
    .private_segment_fixed_size: 0
    .sgpr_count:     16
    .sgpr_spill_count: 0
    .symbol:         _ZN2at6native29vectorized_elementwise_kernelILi8ENS0_11FillFunctorIaEESt5arrayIPcLm1EEEEviT0_T1_.kd
    .uniform_work_group_size: 1
    .uses_dynamic_stack: false
    .vgpr_count:     13
    .vgpr_spill_count: 0
    .wavefront_size: 64
  - .args:
      - .offset:         0
        .size:           4
        .value_kind:     by_value
      - .offset:         4
        .size:           1
        .value_kind:     by_value
      - .address_space:  global
        .offset:         8
        .size:           8
        .value_kind:     global_buffer
    .group_segment_fixed_size: 0
    .kernarg_segment_align: 8
    .kernarg_segment_size: 16
    .language:       OpenCL C
    .language_version:
      - 2
      - 0
    .max_flat_workgroup_size: 256
    .name:           _ZN2at6native29vectorized_elementwise_kernelILi4ENS0_11FillFunctorIaEESt5arrayIPcLm1EEEEviT0_T1_
    .private_segment_fixed_size: 0
    .sgpr_count:     16
    .sgpr_spill_count: 0
    .symbol:         _ZN2at6native29vectorized_elementwise_kernelILi4ENS0_11FillFunctorIaEESt5arrayIPcLm1EEEEviT0_T1_.kd
    .uniform_work_group_size: 1
    .uses_dynamic_stack: false
    .vgpr_count:     13
    .vgpr_spill_count: 0
    .wavefront_size: 64
  - .args:
      - .offset:         0
        .size:           4
        .value_kind:     by_value
      - .offset:         4
        .size:           1
        .value_kind:     by_value
      - .address_space:  global
        .offset:         8
        .size:           8
        .value_kind:     global_buffer
    .group_segment_fixed_size: 0
    .kernarg_segment_align: 8
    .kernarg_segment_size: 16
    .language:       OpenCL C
    .language_version:
      - 2
      - 0
    .max_flat_workgroup_size: 256
    .name:           _ZN2at6native29vectorized_elementwise_kernelILi2ENS0_11FillFunctorIaEESt5arrayIPcLm1EEEEviT0_T1_
    .private_segment_fixed_size: 0
    .sgpr_count:     16
    .sgpr_spill_count: 0
    .symbol:         _ZN2at6native29vectorized_elementwise_kernelILi2ENS0_11FillFunctorIaEESt5arrayIPcLm1EEEEviT0_T1_.kd
    .uniform_work_group_size: 1
    .uses_dynamic_stack: false
    .vgpr_count:     13
    .vgpr_spill_count: 0
    .wavefront_size: 64
  - .args:
      - .offset:         0
        .size:           4
        .value_kind:     by_value
      - .offset:         4
        .size:           1
        .value_kind:     by_value
      - .address_space:  global
        .offset:         8
        .size:           8
        .value_kind:     global_buffer
      - .offset:         16
        .size:           1
        .value_kind:     by_value
      - .offset:         17
        .size:           1
        .value_kind:     by_value
      - .offset:         18
        .size:           1
        .value_kind:     by_value
      - .offset:         19
        .size:           1
        .value_kind:     by_value
    .group_segment_fixed_size: 0
    .kernarg_segment_align: 8
    .kernarg_segment_size: 20
    .language:       OpenCL C
    .language_version:
      - 2
      - 0
    .max_flat_workgroup_size: 256
    .name:           _ZN2at6native27unrolled_elementwise_kernelINS0_11FillFunctorIaEESt5arrayIPcLm1EELi4E23TrivialOffsetCalculatorILi0EjES7_ILi1EjENS0_6memory15LoadWithoutCastENSA_16StoreWithoutCastEEEviT_T0_T2_T3_T4_T5_
    .private_segment_fixed_size: 0
    .sgpr_count:     16
    .sgpr_spill_count: 0
    .symbol:         _ZN2at6native27unrolled_elementwise_kernelINS0_11FillFunctorIaEESt5arrayIPcLm1EELi4E23TrivialOffsetCalculatorILi0EjES7_ILi1EjENS0_6memory15LoadWithoutCastENSA_16StoreWithoutCastEEEviT_T0_T2_T3_T4_T5_.kd
    .uniform_work_group_size: 1
    .uses_dynamic_stack: false
    .vgpr_count:     5
    .vgpr_spill_count: 0
    .wavefront_size: 64
  - .args:
      - .offset:         0
        .size:           4
        .value_kind:     by_value
      - .offset:         8
        .size:           280
        .value_kind:     by_value
    .group_segment_fixed_size: 0
    .kernarg_segment_align: 8
    .kernarg_segment_size: 288
    .language:       OpenCL C
    .language_version:
      - 2
      - 0
    .max_flat_workgroup_size: 128
    .name:           _ZN2at6native32elementwise_kernel_manual_unrollILi128ELi8EZNS0_22gpu_kernel_impl_nocastINS0_11FillFunctorIaEEEEvRNS_18TensorIteratorBaseERKT_EUlibE_EEviT1_
    .private_segment_fixed_size: 0
    .sgpr_count:     57
    .sgpr_spill_count: 0
    .symbol:         _ZN2at6native32elementwise_kernel_manual_unrollILi128ELi8EZNS0_22gpu_kernel_impl_nocastINS0_11FillFunctorIaEEEEvRNS_18TensorIteratorBaseERKT_EUlibE_EEviT1_.kd
    .uniform_work_group_size: 1
    .uses_dynamic_stack: false
    .vgpr_count:     16
    .vgpr_spill_count: 0
    .wavefront_size: 64
  - .args:
      - .offset:         0
        .size:           4
        .value_kind:     by_value
      - .offset:         8
        .size:           16
        .value_kind:     by_value
    .group_segment_fixed_size: 0
    .kernarg_segment_align: 8
    .kernarg_segment_size: 24
    .language:       OpenCL C
    .language_version:
      - 2
      - 0
    .max_flat_workgroup_size: 128
    .name:           _ZN2at6native32elementwise_kernel_manual_unrollILi128ELi4EZNS0_15gpu_kernel_implINS0_11FillFunctorIaEEEEvRNS_18TensorIteratorBaseERKT_EUlibE_EEviT1_
    .private_segment_fixed_size: 0
    .sgpr_count:     66
    .sgpr_spill_count: 0
    .symbol:         _ZN2at6native32elementwise_kernel_manual_unrollILi128ELi4EZNS0_15gpu_kernel_implINS0_11FillFunctorIaEEEEvRNS_18TensorIteratorBaseERKT_EUlibE_EEviT1_.kd
    .uniform_work_group_size: 1
    .uses_dynamic_stack: false
    .vgpr_count:     18
    .vgpr_spill_count: 0
    .wavefront_size: 64
  - .args:
      - .offset:         0
        .size:           4
        .value_kind:     by_value
      - .offset:         8
        .size:           280
        .value_kind:     by_value
    .group_segment_fixed_size: 0
    .kernarg_segment_align: 8
    .kernarg_segment_size: 288
    .language:       OpenCL C
    .language_version:
      - 2
      - 0
    .max_flat_workgroup_size: 128
    .name:           _ZN2at6native32elementwise_kernel_manual_unrollILi128ELi4EZNS0_15gpu_kernel_implINS0_11FillFunctorIaEEEEvRNS_18TensorIteratorBaseERKT_EUlibE0_EEviT1_
    .private_segment_fixed_size: 0
    .sgpr_count:     100
    .sgpr_spill_count: 0
    .symbol:         _ZN2at6native32elementwise_kernel_manual_unrollILi128ELi4EZNS0_15gpu_kernel_implINS0_11FillFunctorIaEEEEvRNS_18TensorIteratorBaseERKT_EUlibE0_EEviT1_.kd
    .uniform_work_group_size: 1
    .uses_dynamic_stack: false
    .vgpr_count:     19
    .vgpr_spill_count: 0
    .wavefront_size: 64
  - .args:
      - .offset:         0
        .size:           4
        .value_kind:     by_value
      - .offset:         4
        .size:           4
        .value_kind:     by_value
      - .address_space:  global
        .offset:         8
        .size:           8
        .value_kind:     global_buffer
    .group_segment_fixed_size: 0
    .kernarg_segment_align: 8
    .kernarg_segment_size: 16
    .language:       OpenCL C
    .language_version:
      - 2
      - 0
    .max_flat_workgroup_size: 256
    .name:           _ZN2at6native29vectorized_elementwise_kernelILi16ENS0_11FillFunctorIiEESt5arrayIPcLm1EEEEviT0_T1_
    .private_segment_fixed_size: 0
    .sgpr_count:     13
    .sgpr_spill_count: 0
    .symbol:         _ZN2at6native29vectorized_elementwise_kernelILi16ENS0_11FillFunctorIiEESt5arrayIPcLm1EEEEviT0_T1_.kd
    .uniform_work_group_size: 1
    .uses_dynamic_stack: false
    .vgpr_count:     8
    .vgpr_spill_count: 0
    .wavefront_size: 64
  - .args:
      - .offset:         0
        .size:           4
        .value_kind:     by_value
      - .offset:         4
        .size:           4
        .value_kind:     by_value
      - .address_space:  global
        .offset:         8
        .size:           8
        .value_kind:     global_buffer
    .group_segment_fixed_size: 0
    .kernarg_segment_align: 8
    .kernarg_segment_size: 16
    .language:       OpenCL C
    .language_version:
      - 2
      - 0
    .max_flat_workgroup_size: 256
    .name:           _ZN2at6native29vectorized_elementwise_kernelILi8ENS0_11FillFunctorIiEESt5arrayIPcLm1EEEEviT0_T1_
    .private_segment_fixed_size: 0
    .sgpr_count:     13
    .sgpr_spill_count: 0
    .symbol:         _ZN2at6native29vectorized_elementwise_kernelILi8ENS0_11FillFunctorIiEESt5arrayIPcLm1EEEEviT0_T1_.kd
    .uniform_work_group_size: 1
    .uses_dynamic_stack: false
    .vgpr_count:     8
    .vgpr_spill_count: 0
    .wavefront_size: 64
  - .args:
      - .offset:         0
        .size:           4
        .value_kind:     by_value
      - .offset:         4
        .size:           4
        .value_kind:     by_value
      - .address_space:  global
        .offset:         8
        .size:           8
        .value_kind:     global_buffer
    .group_segment_fixed_size: 0
    .kernarg_segment_align: 8
    .kernarg_segment_size: 16
    .language:       OpenCL C
    .language_version:
      - 2
      - 0
    .max_flat_workgroup_size: 256
    .name:           _ZN2at6native29vectorized_elementwise_kernelILi4ENS0_11FillFunctorIiEESt5arrayIPcLm1EEEEviT0_T1_
    .private_segment_fixed_size: 0
    .sgpr_count:     13
    .sgpr_spill_count: 0
    .symbol:         _ZN2at6native29vectorized_elementwise_kernelILi4ENS0_11FillFunctorIiEESt5arrayIPcLm1EEEEviT0_T1_.kd
    .uniform_work_group_size: 1
    .uses_dynamic_stack: false
    .vgpr_count:     8
    .vgpr_spill_count: 0
    .wavefront_size: 64
  - .args:
      - .offset:         0
        .size:           4
        .value_kind:     by_value
      - .offset:         4
        .size:           4
        .value_kind:     by_value
      - .address_space:  global
        .offset:         8
        .size:           8
        .value_kind:     global_buffer
    .group_segment_fixed_size: 0
    .kernarg_segment_align: 8
    .kernarg_segment_size: 16
    .language:       OpenCL C
    .language_version:
      - 2
      - 0
    .max_flat_workgroup_size: 256
    .name:           _ZN2at6native29vectorized_elementwise_kernelILi2ENS0_11FillFunctorIiEESt5arrayIPcLm1EEEEviT0_T1_
    .private_segment_fixed_size: 0
    .sgpr_count:     13
    .sgpr_spill_count: 0
    .symbol:         _ZN2at6native29vectorized_elementwise_kernelILi2ENS0_11FillFunctorIiEESt5arrayIPcLm1EEEEviT0_T1_.kd
    .uniform_work_group_size: 1
    .uses_dynamic_stack: false
    .vgpr_count:     8
    .vgpr_spill_count: 0
    .wavefront_size: 64
  - .args:
      - .offset:         0
        .size:           4
        .value_kind:     by_value
      - .offset:         4
        .size:           4
        .value_kind:     by_value
      - .address_space:  global
        .offset:         8
        .size:           8
        .value_kind:     global_buffer
      - .offset:         16
        .size:           1
        .value_kind:     by_value
      - .offset:         17
        .size:           1
        .value_kind:     by_value
      - .offset:         18
        .size:           1
        .value_kind:     by_value
      - .offset:         19
        .size:           1
        .value_kind:     by_value
    .group_segment_fixed_size: 0
    .kernarg_segment_align: 8
    .kernarg_segment_size: 20
    .language:       OpenCL C
    .language_version:
      - 2
      - 0
    .max_flat_workgroup_size: 256
    .name:           _ZN2at6native27unrolled_elementwise_kernelINS0_11FillFunctorIiEESt5arrayIPcLm1EELi4E23TrivialOffsetCalculatorILi0EjES7_ILi1EjENS0_6memory15LoadWithoutCastENSA_16StoreWithoutCastEEEviT_T0_T2_T3_T4_T5_
    .private_segment_fixed_size: 0
    .sgpr_count:     11
    .sgpr_spill_count: 0
    .symbol:         _ZN2at6native27unrolled_elementwise_kernelINS0_11FillFunctorIiEESt5arrayIPcLm1EELi4E23TrivialOffsetCalculatorILi0EjES7_ILi1EjENS0_6memory15LoadWithoutCastENSA_16StoreWithoutCastEEEviT_T0_T2_T3_T4_T5_.kd
    .uniform_work_group_size: 1
    .uses_dynamic_stack: false
    .vgpr_count:     8
    .vgpr_spill_count: 0
    .wavefront_size: 64
  - .args:
      - .offset:         0
        .size:           4
        .value_kind:     by_value
      - .offset:         8
        .size:           280
        .value_kind:     by_value
    .group_segment_fixed_size: 0
    .kernarg_segment_align: 8
    .kernarg_segment_size: 288
    .language:       OpenCL C
    .language_version:
      - 2
      - 0
    .max_flat_workgroup_size: 128
    .name:           _ZN2at6native32elementwise_kernel_manual_unrollILi128ELi4EZNS0_22gpu_kernel_impl_nocastINS0_11FillFunctorIiEEEEvRNS_18TensorIteratorBaseERKT_EUlibE_EEviT1_
    .private_segment_fixed_size: 0
    .sgpr_count:     57
    .sgpr_spill_count: 0
    .symbol:         _ZN2at6native32elementwise_kernel_manual_unrollILi128ELi4EZNS0_22gpu_kernel_impl_nocastINS0_11FillFunctorIiEEEEvRNS_18TensorIteratorBaseERKT_EUlibE_EEviT1_.kd
    .uniform_work_group_size: 1
    .uses_dynamic_stack: false
    .vgpr_count:     12
    .vgpr_spill_count: 0
    .wavefront_size: 64
  - .args:
      - .offset:         0
        .size:           4
        .value_kind:     by_value
      - .offset:         8
        .size:           24
        .value_kind:     by_value
    .group_segment_fixed_size: 0
    .kernarg_segment_align: 8
    .kernarg_segment_size: 32
    .language:       OpenCL C
    .language_version:
      - 2
      - 0
    .max_flat_workgroup_size: 128
    .name:           _ZN2at6native32elementwise_kernel_manual_unrollILi128ELi4EZNS0_15gpu_kernel_implINS0_11FillFunctorIiEEEEvRNS_18TensorIteratorBaseERKT_EUlibE_EEviT1_
    .private_segment_fixed_size: 0
    .sgpr_count:     67
    .sgpr_spill_count: 0
    .symbol:         _ZN2at6native32elementwise_kernel_manual_unrollILi128ELi4EZNS0_15gpu_kernel_implINS0_11FillFunctorIiEEEEvRNS_18TensorIteratorBaseERKT_EUlibE_EEviT1_.kd
    .uniform_work_group_size: 1
    .uses_dynamic_stack: false
    .vgpr_count:     16
    .vgpr_spill_count: 0
    .wavefront_size: 64
  - .args:
      - .offset:         0
        .size:           4
        .value_kind:     by_value
      - .offset:         8
        .size:           280
        .value_kind:     by_value
    .group_segment_fixed_size: 0
    .kernarg_segment_align: 8
    .kernarg_segment_size: 288
    .language:       OpenCL C
    .language_version:
      - 2
      - 0
    .max_flat_workgroup_size: 128
    .name:           _ZN2at6native32elementwise_kernel_manual_unrollILi128ELi4EZNS0_15gpu_kernel_implINS0_11FillFunctorIiEEEEvRNS_18TensorIteratorBaseERKT_EUlibE0_EEviT1_
    .private_segment_fixed_size: 0
    .sgpr_count:     100
    .sgpr_spill_count: 0
    .symbol:         _ZN2at6native32elementwise_kernel_manual_unrollILi128ELi4EZNS0_15gpu_kernel_implINS0_11FillFunctorIiEEEEvRNS_18TensorIteratorBaseERKT_EUlibE0_EEviT1_.kd
    .uniform_work_group_size: 1
    .uses_dynamic_stack: false
    .vgpr_count:     19
    .vgpr_spill_count: 0
    .wavefront_size: 64
  - .args:
      - .offset:         0
        .size:           4
        .value_kind:     by_value
      - .offset:         8
        .size:           8
        .value_kind:     by_value
      - .address_space:  global
        .offset:         16
        .size:           8
        .value_kind:     global_buffer
    .group_segment_fixed_size: 0
    .kernarg_segment_align: 8
    .kernarg_segment_size: 24
    .language:       OpenCL C
    .language_version:
      - 2
      - 0
    .max_flat_workgroup_size: 256
    .name:           _ZN2at6native29vectorized_elementwise_kernelILi16ENS0_11FillFunctorIlEESt5arrayIPcLm1EEEEviT0_T1_
    .private_segment_fixed_size: 0
    .sgpr_count:     20
    .sgpr_spill_count: 0
    .symbol:         _ZN2at6native29vectorized_elementwise_kernelILi16ENS0_11FillFunctorIlEESt5arrayIPcLm1EEEEviT0_T1_.kd
    .uniform_work_group_size: 1
    .uses_dynamic_stack: false
    .vgpr_count:     12
    .vgpr_spill_count: 0
    .wavefront_size: 64
  - .args:
      - .offset:         0
        .size:           4
        .value_kind:     by_value
      - .offset:         8
        .size:           8
        .value_kind:     by_value
      - .address_space:  global
        .offset:         16
        .size:           8
        .value_kind:     global_buffer
    .group_segment_fixed_size: 0
    .kernarg_segment_align: 8
    .kernarg_segment_size: 24
    .language:       OpenCL C
    .language_version:
      - 2
      - 0
    .max_flat_workgroup_size: 256
    .name:           _ZN2at6native29vectorized_elementwise_kernelILi8ENS0_11FillFunctorIlEESt5arrayIPcLm1EEEEviT0_T1_
    .private_segment_fixed_size: 0
    .sgpr_count:     20
    .sgpr_spill_count: 0
    .symbol:         _ZN2at6native29vectorized_elementwise_kernelILi8ENS0_11FillFunctorIlEESt5arrayIPcLm1EEEEviT0_T1_.kd
    .uniform_work_group_size: 1
    .uses_dynamic_stack: false
    .vgpr_count:     12
    .vgpr_spill_count: 0
    .wavefront_size: 64
  - .args:
      - .offset:         0
        .size:           4
        .value_kind:     by_value
      - .offset:         8
        .size:           8
        .value_kind:     by_value
      - .address_space:  global
        .offset:         16
        .size:           8
        .value_kind:     global_buffer
    .group_segment_fixed_size: 0
    .kernarg_segment_align: 8
    .kernarg_segment_size: 24
    .language:       OpenCL C
    .language_version:
      - 2
      - 0
    .max_flat_workgroup_size: 256
    .name:           _ZN2at6native29vectorized_elementwise_kernelILi4ENS0_11FillFunctorIlEESt5arrayIPcLm1EEEEviT0_T1_
    .private_segment_fixed_size: 0
    .sgpr_count:     20
    .sgpr_spill_count: 0
    .symbol:         _ZN2at6native29vectorized_elementwise_kernelILi4ENS0_11FillFunctorIlEESt5arrayIPcLm1EEEEviT0_T1_.kd
    .uniform_work_group_size: 1
    .uses_dynamic_stack: false
    .vgpr_count:     12
    .vgpr_spill_count: 0
    .wavefront_size: 64
  - .args:
      - .offset:         0
        .size:           4
        .value_kind:     by_value
      - .offset:         8
        .size:           8
        .value_kind:     by_value
      - .address_space:  global
        .offset:         16
        .size:           8
        .value_kind:     global_buffer
    .group_segment_fixed_size: 0
    .kernarg_segment_align: 8
    .kernarg_segment_size: 24
    .language:       OpenCL C
    .language_version:
      - 2
      - 0
    .max_flat_workgroup_size: 256
    .name:           _ZN2at6native29vectorized_elementwise_kernelILi2ENS0_11FillFunctorIlEESt5arrayIPcLm1EEEEviT0_T1_
    .private_segment_fixed_size: 0
    .sgpr_count:     20
    .sgpr_spill_count: 0
    .symbol:         _ZN2at6native29vectorized_elementwise_kernelILi2ENS0_11FillFunctorIlEESt5arrayIPcLm1EEEEviT0_T1_.kd
    .uniform_work_group_size: 1
    .uses_dynamic_stack: false
    .vgpr_count:     12
    .vgpr_spill_count: 0
    .wavefront_size: 64
  - .args:
      - .offset:         0
        .size:           4
        .value_kind:     by_value
      - .offset:         8
        .size:           8
        .value_kind:     by_value
      - .address_space:  global
        .offset:         16
        .size:           8
        .value_kind:     global_buffer
      - .offset:         24
        .size:           1
        .value_kind:     by_value
      - .offset:         25
        .size:           1
        .value_kind:     by_value
      - .offset:         26
        .size:           1
        .value_kind:     by_value
      - .offset:         27
        .size:           1
        .value_kind:     by_value
    .group_segment_fixed_size: 0
    .kernarg_segment_align: 8
    .kernarg_segment_size: 28
    .language:       OpenCL C
    .language_version:
      - 2
      - 0
    .max_flat_workgroup_size: 256
    .name:           _ZN2at6native27unrolled_elementwise_kernelINS0_11FillFunctorIlEESt5arrayIPcLm1EELi4E23TrivialOffsetCalculatorILi0EjES7_ILi1EjENS0_6memory15LoadWithoutCastENSA_16StoreWithoutCastEEEviT_T0_T2_T3_T4_T5_
    .private_segment_fixed_size: 0
    .sgpr_count:     12
    .sgpr_spill_count: 0
    .symbol:         _ZN2at6native27unrolled_elementwise_kernelINS0_11FillFunctorIlEESt5arrayIPcLm1EELi4E23TrivialOffsetCalculatorILi0EjES7_ILi1EjENS0_6memory15LoadWithoutCastENSA_16StoreWithoutCastEEEviT_T0_T2_T3_T4_T5_.kd
    .uniform_work_group_size: 1
    .uses_dynamic_stack: false
    .vgpr_count:     12
    .vgpr_spill_count: 0
    .wavefront_size: 64
  - .args:
      - .offset:         0
        .size:           4
        .value_kind:     by_value
      - .offset:         8
        .size:           280
        .value_kind:     by_value
    .group_segment_fixed_size: 0
    .kernarg_segment_align: 8
    .kernarg_segment_size: 288
    .language:       OpenCL C
    .language_version:
      - 2
      - 0
    .max_flat_workgroup_size: 128
    .name:           _ZN2at6native32elementwise_kernel_manual_unrollILi128ELi4EZNS0_22gpu_kernel_impl_nocastINS0_11FillFunctorIlEEEEvRNS_18TensorIteratorBaseERKT_EUlibE_EEviT1_
    .private_segment_fixed_size: 0
    .sgpr_count:     58
    .sgpr_spill_count: 0
    .symbol:         _ZN2at6native32elementwise_kernel_manual_unrollILi128ELi4EZNS0_22gpu_kernel_impl_nocastINS0_11FillFunctorIlEEEEvRNS_18TensorIteratorBaseERKT_EUlibE_EEviT1_.kd
    .uniform_work_group_size: 1
    .uses_dynamic_stack: false
    .vgpr_count:     12
    .vgpr_spill_count: 0
    .wavefront_size: 64
  - .args:
      - .offset:         0
        .size:           4
        .value_kind:     by_value
      - .offset:         8
        .size:           32
        .value_kind:     by_value
    .group_segment_fixed_size: 0
    .kernarg_segment_align: 8
    .kernarg_segment_size: 40
    .language:       OpenCL C
    .language_version:
      - 2
      - 0
    .max_flat_workgroup_size: 128
    .name:           _ZN2at6native32elementwise_kernel_manual_unrollILi128ELi4EZNS0_15gpu_kernel_implINS0_11FillFunctorIlEEEEvRNS_18TensorIteratorBaseERKT_EUlibE_EEviT1_
    .private_segment_fixed_size: 0
    .sgpr_count:     66
    .sgpr_spill_count: 0
    .symbol:         _ZN2at6native32elementwise_kernel_manual_unrollILi128ELi4EZNS0_15gpu_kernel_implINS0_11FillFunctorIlEEEEvRNS_18TensorIteratorBaseERKT_EUlibE_EEviT1_.kd
    .uniform_work_group_size: 1
    .uses_dynamic_stack: false
    .vgpr_count:     16
    .vgpr_spill_count: 0
    .wavefront_size: 64
  - .args:
      - .offset:         0
        .size:           4
        .value_kind:     by_value
      - .offset:         8
        .size:           288
        .value_kind:     by_value
    .group_segment_fixed_size: 0
    .kernarg_segment_align: 8
    .kernarg_segment_size: 296
    .language:       OpenCL C
    .language_version:
      - 2
      - 0
    .max_flat_workgroup_size: 128
    .name:           _ZN2at6native32elementwise_kernel_manual_unrollILi128ELi4EZNS0_15gpu_kernel_implINS0_11FillFunctorIlEEEEvRNS_18TensorIteratorBaseERKT_EUlibE0_EEviT1_
    .private_segment_fixed_size: 0
    .sgpr_count:     99
    .sgpr_spill_count: 0
    .symbol:         _ZN2at6native32elementwise_kernel_manual_unrollILi128ELi4EZNS0_15gpu_kernel_implINS0_11FillFunctorIlEEEEvRNS_18TensorIteratorBaseERKT_EUlibE0_EEviT1_.kd
    .uniform_work_group_size: 1
    .uses_dynamic_stack: false
    .vgpr_count:     19
    .vgpr_spill_count: 0
    .wavefront_size: 64
  - .args:
      - .offset:         0
        .size:           4
        .value_kind:     by_value
      - .offset:         4
        .size:           2
        .value_kind:     by_value
      - .address_space:  global
        .offset:         8
        .size:           8
        .value_kind:     global_buffer
    .group_segment_fixed_size: 0
    .kernarg_segment_align: 8
    .kernarg_segment_size: 16
    .language:       OpenCL C
    .language_version:
      - 2
      - 0
    .max_flat_workgroup_size: 256
    .name:           _ZN2at6native29vectorized_elementwise_kernelILi16ENS0_11FillFunctorIsEESt5arrayIPcLm1EEEEviT0_T1_
    .private_segment_fixed_size: 0
    .sgpr_count:     16
    .sgpr_spill_count: 0
    .symbol:         _ZN2at6native29vectorized_elementwise_kernelILi16ENS0_11FillFunctorIsEESt5arrayIPcLm1EEEEviT0_T1_.kd
    .uniform_work_group_size: 1
    .uses_dynamic_stack: false
    .vgpr_count:     9
    .vgpr_spill_count: 0
    .wavefront_size: 64
  - .args:
      - .offset:         0
        .size:           4
        .value_kind:     by_value
      - .offset:         4
        .size:           2
        .value_kind:     by_value
      - .address_space:  global
        .offset:         8
        .size:           8
        .value_kind:     global_buffer
    .group_segment_fixed_size: 0
    .kernarg_segment_align: 8
    .kernarg_segment_size: 16
    .language:       OpenCL C
    .language_version:
      - 2
      - 0
    .max_flat_workgroup_size: 256
    .name:           _ZN2at6native29vectorized_elementwise_kernelILi8ENS0_11FillFunctorIsEESt5arrayIPcLm1EEEEviT0_T1_
    .private_segment_fixed_size: 0
    .sgpr_count:     16
    .sgpr_spill_count: 0
    .symbol:         _ZN2at6native29vectorized_elementwise_kernelILi8ENS0_11FillFunctorIsEESt5arrayIPcLm1EEEEviT0_T1_.kd
    .uniform_work_group_size: 1
    .uses_dynamic_stack: false
    .vgpr_count:     9
    .vgpr_spill_count: 0
    .wavefront_size: 64
  - .args:
      - .offset:         0
        .size:           4
        .value_kind:     by_value
      - .offset:         4
        .size:           2
        .value_kind:     by_value
      - .address_space:  global
        .offset:         8
        .size:           8
        .value_kind:     global_buffer
    .group_segment_fixed_size: 0
    .kernarg_segment_align: 8
    .kernarg_segment_size: 16
    .language:       OpenCL C
    .language_version:
      - 2
      - 0
    .max_flat_workgroup_size: 256
    .name:           _ZN2at6native29vectorized_elementwise_kernelILi4ENS0_11FillFunctorIsEESt5arrayIPcLm1EEEEviT0_T1_
    .private_segment_fixed_size: 0
    .sgpr_count:     16
    .sgpr_spill_count: 0
    .symbol:         _ZN2at6native29vectorized_elementwise_kernelILi4ENS0_11FillFunctorIsEESt5arrayIPcLm1EEEEviT0_T1_.kd
    .uniform_work_group_size: 1
    .uses_dynamic_stack: false
    .vgpr_count:     9
    .vgpr_spill_count: 0
    .wavefront_size: 64
  - .args:
      - .offset:         0
        .size:           4
        .value_kind:     by_value
      - .offset:         4
        .size:           2
        .value_kind:     by_value
      - .address_space:  global
        .offset:         8
        .size:           8
        .value_kind:     global_buffer
    .group_segment_fixed_size: 0
    .kernarg_segment_align: 8
    .kernarg_segment_size: 16
    .language:       OpenCL C
    .language_version:
      - 2
      - 0
    .max_flat_workgroup_size: 256
    .name:           _ZN2at6native29vectorized_elementwise_kernelILi2ENS0_11FillFunctorIsEESt5arrayIPcLm1EEEEviT0_T1_
    .private_segment_fixed_size: 0
    .sgpr_count:     16
    .sgpr_spill_count: 0
    .symbol:         _ZN2at6native29vectorized_elementwise_kernelILi2ENS0_11FillFunctorIsEESt5arrayIPcLm1EEEEviT0_T1_.kd
    .uniform_work_group_size: 1
    .uses_dynamic_stack: false
    .vgpr_count:     9
    .vgpr_spill_count: 0
    .wavefront_size: 64
  - .args:
      - .offset:         0
        .size:           4
        .value_kind:     by_value
      - .offset:         4
        .size:           2
        .value_kind:     by_value
      - .address_space:  global
        .offset:         8
        .size:           8
        .value_kind:     global_buffer
      - .offset:         16
        .size:           1
        .value_kind:     by_value
      - .offset:         17
        .size:           1
        .value_kind:     by_value
      - .offset:         18
        .size:           1
        .value_kind:     by_value
      - .offset:         19
        .size:           1
        .value_kind:     by_value
    .group_segment_fixed_size: 0
    .kernarg_segment_align: 8
    .kernarg_segment_size: 20
    .language:       OpenCL C
    .language_version:
      - 2
      - 0
    .max_flat_workgroup_size: 256
    .name:           _ZN2at6native27unrolled_elementwise_kernelINS0_11FillFunctorIsEESt5arrayIPcLm1EELi4E23TrivialOffsetCalculatorILi0EjES7_ILi1EjENS0_6memory15LoadWithoutCastENSA_16StoreWithoutCastEEEviT_T0_T2_T3_T4_T5_
    .private_segment_fixed_size: 0
    .sgpr_count:     16
    .sgpr_spill_count: 0
    .symbol:         _ZN2at6native27unrolled_elementwise_kernelINS0_11FillFunctorIsEESt5arrayIPcLm1EELi4E23TrivialOffsetCalculatorILi0EjES7_ILi1EjENS0_6memory15LoadWithoutCastENSA_16StoreWithoutCastEEEviT_T0_T2_T3_T4_T5_.kd
    .uniform_work_group_size: 1
    .uses_dynamic_stack: false
    .vgpr_count:     6
    .vgpr_spill_count: 0
    .wavefront_size: 64
  - .args:
      - .offset:         0
        .size:           4
        .value_kind:     by_value
      - .offset:         8
        .size:           280
        .value_kind:     by_value
    .group_segment_fixed_size: 0
    .kernarg_segment_align: 8
    .kernarg_segment_size: 288
    .language:       OpenCL C
    .language_version:
      - 2
      - 0
    .max_flat_workgroup_size: 128
    .name:           _ZN2at6native32elementwise_kernel_manual_unrollILi128ELi8EZNS0_22gpu_kernel_impl_nocastINS0_11FillFunctorIsEEEEvRNS_18TensorIteratorBaseERKT_EUlibE_EEviT1_
    .private_segment_fixed_size: 0
    .sgpr_count:     57
    .sgpr_spill_count: 0
    .symbol:         _ZN2at6native32elementwise_kernel_manual_unrollILi128ELi8EZNS0_22gpu_kernel_impl_nocastINS0_11FillFunctorIsEEEEvRNS_18TensorIteratorBaseERKT_EUlibE_EEviT1_.kd
    .uniform_work_group_size: 1
    .uses_dynamic_stack: false
    .vgpr_count:     16
    .vgpr_spill_count: 0
    .wavefront_size: 64
  - .args:
      - .offset:         0
        .size:           4
        .value_kind:     by_value
      - .offset:         8
        .size:           16
        .value_kind:     by_value
    .group_segment_fixed_size: 0
    .kernarg_segment_align: 8
    .kernarg_segment_size: 24
    .language:       OpenCL C
    .language_version:
      - 2
      - 0
    .max_flat_workgroup_size: 128
    .name:           _ZN2at6native32elementwise_kernel_manual_unrollILi128ELi4EZNS0_15gpu_kernel_implINS0_11FillFunctorIsEEEEvRNS_18TensorIteratorBaseERKT_EUlibE_EEviT1_
    .private_segment_fixed_size: 0
    .sgpr_count:     67
    .sgpr_spill_count: 0
    .symbol:         _ZN2at6native32elementwise_kernel_manual_unrollILi128ELi4EZNS0_15gpu_kernel_implINS0_11FillFunctorIsEEEEvRNS_18TensorIteratorBaseERKT_EUlibE_EEviT1_.kd
    .uniform_work_group_size: 1
    .uses_dynamic_stack: false
    .vgpr_count:     16
    .vgpr_spill_count: 0
    .wavefront_size: 64
  - .args:
      - .offset:         0
        .size:           4
        .value_kind:     by_value
      - .offset:         8
        .size:           280
        .value_kind:     by_value
    .group_segment_fixed_size: 0
    .kernarg_segment_align: 8
    .kernarg_segment_size: 288
    .language:       OpenCL C
    .language_version:
      - 2
      - 0
    .max_flat_workgroup_size: 128
    .name:           _ZN2at6native32elementwise_kernel_manual_unrollILi128ELi4EZNS0_15gpu_kernel_implINS0_11FillFunctorIsEEEEvRNS_18TensorIteratorBaseERKT_EUlibE0_EEviT1_
    .private_segment_fixed_size: 0
    .sgpr_count:     100
    .sgpr_spill_count: 0
    .symbol:         _ZN2at6native32elementwise_kernel_manual_unrollILi128ELi4EZNS0_15gpu_kernel_implINS0_11FillFunctorIsEEEEvRNS_18TensorIteratorBaseERKT_EUlibE0_EEviT1_.kd
    .uniform_work_group_size: 1
    .uses_dynamic_stack: false
    .vgpr_count:     19
    .vgpr_spill_count: 0
    .wavefront_size: 64
  - .args:
      - .offset:         0
        .size:           4
        .value_kind:     by_value
      - .offset:         8
        .size:           8
        .value_kind:     by_value
      - .address_space:  global
        .offset:         16
        .size:           8
        .value_kind:     global_buffer
    .group_segment_fixed_size: 0
    .kernarg_segment_align: 8
    .kernarg_segment_size: 24
    .language:       OpenCL C
    .language_version:
      - 2
      - 0
    .max_flat_workgroup_size: 256
    .name:           _ZN2at6native29vectorized_elementwise_kernelILi16ENS0_11FillFunctorIdEESt5arrayIPcLm1EEEEviT0_T1_
    .private_segment_fixed_size: 0
    .sgpr_count:     20
    .sgpr_spill_count: 0
    .symbol:         _ZN2at6native29vectorized_elementwise_kernelILi16ENS0_11FillFunctorIdEESt5arrayIPcLm1EEEEviT0_T1_.kd
    .uniform_work_group_size: 1
    .uses_dynamic_stack: false
    .vgpr_count:     12
    .vgpr_spill_count: 0
    .wavefront_size: 64
  - .args:
      - .offset:         0
        .size:           4
        .value_kind:     by_value
      - .offset:         8
        .size:           8
        .value_kind:     by_value
      - .address_space:  global
        .offset:         16
        .size:           8
        .value_kind:     global_buffer
    .group_segment_fixed_size: 0
    .kernarg_segment_align: 8
    .kernarg_segment_size: 24
    .language:       OpenCL C
    .language_version:
      - 2
      - 0
    .max_flat_workgroup_size: 256
    .name:           _ZN2at6native29vectorized_elementwise_kernelILi8ENS0_11FillFunctorIdEESt5arrayIPcLm1EEEEviT0_T1_
    .private_segment_fixed_size: 0
    .sgpr_count:     20
    .sgpr_spill_count: 0
    .symbol:         _ZN2at6native29vectorized_elementwise_kernelILi8ENS0_11FillFunctorIdEESt5arrayIPcLm1EEEEviT0_T1_.kd
    .uniform_work_group_size: 1
    .uses_dynamic_stack: false
    .vgpr_count:     12
    .vgpr_spill_count: 0
    .wavefront_size: 64
  - .args:
      - .offset:         0
        .size:           4
        .value_kind:     by_value
      - .offset:         8
        .size:           8
        .value_kind:     by_value
      - .address_space:  global
        .offset:         16
        .size:           8
        .value_kind:     global_buffer
    .group_segment_fixed_size: 0
    .kernarg_segment_align: 8
    .kernarg_segment_size: 24
    .language:       OpenCL C
    .language_version:
      - 2
      - 0
    .max_flat_workgroup_size: 256
    .name:           _ZN2at6native29vectorized_elementwise_kernelILi4ENS0_11FillFunctorIdEESt5arrayIPcLm1EEEEviT0_T1_
    .private_segment_fixed_size: 0
    .sgpr_count:     20
    .sgpr_spill_count: 0
    .symbol:         _ZN2at6native29vectorized_elementwise_kernelILi4ENS0_11FillFunctorIdEESt5arrayIPcLm1EEEEviT0_T1_.kd
    .uniform_work_group_size: 1
    .uses_dynamic_stack: false
    .vgpr_count:     12
    .vgpr_spill_count: 0
    .wavefront_size: 64
  - .args:
      - .offset:         0
        .size:           4
        .value_kind:     by_value
      - .offset:         8
        .size:           8
        .value_kind:     by_value
      - .address_space:  global
        .offset:         16
        .size:           8
        .value_kind:     global_buffer
    .group_segment_fixed_size: 0
    .kernarg_segment_align: 8
    .kernarg_segment_size: 24
    .language:       OpenCL C
    .language_version:
      - 2
      - 0
    .max_flat_workgroup_size: 256
    .name:           _ZN2at6native29vectorized_elementwise_kernelILi2ENS0_11FillFunctorIdEESt5arrayIPcLm1EEEEviT0_T1_
    .private_segment_fixed_size: 0
    .sgpr_count:     20
    .sgpr_spill_count: 0
    .symbol:         _ZN2at6native29vectorized_elementwise_kernelILi2ENS0_11FillFunctorIdEESt5arrayIPcLm1EEEEviT0_T1_.kd
    .uniform_work_group_size: 1
    .uses_dynamic_stack: false
    .vgpr_count:     12
    .vgpr_spill_count: 0
    .wavefront_size: 64
  - .args:
      - .offset:         0
        .size:           4
        .value_kind:     by_value
      - .offset:         8
        .size:           8
        .value_kind:     by_value
      - .address_space:  global
        .offset:         16
        .size:           8
        .value_kind:     global_buffer
      - .offset:         24
        .size:           1
        .value_kind:     by_value
      - .offset:         25
        .size:           1
        .value_kind:     by_value
      - .offset:         26
        .size:           1
        .value_kind:     by_value
      - .offset:         27
        .size:           1
        .value_kind:     by_value
    .group_segment_fixed_size: 0
    .kernarg_segment_align: 8
    .kernarg_segment_size: 28
    .language:       OpenCL C
    .language_version:
      - 2
      - 0
    .max_flat_workgroup_size: 256
    .name:           _ZN2at6native27unrolled_elementwise_kernelINS0_11FillFunctorIdEESt5arrayIPcLm1EELi4E23TrivialOffsetCalculatorILi0EjES7_ILi1EjENS0_6memory15LoadWithoutCastENSA_16StoreWithoutCastEEEviT_T0_T2_T3_T4_T5_
    .private_segment_fixed_size: 0
    .sgpr_count:     12
    .sgpr_spill_count: 0
    .symbol:         _ZN2at6native27unrolled_elementwise_kernelINS0_11FillFunctorIdEESt5arrayIPcLm1EELi4E23TrivialOffsetCalculatorILi0EjES7_ILi1EjENS0_6memory15LoadWithoutCastENSA_16StoreWithoutCastEEEviT_T0_T2_T3_T4_T5_.kd
    .uniform_work_group_size: 1
    .uses_dynamic_stack: false
    .vgpr_count:     12
    .vgpr_spill_count: 0
    .wavefront_size: 64
  - .args:
      - .offset:         0
        .size:           4
        .value_kind:     by_value
      - .offset:         8
        .size:           280
        .value_kind:     by_value
    .group_segment_fixed_size: 0
    .kernarg_segment_align: 8
    .kernarg_segment_size: 288
    .language:       OpenCL C
    .language_version:
      - 2
      - 0
    .max_flat_workgroup_size: 128
    .name:           _ZN2at6native32elementwise_kernel_manual_unrollILi128ELi4EZNS0_22gpu_kernel_impl_nocastINS0_11FillFunctorIdEEEEvRNS_18TensorIteratorBaseERKT_EUlibE_EEviT1_
    .private_segment_fixed_size: 0
    .sgpr_count:     58
    .sgpr_spill_count: 0
    .symbol:         _ZN2at6native32elementwise_kernel_manual_unrollILi128ELi4EZNS0_22gpu_kernel_impl_nocastINS0_11FillFunctorIdEEEEvRNS_18TensorIteratorBaseERKT_EUlibE_EEviT1_.kd
    .uniform_work_group_size: 1
    .uses_dynamic_stack: false
    .vgpr_count:     12
    .vgpr_spill_count: 0
    .wavefront_size: 64
  - .args:
      - .offset:         0
        .size:           4
        .value_kind:     by_value
      - .offset:         8
        .size:           32
        .value_kind:     by_value
    .group_segment_fixed_size: 0
    .kernarg_segment_align: 8
    .kernarg_segment_size: 40
    .language:       OpenCL C
    .language_version:
      - 2
      - 0
    .max_flat_workgroup_size: 128
    .name:           _ZN2at6native32elementwise_kernel_manual_unrollILi128ELi4EZNS0_15gpu_kernel_implINS0_11FillFunctorIdEEEEvRNS_18TensorIteratorBaseERKT_EUlibE_EEviT1_
    .private_segment_fixed_size: 0
    .sgpr_count:     68
    .sgpr_spill_count: 0
    .symbol:         _ZN2at6native32elementwise_kernel_manual_unrollILi128ELi4EZNS0_15gpu_kernel_implINS0_11FillFunctorIdEEEEvRNS_18TensorIteratorBaseERKT_EUlibE_EEviT1_.kd
    .uniform_work_group_size: 1
    .uses_dynamic_stack: false
    .vgpr_count:     21
    .vgpr_spill_count: 0
    .wavefront_size: 64
  - .args:
      - .offset:         0
        .size:           4
        .value_kind:     by_value
      - .offset:         8
        .size:           288
        .value_kind:     by_value
    .group_segment_fixed_size: 0
    .kernarg_segment_align: 8
    .kernarg_segment_size: 296
    .language:       OpenCL C
    .language_version:
      - 2
      - 0
    .max_flat_workgroup_size: 128
    .name:           _ZN2at6native32elementwise_kernel_manual_unrollILi128ELi4EZNS0_15gpu_kernel_implINS0_11FillFunctorIdEEEEvRNS_18TensorIteratorBaseERKT_EUlibE0_EEviT1_
    .private_segment_fixed_size: 0
    .sgpr_count:     100
    .sgpr_spill_count: 0
    .symbol:         _ZN2at6native32elementwise_kernel_manual_unrollILi128ELi4EZNS0_15gpu_kernel_implINS0_11FillFunctorIdEEEEvRNS_18TensorIteratorBaseERKT_EUlibE0_EEviT1_.kd
    .uniform_work_group_size: 1
    .uses_dynamic_stack: false
    .vgpr_count:     22
    .vgpr_spill_count: 0
    .wavefront_size: 64
  - .args:
      - .offset:         0
        .size:           4
        .value_kind:     by_value
      - .offset:         4
        .size:           4
        .value_kind:     by_value
      - .address_space:  global
        .offset:         8
        .size:           8
        .value_kind:     global_buffer
    .group_segment_fixed_size: 0
    .kernarg_segment_align: 8
    .kernarg_segment_size: 16
    .language:       OpenCL C
    .language_version:
      - 2
      - 0
    .max_flat_workgroup_size: 256
    .name:           _ZN2at6native29vectorized_elementwise_kernelILi16ENS0_11FillFunctorIfEESt5arrayIPcLm1EEEEviT0_T1_
    .private_segment_fixed_size: 0
    .sgpr_count:     13
    .sgpr_spill_count: 0
    .symbol:         _ZN2at6native29vectorized_elementwise_kernelILi16ENS0_11FillFunctorIfEESt5arrayIPcLm1EEEEviT0_T1_.kd
    .uniform_work_group_size: 1
    .uses_dynamic_stack: false
    .vgpr_count:     8
    .vgpr_spill_count: 0
    .wavefront_size: 64
  - .args:
      - .offset:         0
        .size:           4
        .value_kind:     by_value
      - .offset:         4
        .size:           4
        .value_kind:     by_value
      - .address_space:  global
        .offset:         8
        .size:           8
        .value_kind:     global_buffer
    .group_segment_fixed_size: 0
    .kernarg_segment_align: 8
    .kernarg_segment_size: 16
    .language:       OpenCL C
    .language_version:
      - 2
      - 0
    .max_flat_workgroup_size: 256
    .name:           _ZN2at6native29vectorized_elementwise_kernelILi8ENS0_11FillFunctorIfEESt5arrayIPcLm1EEEEviT0_T1_
    .private_segment_fixed_size: 0
    .sgpr_count:     13
    .sgpr_spill_count: 0
    .symbol:         _ZN2at6native29vectorized_elementwise_kernelILi8ENS0_11FillFunctorIfEESt5arrayIPcLm1EEEEviT0_T1_.kd
    .uniform_work_group_size: 1
    .uses_dynamic_stack: false
    .vgpr_count:     8
    .vgpr_spill_count: 0
    .wavefront_size: 64
  - .args:
      - .offset:         0
        .size:           4
        .value_kind:     by_value
      - .offset:         4
        .size:           4
        .value_kind:     by_value
      - .address_space:  global
        .offset:         8
        .size:           8
        .value_kind:     global_buffer
    .group_segment_fixed_size: 0
    .kernarg_segment_align: 8
    .kernarg_segment_size: 16
    .language:       OpenCL C
    .language_version:
      - 2
      - 0
    .max_flat_workgroup_size: 256
    .name:           _ZN2at6native29vectorized_elementwise_kernelILi4ENS0_11FillFunctorIfEESt5arrayIPcLm1EEEEviT0_T1_
    .private_segment_fixed_size: 0
    .sgpr_count:     13
    .sgpr_spill_count: 0
    .symbol:         _ZN2at6native29vectorized_elementwise_kernelILi4ENS0_11FillFunctorIfEESt5arrayIPcLm1EEEEviT0_T1_.kd
    .uniform_work_group_size: 1
    .uses_dynamic_stack: false
    .vgpr_count:     8
    .vgpr_spill_count: 0
    .wavefront_size: 64
  - .args:
      - .offset:         0
        .size:           4
        .value_kind:     by_value
      - .offset:         4
        .size:           4
        .value_kind:     by_value
      - .address_space:  global
        .offset:         8
        .size:           8
        .value_kind:     global_buffer
    .group_segment_fixed_size: 0
    .kernarg_segment_align: 8
    .kernarg_segment_size: 16
    .language:       OpenCL C
    .language_version:
      - 2
      - 0
    .max_flat_workgroup_size: 256
    .name:           _ZN2at6native29vectorized_elementwise_kernelILi2ENS0_11FillFunctorIfEESt5arrayIPcLm1EEEEviT0_T1_
    .private_segment_fixed_size: 0
    .sgpr_count:     13
    .sgpr_spill_count: 0
    .symbol:         _ZN2at6native29vectorized_elementwise_kernelILi2ENS0_11FillFunctorIfEESt5arrayIPcLm1EEEEviT0_T1_.kd
    .uniform_work_group_size: 1
    .uses_dynamic_stack: false
    .vgpr_count:     8
    .vgpr_spill_count: 0
    .wavefront_size: 64
  - .args:
      - .offset:         0
        .size:           4
        .value_kind:     by_value
      - .offset:         4
        .size:           4
        .value_kind:     by_value
      - .address_space:  global
        .offset:         8
        .size:           8
        .value_kind:     global_buffer
      - .offset:         16
        .size:           1
        .value_kind:     by_value
      - .offset:         17
        .size:           1
        .value_kind:     by_value
      - .offset:         18
        .size:           1
        .value_kind:     by_value
      - .offset:         19
        .size:           1
        .value_kind:     by_value
    .group_segment_fixed_size: 0
    .kernarg_segment_align: 8
    .kernarg_segment_size: 20
    .language:       OpenCL C
    .language_version:
      - 2
      - 0
    .max_flat_workgroup_size: 256
    .name:           _ZN2at6native27unrolled_elementwise_kernelINS0_11FillFunctorIfEESt5arrayIPcLm1EELi4E23TrivialOffsetCalculatorILi0EjES7_ILi1EjENS0_6memory15LoadWithoutCastENSA_16StoreWithoutCastEEEviT_T0_T2_T3_T4_T5_
    .private_segment_fixed_size: 0
    .sgpr_count:     11
    .sgpr_spill_count: 0
    .symbol:         _ZN2at6native27unrolled_elementwise_kernelINS0_11FillFunctorIfEESt5arrayIPcLm1EELi4E23TrivialOffsetCalculatorILi0EjES7_ILi1EjENS0_6memory15LoadWithoutCastENSA_16StoreWithoutCastEEEviT_T0_T2_T3_T4_T5_.kd
    .uniform_work_group_size: 1
    .uses_dynamic_stack: false
    .vgpr_count:     8
    .vgpr_spill_count: 0
    .wavefront_size: 64
  - .args:
      - .offset:         0
        .size:           4
        .value_kind:     by_value
      - .offset:         8
        .size:           280
        .value_kind:     by_value
    .group_segment_fixed_size: 0
    .kernarg_segment_align: 8
    .kernarg_segment_size: 288
    .language:       OpenCL C
    .language_version:
      - 2
      - 0
    .max_flat_workgroup_size: 128
    .name:           _ZN2at6native32elementwise_kernel_manual_unrollILi128ELi4EZNS0_22gpu_kernel_impl_nocastINS0_11FillFunctorIfEEEEvRNS_18TensorIteratorBaseERKT_EUlibE_EEviT1_
    .private_segment_fixed_size: 0
    .sgpr_count:     57
    .sgpr_spill_count: 0
    .symbol:         _ZN2at6native32elementwise_kernel_manual_unrollILi128ELi4EZNS0_22gpu_kernel_impl_nocastINS0_11FillFunctorIfEEEEvRNS_18TensorIteratorBaseERKT_EUlibE_EEviT1_.kd
    .uniform_work_group_size: 1
    .uses_dynamic_stack: false
    .vgpr_count:     12
    .vgpr_spill_count: 0
    .wavefront_size: 64
  - .args:
      - .offset:         0
        .size:           4
        .value_kind:     by_value
      - .offset:         8
        .size:           24
        .value_kind:     by_value
    .group_segment_fixed_size: 0
    .kernarg_segment_align: 8
    .kernarg_segment_size: 32
    .language:       OpenCL C
    .language_version:
      - 2
      - 0
    .max_flat_workgroup_size: 128
    .name:           _ZN2at6native32elementwise_kernel_manual_unrollILi128ELi4EZNS0_15gpu_kernel_implINS0_11FillFunctorIfEEEEvRNS_18TensorIteratorBaseERKT_EUlibE_EEviT1_
    .private_segment_fixed_size: 0
    .sgpr_count:     69
    .sgpr_spill_count: 0
    .symbol:         _ZN2at6native32elementwise_kernel_manual_unrollILi128ELi4EZNS0_15gpu_kernel_implINS0_11FillFunctorIfEEEEvRNS_18TensorIteratorBaseERKT_EUlibE_EEviT1_.kd
    .uniform_work_group_size: 1
    .uses_dynamic_stack: false
    .vgpr_count:     16
    .vgpr_spill_count: 0
    .wavefront_size: 64
  - .args:
      - .offset:         0
        .size:           4
        .value_kind:     by_value
      - .offset:         8
        .size:           280
        .value_kind:     by_value
    .group_segment_fixed_size: 0
    .kernarg_segment_align: 8
    .kernarg_segment_size: 288
    .language:       OpenCL C
    .language_version:
      - 2
      - 0
    .max_flat_workgroup_size: 128
    .name:           _ZN2at6native32elementwise_kernel_manual_unrollILi128ELi4EZNS0_15gpu_kernel_implINS0_11FillFunctorIfEEEEvRNS_18TensorIteratorBaseERKT_EUlibE0_EEviT1_
    .private_segment_fixed_size: 0
    .sgpr_count:     100
    .sgpr_spill_count: 0
    .symbol:         _ZN2at6native32elementwise_kernel_manual_unrollILi128ELi4EZNS0_15gpu_kernel_implINS0_11FillFunctorIfEEEEvRNS_18TensorIteratorBaseERKT_EUlibE0_EEviT1_.kd
    .uniform_work_group_size: 1
    .uses_dynamic_stack: false
    .vgpr_count:     20
    .vgpr_spill_count: 0
    .wavefront_size: 64
  - .args:
      - .offset:         0
        .size:           4
        .value_kind:     by_value
      - .offset:         16
        .size:           16
        .value_kind:     by_value
      - .address_space:  global
        .offset:         32
        .size:           8
        .value_kind:     global_buffer
    .group_segment_fixed_size: 0
    .kernarg_segment_align: 16
    .kernarg_segment_size: 40
    .language:       OpenCL C
    .language_version:
      - 2
      - 0
    .max_flat_workgroup_size: 256
    .name:           _ZN2at6native29vectorized_elementwise_kernelILi16ENS0_11FillFunctorIN3c107complexIdEEEESt5arrayIPcLm1EEEEviT0_T1_
    .private_segment_fixed_size: 0
    .sgpr_count:     15
    .sgpr_spill_count: 0
    .symbol:         _ZN2at6native29vectorized_elementwise_kernelILi16ENS0_11FillFunctorIN3c107complexIdEEEESt5arrayIPcLm1EEEEviT0_T1_.kd
    .uniform_work_group_size: 1
    .uses_dynamic_stack: false
    .vgpr_count:     9
    .vgpr_spill_count: 0
    .wavefront_size: 64
  - .args:
      - .offset:         0
        .size:           4
        .value_kind:     by_value
      - .offset:         16
        .size:           16
        .value_kind:     by_value
      - .address_space:  global
        .offset:         32
        .size:           8
        .value_kind:     global_buffer
    .group_segment_fixed_size: 0
    .kernarg_segment_align: 16
    .kernarg_segment_size: 40
    .language:       OpenCL C
    .language_version:
      - 2
      - 0
    .max_flat_workgroup_size: 256
    .name:           _ZN2at6native29vectorized_elementwise_kernelILi8ENS0_11FillFunctorIN3c107complexIdEEEESt5arrayIPcLm1EEEEviT0_T1_
    .private_segment_fixed_size: 0
    .sgpr_count:     15
    .sgpr_spill_count: 0
    .symbol:         _ZN2at6native29vectorized_elementwise_kernelILi8ENS0_11FillFunctorIN3c107complexIdEEEESt5arrayIPcLm1EEEEviT0_T1_.kd
    .uniform_work_group_size: 1
    .uses_dynamic_stack: false
    .vgpr_count:     9
    .vgpr_spill_count: 0
    .wavefront_size: 64
  - .args:
      - .offset:         0
        .size:           4
        .value_kind:     by_value
      - .offset:         16
        .size:           16
        .value_kind:     by_value
      - .address_space:  global
        .offset:         32
        .size:           8
        .value_kind:     global_buffer
    .group_segment_fixed_size: 0
    .kernarg_segment_align: 16
    .kernarg_segment_size: 40
    .language:       OpenCL C
    .language_version:
      - 2
      - 0
    .max_flat_workgroup_size: 256
    .name:           _ZN2at6native29vectorized_elementwise_kernelILi4ENS0_11FillFunctorIN3c107complexIdEEEESt5arrayIPcLm1EEEEviT0_T1_
    .private_segment_fixed_size: 0
    .sgpr_count:     15
    .sgpr_spill_count: 0
    .symbol:         _ZN2at6native29vectorized_elementwise_kernelILi4ENS0_11FillFunctorIN3c107complexIdEEEESt5arrayIPcLm1EEEEviT0_T1_.kd
    .uniform_work_group_size: 1
    .uses_dynamic_stack: false
    .vgpr_count:     9
    .vgpr_spill_count: 0
    .wavefront_size: 64
  - .args:
      - .offset:         0
        .size:           4
        .value_kind:     by_value
      - .offset:         16
        .size:           16
        .value_kind:     by_value
      - .address_space:  global
        .offset:         32
        .size:           8
        .value_kind:     global_buffer
    .group_segment_fixed_size: 0
    .kernarg_segment_align: 16
    .kernarg_segment_size: 40
    .language:       OpenCL C
    .language_version:
      - 2
      - 0
    .max_flat_workgroup_size: 256
    .name:           _ZN2at6native29vectorized_elementwise_kernelILi2ENS0_11FillFunctorIN3c107complexIdEEEESt5arrayIPcLm1EEEEviT0_T1_
    .private_segment_fixed_size: 0
    .sgpr_count:     15
    .sgpr_spill_count: 0
    .symbol:         _ZN2at6native29vectorized_elementwise_kernelILi2ENS0_11FillFunctorIN3c107complexIdEEEESt5arrayIPcLm1EEEEviT0_T1_.kd
    .uniform_work_group_size: 1
    .uses_dynamic_stack: false
    .vgpr_count:     9
    .vgpr_spill_count: 0
    .wavefront_size: 64
  - .args:
      - .offset:         0
        .size:           4
        .value_kind:     by_value
      - .offset:         16
        .size:           16
        .value_kind:     by_value
      - .address_space:  global
        .offset:         32
        .size:           8
        .value_kind:     global_buffer
      - .offset:         40
        .size:           1
        .value_kind:     by_value
      - .offset:         41
        .size:           1
        .value_kind:     by_value
      - .offset:         42
        .size:           1
        .value_kind:     by_value
      - .offset:         43
        .size:           1
        .value_kind:     by_value
    .group_segment_fixed_size: 0
    .kernarg_segment_align: 16
    .kernarg_segment_size: 44
    .language:       OpenCL C
    .language_version:
      - 2
      - 0
    .max_flat_workgroup_size: 256
    .name:           _ZN2at6native27unrolled_elementwise_kernelINS0_11FillFunctorIN3c107complexIdEEEESt5arrayIPcLm1EELi4E23TrivialOffsetCalculatorILi0EjESA_ILi1EjENS0_6memory15LoadWithoutCastENSD_16StoreWithoutCastEEEviT_T0_T2_T3_T4_T5_
    .private_segment_fixed_size: 0
    .sgpr_count:     14
    .sgpr_spill_count: 0
    .symbol:         _ZN2at6native27unrolled_elementwise_kernelINS0_11FillFunctorIN3c107complexIdEEEESt5arrayIPcLm1EELi4E23TrivialOffsetCalculatorILi0EjESA_ILi1EjENS0_6memory15LoadWithoutCastENSD_16StoreWithoutCastEEEviT_T0_T2_T3_T4_T5_.kd
    .uniform_work_group_size: 1
    .uses_dynamic_stack: false
    .vgpr_count:     9
    .vgpr_spill_count: 0
    .wavefront_size: 64
  - .args:
      - .offset:         0
        .size:           4
        .value_kind:     by_value
      - .offset:         16
        .size:           288
        .value_kind:     by_value
    .group_segment_fixed_size: 0
    .kernarg_segment_align: 16
    .kernarg_segment_size: 304
    .language:       OpenCL C
    .language_version:
      - 2
      - 0
    .max_flat_workgroup_size: 128
    .name:           _ZN2at6native32elementwise_kernel_manual_unrollILi128ELi4EZNS0_22gpu_kernel_impl_nocastINS0_11FillFunctorIN3c107complexIdEEEEEEvRNS_18TensorIteratorBaseERKT_EUlibE_EEviT1_
    .private_segment_fixed_size: 0
    .sgpr_count:     60
    .sgpr_spill_count: 0
    .symbol:         _ZN2at6native32elementwise_kernel_manual_unrollILi128ELi4EZNS0_22gpu_kernel_impl_nocastINS0_11FillFunctorIN3c107complexIdEEEEEEvRNS_18TensorIteratorBaseERKT_EUlibE_EEviT1_.kd
    .uniform_work_group_size: 1
    .uses_dynamic_stack: false
    .vgpr_count:     12
    .vgpr_spill_count: 0
    .wavefront_size: 64
  - .args:
      - .offset:         0
        .size:           4
        .value_kind:     by_value
      - .offset:         16
        .size:           48
        .value_kind:     by_value
    .group_segment_fixed_size: 0
    .kernarg_segment_align: 16
    .kernarg_segment_size: 64
    .language:       OpenCL C
    .language_version:
      - 2
      - 0
    .max_flat_workgroup_size: 128
    .name:           _ZN2at6native32elementwise_kernel_manual_unrollILi128ELi4EZNS0_15gpu_kernel_implINS0_11FillFunctorIN3c107complexIdEEEEEEvRNS_18TensorIteratorBaseERKT_EUlibE_EEviT1_
    .private_segment_fixed_size: 0
    .sgpr_count:     70
    .sgpr_spill_count: 0
    .symbol:         _ZN2at6native32elementwise_kernel_manual_unrollILi128ELi4EZNS0_15gpu_kernel_implINS0_11FillFunctorIN3c107complexIdEEEEEEvRNS_18TensorIteratorBaseERKT_EUlibE_EEviT1_.kd
    .uniform_work_group_size: 1
    .uses_dynamic_stack: false
    .vgpr_count:     22
    .vgpr_spill_count: 0
    .wavefront_size: 64
  - .args:
      - .offset:         0
        .size:           4
        .value_kind:     by_value
      - .offset:         16
        .size:           304
        .value_kind:     by_value
    .group_segment_fixed_size: 0
    .kernarg_segment_align: 16
    .kernarg_segment_size: 320
    .language:       OpenCL C
    .language_version:
      - 2
      - 0
    .max_flat_workgroup_size: 128
    .name:           _ZN2at6native32elementwise_kernel_manual_unrollILi128ELi4EZNS0_15gpu_kernel_implINS0_11FillFunctorIN3c107complexIdEEEEEEvRNS_18TensorIteratorBaseERKT_EUlibE0_EEviT1_
    .private_segment_fixed_size: 0
    .sgpr_count:     100
    .sgpr_spill_count: 3
    .symbol:         _ZN2at6native32elementwise_kernel_manual_unrollILi128ELi4EZNS0_15gpu_kernel_implINS0_11FillFunctorIN3c107complexIdEEEEEEvRNS_18TensorIteratorBaseERKT_EUlibE0_EEviT1_.kd
    .uniform_work_group_size: 1
    .uses_dynamic_stack: false
    .vgpr_count:     25
    .vgpr_spill_count: 0
    .wavefront_size: 64
  - .args:
      - .offset:         0
        .size:           4
        .value_kind:     by_value
      - .offset:         8
        .size:           8
        .value_kind:     by_value
      - .address_space:  global
        .offset:         16
        .size:           8
        .value_kind:     global_buffer
    .group_segment_fixed_size: 0
    .kernarg_segment_align: 8
    .kernarg_segment_size: 24
    .language:       OpenCL C
    .language_version:
      - 2
      - 0
    .max_flat_workgroup_size: 256
    .name:           _ZN2at6native29vectorized_elementwise_kernelILi16ENS0_11FillFunctorIN3c107complexIfEEEESt5arrayIPcLm1EEEEviT0_T1_
    .private_segment_fixed_size: 0
    .sgpr_count:     20
    .sgpr_spill_count: 0
    .symbol:         _ZN2at6native29vectorized_elementwise_kernelILi16ENS0_11FillFunctorIN3c107complexIfEEEESt5arrayIPcLm1EEEEviT0_T1_.kd
    .uniform_work_group_size: 1
    .uses_dynamic_stack: false
    .vgpr_count:     7
    .vgpr_spill_count: 0
    .wavefront_size: 64
  - .args:
      - .offset:         0
        .size:           4
        .value_kind:     by_value
      - .offset:         8
        .size:           8
        .value_kind:     by_value
      - .address_space:  global
        .offset:         16
        .size:           8
        .value_kind:     global_buffer
    .group_segment_fixed_size: 0
    .kernarg_segment_align: 8
    .kernarg_segment_size: 24
    .language:       OpenCL C
    .language_version:
      - 2
      - 0
    .max_flat_workgroup_size: 256
    .name:           _ZN2at6native29vectorized_elementwise_kernelILi8ENS0_11FillFunctorIN3c107complexIfEEEESt5arrayIPcLm1EEEEviT0_T1_
    .private_segment_fixed_size: 0
    .sgpr_count:     20
    .sgpr_spill_count: 0
    .symbol:         _ZN2at6native29vectorized_elementwise_kernelILi8ENS0_11FillFunctorIN3c107complexIfEEEESt5arrayIPcLm1EEEEviT0_T1_.kd
    .uniform_work_group_size: 1
    .uses_dynamic_stack: false
    .vgpr_count:     7
    .vgpr_spill_count: 0
    .wavefront_size: 64
  - .args:
      - .offset:         0
        .size:           4
        .value_kind:     by_value
      - .offset:         8
        .size:           8
        .value_kind:     by_value
      - .address_space:  global
        .offset:         16
        .size:           8
        .value_kind:     global_buffer
    .group_segment_fixed_size: 0
    .kernarg_segment_align: 8
    .kernarg_segment_size: 24
    .language:       OpenCL C
    .language_version:
      - 2
      - 0
    .max_flat_workgroup_size: 256
    .name:           _ZN2at6native29vectorized_elementwise_kernelILi4ENS0_11FillFunctorIN3c107complexIfEEEESt5arrayIPcLm1EEEEviT0_T1_
    .private_segment_fixed_size: 0
    .sgpr_count:     20
    .sgpr_spill_count: 0
    .symbol:         _ZN2at6native29vectorized_elementwise_kernelILi4ENS0_11FillFunctorIN3c107complexIfEEEESt5arrayIPcLm1EEEEviT0_T1_.kd
    .uniform_work_group_size: 1
    .uses_dynamic_stack: false
    .vgpr_count:     7
    .vgpr_spill_count: 0
    .wavefront_size: 64
  - .args:
      - .offset:         0
        .size:           4
        .value_kind:     by_value
      - .offset:         8
        .size:           8
        .value_kind:     by_value
      - .address_space:  global
        .offset:         16
        .size:           8
        .value_kind:     global_buffer
    .group_segment_fixed_size: 0
    .kernarg_segment_align: 8
    .kernarg_segment_size: 24
    .language:       OpenCL C
    .language_version:
      - 2
      - 0
    .max_flat_workgroup_size: 256
    .name:           _ZN2at6native29vectorized_elementwise_kernelILi2ENS0_11FillFunctorIN3c107complexIfEEEESt5arrayIPcLm1EEEEviT0_T1_
    .private_segment_fixed_size: 0
    .sgpr_count:     20
    .sgpr_spill_count: 0
    .symbol:         _ZN2at6native29vectorized_elementwise_kernelILi2ENS0_11FillFunctorIN3c107complexIfEEEESt5arrayIPcLm1EEEEviT0_T1_.kd
    .uniform_work_group_size: 1
    .uses_dynamic_stack: false
    .vgpr_count:     8
    .vgpr_spill_count: 0
    .wavefront_size: 64
  - .args:
      - .offset:         0
        .size:           4
        .value_kind:     by_value
      - .offset:         8
        .size:           8
        .value_kind:     by_value
      - .address_space:  global
        .offset:         16
        .size:           8
        .value_kind:     global_buffer
      - .offset:         24
        .size:           1
        .value_kind:     by_value
      - .offset:         25
        .size:           1
        .value_kind:     by_value
      - .offset:         26
        .size:           1
        .value_kind:     by_value
      - .offset:         27
        .size:           1
        .value_kind:     by_value
    .group_segment_fixed_size: 0
    .kernarg_segment_align: 8
    .kernarg_segment_size: 28
    .language:       OpenCL C
    .language_version:
      - 2
      - 0
    .max_flat_workgroup_size: 256
    .name:           _ZN2at6native27unrolled_elementwise_kernelINS0_11FillFunctorIN3c107complexIfEEEESt5arrayIPcLm1EELi4E23TrivialOffsetCalculatorILi0EjESA_ILi1EjENS0_6memory15LoadWithoutCastENSD_16StoreWithoutCastEEEviT_T0_T2_T3_T4_T5_
    .private_segment_fixed_size: 0
    .sgpr_count:     12
    .sgpr_spill_count: 0
    .symbol:         _ZN2at6native27unrolled_elementwise_kernelINS0_11FillFunctorIN3c107complexIfEEEESt5arrayIPcLm1EELi4E23TrivialOffsetCalculatorILi0EjESA_ILi1EjENS0_6memory15LoadWithoutCastENSD_16StoreWithoutCastEEEviT_T0_T2_T3_T4_T5_.kd
    .uniform_work_group_size: 1
    .uses_dynamic_stack: false
    .vgpr_count:     7
    .vgpr_spill_count: 0
    .wavefront_size: 64
  - .args:
      - .offset:         0
        .size:           4
        .value_kind:     by_value
      - .offset:         8
        .size:           280
        .value_kind:     by_value
    .group_segment_fixed_size: 0
    .kernarg_segment_align: 8
    .kernarg_segment_size: 288
    .language:       OpenCL C
    .language_version:
      - 2
      - 0
    .max_flat_workgroup_size: 128
    .name:           _ZN2at6native32elementwise_kernel_manual_unrollILi128ELi4EZNS0_22gpu_kernel_impl_nocastINS0_11FillFunctorIN3c107complexIfEEEEEEvRNS_18TensorIteratorBaseERKT_EUlibE_EEviT1_
    .private_segment_fixed_size: 0
    .sgpr_count:     58
    .sgpr_spill_count: 0
    .symbol:         _ZN2at6native32elementwise_kernel_manual_unrollILi128ELi4EZNS0_22gpu_kernel_impl_nocastINS0_11FillFunctorIN3c107complexIfEEEEEEvRNS_18TensorIteratorBaseERKT_EUlibE_EEviT1_.kd
    .uniform_work_group_size: 1
    .uses_dynamic_stack: false
    .vgpr_count:     12
    .vgpr_spill_count: 0
    .wavefront_size: 64
  - .args:
      - .offset:         0
        .size:           4
        .value_kind:     by_value
      - .offset:         8
        .size:           32
        .value_kind:     by_value
    .group_segment_fixed_size: 0
    .kernarg_segment_align: 8
    .kernarg_segment_size: 40
    .language:       OpenCL C
    .language_version:
      - 2
      - 0
    .max_flat_workgroup_size: 128
    .name:           _ZN2at6native32elementwise_kernel_manual_unrollILi128ELi4EZNS0_15gpu_kernel_implINS0_11FillFunctorIN3c107complexIfEEEEEEvRNS_18TensorIteratorBaseERKT_EUlibE_EEviT1_
    .private_segment_fixed_size: 0
    .sgpr_count:     71
    .sgpr_spill_count: 0
    .symbol:         _ZN2at6native32elementwise_kernel_manual_unrollILi128ELi4EZNS0_15gpu_kernel_implINS0_11FillFunctorIN3c107complexIfEEEEEEvRNS_18TensorIteratorBaseERKT_EUlibE_EEviT1_.kd
    .uniform_work_group_size: 1
    .uses_dynamic_stack: false
    .vgpr_count:     19
    .vgpr_spill_count: 0
    .wavefront_size: 64
  - .args:
      - .offset:         0
        .size:           4
        .value_kind:     by_value
      - .offset:         8
        .size:           288
        .value_kind:     by_value
    .group_segment_fixed_size: 0
    .kernarg_segment_align: 8
    .kernarg_segment_size: 296
    .language:       OpenCL C
    .language_version:
      - 2
      - 0
    .max_flat_workgroup_size: 128
    .name:           _ZN2at6native32elementwise_kernel_manual_unrollILi128ELi4EZNS0_15gpu_kernel_implINS0_11FillFunctorIN3c107complexIfEEEEEEvRNS_18TensorIteratorBaseERKT_EUlibE0_EEviT1_
    .private_segment_fixed_size: 0
    .sgpr_count:     100
    .sgpr_spill_count: 2
    .symbol:         _ZN2at6native32elementwise_kernel_manual_unrollILi128ELi4EZNS0_15gpu_kernel_implINS0_11FillFunctorIN3c107complexIfEEEEEEvRNS_18TensorIteratorBaseERKT_EUlibE0_EEviT1_.kd
    .uniform_work_group_size: 1
    .uses_dynamic_stack: false
    .vgpr_count:     24
    .vgpr_spill_count: 0
    .wavefront_size: 64
  - .args:
      - .offset:         0
        .size:           4
        .value_kind:     by_value
      - .offset:         4
        .size:           4
        .value_kind:     by_value
      - .address_space:  global
        .offset:         8
        .size:           8
        .value_kind:     global_buffer
    .group_segment_fixed_size: 0
    .kernarg_segment_align: 8
    .kernarg_segment_size: 16
    .language:       OpenCL C
    .language_version:
      - 2
      - 0
    .max_flat_workgroup_size: 256
    .name:           _ZN2at6native29vectorized_elementwise_kernelILi16ENS0_11FillFunctorIN3c107complexINS3_4HalfEEEEESt5arrayIPcLm1EEEEviT0_T1_
    .private_segment_fixed_size: 0
    .sgpr_count:     12
    .sgpr_spill_count: 0
    .symbol:         _ZN2at6native29vectorized_elementwise_kernelILi16ENS0_11FillFunctorIN3c107complexINS3_4HalfEEEEESt5arrayIPcLm1EEEEviT0_T1_.kd
    .uniform_work_group_size: 1
    .uses_dynamic_stack: false
    .vgpr_count:     6
    .vgpr_spill_count: 0
    .wavefront_size: 64
  - .args:
      - .offset:         0
        .size:           4
        .value_kind:     by_value
      - .offset:         4
        .size:           4
        .value_kind:     by_value
      - .address_space:  global
        .offset:         8
        .size:           8
        .value_kind:     global_buffer
    .group_segment_fixed_size: 0
    .kernarg_segment_align: 8
    .kernarg_segment_size: 16
    .language:       OpenCL C
    .language_version:
      - 2
      - 0
    .max_flat_workgroup_size: 256
    .name:           _ZN2at6native29vectorized_elementwise_kernelILi8ENS0_11FillFunctorIN3c107complexINS3_4HalfEEEEESt5arrayIPcLm1EEEEviT0_T1_
    .private_segment_fixed_size: 0
    .sgpr_count:     12
    .sgpr_spill_count: 0
    .symbol:         _ZN2at6native29vectorized_elementwise_kernelILi8ENS0_11FillFunctorIN3c107complexINS3_4HalfEEEEESt5arrayIPcLm1EEEEviT0_T1_.kd
    .uniform_work_group_size: 1
    .uses_dynamic_stack: false
    .vgpr_count:     6
    .vgpr_spill_count: 0
    .wavefront_size: 64
  - .args:
      - .offset:         0
        .size:           4
        .value_kind:     by_value
      - .offset:         4
        .size:           4
        .value_kind:     by_value
      - .address_space:  global
        .offset:         8
        .size:           8
        .value_kind:     global_buffer
    .group_segment_fixed_size: 0
    .kernarg_segment_align: 8
    .kernarg_segment_size: 16
    .language:       OpenCL C
    .language_version:
      - 2
      - 0
    .max_flat_workgroup_size: 256
    .name:           _ZN2at6native29vectorized_elementwise_kernelILi4ENS0_11FillFunctorIN3c107complexINS3_4HalfEEEEESt5arrayIPcLm1EEEEviT0_T1_
    .private_segment_fixed_size: 0
    .sgpr_count:     12
    .sgpr_spill_count: 0
    .symbol:         _ZN2at6native29vectorized_elementwise_kernelILi4ENS0_11FillFunctorIN3c107complexINS3_4HalfEEEEESt5arrayIPcLm1EEEEviT0_T1_.kd
    .uniform_work_group_size: 1
    .uses_dynamic_stack: false
    .vgpr_count:     6
    .vgpr_spill_count: 0
    .wavefront_size: 64
  - .args:
      - .offset:         0
        .size:           4
        .value_kind:     by_value
      - .offset:         4
        .size:           4
        .value_kind:     by_value
      - .address_space:  global
        .offset:         8
        .size:           8
        .value_kind:     global_buffer
    .group_segment_fixed_size: 0
    .kernarg_segment_align: 8
    .kernarg_segment_size: 16
    .language:       OpenCL C
    .language_version:
      - 2
      - 0
    .max_flat_workgroup_size: 256
    .name:           _ZN2at6native29vectorized_elementwise_kernelILi2ENS0_11FillFunctorIN3c107complexINS3_4HalfEEEEESt5arrayIPcLm1EEEEviT0_T1_
    .private_segment_fixed_size: 0
    .sgpr_count:     13
    .sgpr_spill_count: 0
    .symbol:         _ZN2at6native29vectorized_elementwise_kernelILi2ENS0_11FillFunctorIN3c107complexINS3_4HalfEEEEESt5arrayIPcLm1EEEEviT0_T1_.kd
    .uniform_work_group_size: 1
    .uses_dynamic_stack: false
    .vgpr_count:     4
    .vgpr_spill_count: 0
    .wavefront_size: 64
  - .args:
      - .offset:         0
        .size:           4
        .value_kind:     by_value
      - .offset:         4
        .size:           4
        .value_kind:     by_value
      - .address_space:  global
        .offset:         8
        .size:           8
        .value_kind:     global_buffer
      - .offset:         16
        .size:           1
        .value_kind:     by_value
      - .offset:         17
        .size:           1
        .value_kind:     by_value
      - .offset:         18
        .size:           1
        .value_kind:     by_value
      - .offset:         19
        .size:           1
        .value_kind:     by_value
    .group_segment_fixed_size: 0
    .kernarg_segment_align: 8
    .kernarg_segment_size: 20
    .language:       OpenCL C
    .language_version:
      - 2
      - 0
    .max_flat_workgroup_size: 256
    .name:           _ZN2at6native27unrolled_elementwise_kernelINS0_11FillFunctorIN3c107complexINS3_4HalfEEEEESt5arrayIPcLm1EELi4E23TrivialOffsetCalculatorILi0EjESB_ILi1EjENS0_6memory15LoadWithoutCastENSE_16StoreWithoutCastEEEviT_T0_T2_T3_T4_T5_
    .private_segment_fixed_size: 0
    .sgpr_count:     11
    .sgpr_spill_count: 0
    .symbol:         _ZN2at6native27unrolled_elementwise_kernelINS0_11FillFunctorIN3c107complexINS3_4HalfEEEEESt5arrayIPcLm1EELi4E23TrivialOffsetCalculatorILi0EjESB_ILi1EjENS0_6memory15LoadWithoutCastENSE_16StoreWithoutCastEEEviT_T0_T2_T3_T4_T5_.kd
    .uniform_work_group_size: 1
    .uses_dynamic_stack: false
    .vgpr_count:     4
    .vgpr_spill_count: 0
    .wavefront_size: 64
  - .args:
      - .offset:         0
        .size:           4
        .value_kind:     by_value
      - .offset:         8
        .size:           280
        .value_kind:     by_value
    .group_segment_fixed_size: 0
    .kernarg_segment_align: 8
    .kernarg_segment_size: 288
    .language:       OpenCL C
    .language_version:
      - 2
      - 0
    .max_flat_workgroup_size: 128
    .name:           _ZN2at6native32elementwise_kernel_manual_unrollILi128ELi4EZNS0_22gpu_kernel_impl_nocastINS0_11FillFunctorIN3c107complexINS4_4HalfEEEEEEEvRNS_18TensorIteratorBaseERKT_EUlibE_EEviT1_
    .private_segment_fixed_size: 0
    .sgpr_count:     57
    .sgpr_spill_count: 0
    .symbol:         _ZN2at6native32elementwise_kernel_manual_unrollILi128ELi4EZNS0_22gpu_kernel_impl_nocastINS0_11FillFunctorIN3c107complexINS4_4HalfEEEEEEEvRNS_18TensorIteratorBaseERKT_EUlibE_EEviT1_.kd
    .uniform_work_group_size: 1
    .uses_dynamic_stack: false
    .vgpr_count:     12
    .vgpr_spill_count: 0
    .wavefront_size: 64
  - .args:
      - .offset:         0
        .size:           4
        .value_kind:     by_value
      - .offset:         8
        .size:           24
        .value_kind:     by_value
    .group_segment_fixed_size: 0
    .kernarg_segment_align: 8
    .kernarg_segment_size: 32
    .language:       OpenCL C
    .language_version:
      - 2
      - 0
    .max_flat_workgroup_size: 128
    .name:           _ZN2at6native32elementwise_kernel_manual_unrollILi128ELi4EZNS0_15gpu_kernel_implINS0_11FillFunctorIN3c107complexINS4_4HalfEEEEEEEvRNS_18TensorIteratorBaseERKT_EUlibE_EEviT1_
    .private_segment_fixed_size: 0
    .sgpr_count:     65
    .sgpr_spill_count: 0
    .symbol:         _ZN2at6native32elementwise_kernel_manual_unrollILi128ELi4EZNS0_15gpu_kernel_implINS0_11FillFunctorIN3c107complexINS4_4HalfEEEEEEEvRNS_18TensorIteratorBaseERKT_EUlibE_EEviT1_.kd
    .uniform_work_group_size: 1
    .uses_dynamic_stack: false
    .vgpr_count:     23
    .vgpr_spill_count: 0
    .wavefront_size: 64
  - .args:
      - .offset:         0
        .size:           4
        .value_kind:     by_value
      - .offset:         8
        .size:           280
        .value_kind:     by_value
    .group_segment_fixed_size: 0
    .kernarg_segment_align: 8
    .kernarg_segment_size: 288
    .language:       OpenCL C
    .language_version:
      - 2
      - 0
    .max_flat_workgroup_size: 128
    .name:           _ZN2at6native32elementwise_kernel_manual_unrollILi128ELi4EZNS0_15gpu_kernel_implINS0_11FillFunctorIN3c107complexINS4_4HalfEEEEEEEvRNS_18TensorIteratorBaseERKT_EUlibE0_EEviT1_
    .private_segment_fixed_size: 0
    .sgpr_count:     98
    .sgpr_spill_count: 0
    .symbol:         _ZN2at6native32elementwise_kernel_manual_unrollILi128ELi4EZNS0_15gpu_kernel_implINS0_11FillFunctorIN3c107complexINS4_4HalfEEEEEEEvRNS_18TensorIteratorBaseERKT_EUlibE0_EEviT1_.kd
    .uniform_work_group_size: 1
    .uses_dynamic_stack: false
    .vgpr_count:     28
    .vgpr_spill_count: 0
    .wavefront_size: 64
  - .args:
      - .offset:         0
        .size:           4
        .value_kind:     by_value
      - .offset:         4
        .size:           4
        .value_kind:     by_value
      - .address_space:  global
        .offset:         8
        .size:           8
        .value_kind:     global_buffer
    .group_segment_fixed_size: 0
    .kernarg_segment_align: 8
    .kernarg_segment_size: 16
    .language:       OpenCL C
    .language_version:
      - 2
      - 0
    .max_flat_workgroup_size: 256
    .name:           _ZN2at6native29vectorized_elementwise_kernelILi16ENS0_11FillFunctorIN3c107complexINS3_8BFloat16EEEEESt5arrayIPcLm1EEEEviT0_T1_
    .private_segment_fixed_size: 0
    .sgpr_count:     12
    .sgpr_spill_count: 0
    .symbol:         _ZN2at6native29vectorized_elementwise_kernelILi16ENS0_11FillFunctorIN3c107complexINS3_8BFloat16EEEEESt5arrayIPcLm1EEEEviT0_T1_.kd
    .uniform_work_group_size: 1
    .uses_dynamic_stack: false
    .vgpr_count:     6
    .vgpr_spill_count: 0
    .wavefront_size: 64
  - .args:
      - .offset:         0
        .size:           4
        .value_kind:     by_value
      - .offset:         4
        .size:           4
        .value_kind:     by_value
      - .address_space:  global
        .offset:         8
        .size:           8
        .value_kind:     global_buffer
    .group_segment_fixed_size: 0
    .kernarg_segment_align: 8
    .kernarg_segment_size: 16
    .language:       OpenCL C
    .language_version:
      - 2
      - 0
    .max_flat_workgroup_size: 256
    .name:           _ZN2at6native29vectorized_elementwise_kernelILi8ENS0_11FillFunctorIN3c107complexINS3_8BFloat16EEEEESt5arrayIPcLm1EEEEviT0_T1_
    .private_segment_fixed_size: 0
    .sgpr_count:     12
    .sgpr_spill_count: 0
    .symbol:         _ZN2at6native29vectorized_elementwise_kernelILi8ENS0_11FillFunctorIN3c107complexINS3_8BFloat16EEEEESt5arrayIPcLm1EEEEviT0_T1_.kd
    .uniform_work_group_size: 1
    .uses_dynamic_stack: false
    .vgpr_count:     6
    .vgpr_spill_count: 0
    .wavefront_size: 64
  - .args:
      - .offset:         0
        .size:           4
        .value_kind:     by_value
      - .offset:         4
        .size:           4
        .value_kind:     by_value
      - .address_space:  global
        .offset:         8
        .size:           8
        .value_kind:     global_buffer
    .group_segment_fixed_size: 0
    .kernarg_segment_align: 8
    .kernarg_segment_size: 16
    .language:       OpenCL C
    .language_version:
      - 2
      - 0
    .max_flat_workgroup_size: 256
    .name:           _ZN2at6native29vectorized_elementwise_kernelILi4ENS0_11FillFunctorIN3c107complexINS3_8BFloat16EEEEESt5arrayIPcLm1EEEEviT0_T1_
    .private_segment_fixed_size: 0
    .sgpr_count:     12
    .sgpr_spill_count: 0
    .symbol:         _ZN2at6native29vectorized_elementwise_kernelILi4ENS0_11FillFunctorIN3c107complexINS3_8BFloat16EEEEESt5arrayIPcLm1EEEEviT0_T1_.kd
    .uniform_work_group_size: 1
    .uses_dynamic_stack: false
    .vgpr_count:     6
    .vgpr_spill_count: 0
    .wavefront_size: 64
  - .args:
      - .offset:         0
        .size:           4
        .value_kind:     by_value
      - .offset:         4
        .size:           4
        .value_kind:     by_value
      - .address_space:  global
        .offset:         8
        .size:           8
        .value_kind:     global_buffer
    .group_segment_fixed_size: 0
    .kernarg_segment_align: 8
    .kernarg_segment_size: 16
    .language:       OpenCL C
    .language_version:
      - 2
      - 0
    .max_flat_workgroup_size: 256
    .name:           _ZN2at6native29vectorized_elementwise_kernelILi2ENS0_11FillFunctorIN3c107complexINS3_8BFloat16EEEEESt5arrayIPcLm1EEEEviT0_T1_
    .private_segment_fixed_size: 0
    .sgpr_count:     13
    .sgpr_spill_count: 0
    .symbol:         _ZN2at6native29vectorized_elementwise_kernelILi2ENS0_11FillFunctorIN3c107complexINS3_8BFloat16EEEEESt5arrayIPcLm1EEEEviT0_T1_.kd
    .uniform_work_group_size: 1
    .uses_dynamic_stack: false
    .vgpr_count:     4
    .vgpr_spill_count: 0
    .wavefront_size: 64
  - .args:
      - .offset:         0
        .size:           4
        .value_kind:     by_value
      - .offset:         4
        .size:           4
        .value_kind:     by_value
      - .address_space:  global
        .offset:         8
        .size:           8
        .value_kind:     global_buffer
      - .offset:         16
        .size:           1
        .value_kind:     by_value
      - .offset:         17
        .size:           1
        .value_kind:     by_value
      - .offset:         18
        .size:           1
        .value_kind:     by_value
      - .offset:         19
        .size:           1
        .value_kind:     by_value
    .group_segment_fixed_size: 0
    .kernarg_segment_align: 8
    .kernarg_segment_size: 20
    .language:       OpenCL C
    .language_version:
      - 2
      - 0
    .max_flat_workgroup_size: 256
    .name:           _ZN2at6native27unrolled_elementwise_kernelINS0_11FillFunctorIN3c107complexINS3_8BFloat16EEEEESt5arrayIPcLm1EELi4E23TrivialOffsetCalculatorILi0EjESB_ILi1EjENS0_6memory15LoadWithoutCastENSE_16StoreWithoutCastEEEviT_T0_T2_T3_T4_T5_
    .private_segment_fixed_size: 0
    .sgpr_count:     11
    .sgpr_spill_count: 0
    .symbol:         _ZN2at6native27unrolled_elementwise_kernelINS0_11FillFunctorIN3c107complexINS3_8BFloat16EEEEESt5arrayIPcLm1EELi4E23TrivialOffsetCalculatorILi0EjESB_ILi1EjENS0_6memory15LoadWithoutCastENSE_16StoreWithoutCastEEEviT_T0_T2_T3_T4_T5_.kd
    .uniform_work_group_size: 1
    .uses_dynamic_stack: false
    .vgpr_count:     4
    .vgpr_spill_count: 0
    .wavefront_size: 64
  - .args:
      - .offset:         0
        .size:           4
        .value_kind:     by_value
      - .offset:         8
        .size:           280
        .value_kind:     by_value
    .group_segment_fixed_size: 0
    .kernarg_segment_align: 8
    .kernarg_segment_size: 288
    .language:       OpenCL C
    .language_version:
      - 2
      - 0
    .max_flat_workgroup_size: 128
    .name:           _ZN2at6native32elementwise_kernel_manual_unrollILi128ELi4EZNS0_22gpu_kernel_impl_nocastINS0_11FillFunctorIN3c107complexINS4_8BFloat16EEEEEEEvRNS_18TensorIteratorBaseERKT_EUlibE_EEviT1_
    .private_segment_fixed_size: 0
    .sgpr_count:     57
    .sgpr_spill_count: 0
    .symbol:         _ZN2at6native32elementwise_kernel_manual_unrollILi128ELi4EZNS0_22gpu_kernel_impl_nocastINS0_11FillFunctorIN3c107complexINS4_8BFloat16EEEEEEEvRNS_18TensorIteratorBaseERKT_EUlibE_EEviT1_.kd
    .uniform_work_group_size: 1
    .uses_dynamic_stack: false
    .vgpr_count:     12
    .vgpr_spill_count: 0
    .wavefront_size: 64
  - .args:
      - .offset:         0
        .size:           4
        .value_kind:     by_value
      - .offset:         8
        .size:           24
        .value_kind:     by_value
    .group_segment_fixed_size: 0
    .kernarg_segment_align: 8
    .kernarg_segment_size: 32
    .language:       OpenCL C
    .language_version:
      - 2
      - 0
    .max_flat_workgroup_size: 128
    .name:           _ZN2at6native32elementwise_kernel_manual_unrollILi128ELi4EZNS0_15gpu_kernel_implINS0_11FillFunctorIN3c107complexINS4_8BFloat16EEEEEEEvRNS_18TensorIteratorBaseERKT_EUlibE_EEviT1_
    .private_segment_fixed_size: 0
    .sgpr_count:     70
    .sgpr_spill_count: 0
    .symbol:         _ZN2at6native32elementwise_kernel_manual_unrollILi128ELi4EZNS0_15gpu_kernel_implINS0_11FillFunctorIN3c107complexINS4_8BFloat16EEEEEEEvRNS_18TensorIteratorBaseERKT_EUlibE_EEviT1_.kd
    .uniform_work_group_size: 1
    .uses_dynamic_stack: false
    .vgpr_count:     19
    .vgpr_spill_count: 0
    .wavefront_size: 64
  - .args:
      - .offset:         0
        .size:           4
        .value_kind:     by_value
      - .offset:         8
        .size:           280
        .value_kind:     by_value
    .group_segment_fixed_size: 0
    .kernarg_segment_align: 8
    .kernarg_segment_size: 288
    .language:       OpenCL C
    .language_version:
      - 2
      - 0
    .max_flat_workgroup_size: 128
    .name:           _ZN2at6native32elementwise_kernel_manual_unrollILi128ELi4EZNS0_15gpu_kernel_implINS0_11FillFunctorIN3c107complexINS4_8BFloat16EEEEEEEvRNS_18TensorIteratorBaseERKT_EUlibE0_EEviT1_
    .private_segment_fixed_size: 0
    .sgpr_count:     100
    .sgpr_spill_count: 0
    .symbol:         _ZN2at6native32elementwise_kernel_manual_unrollILi128ELi4EZNS0_15gpu_kernel_implINS0_11FillFunctorIN3c107complexINS4_8BFloat16EEEEEEEvRNS_18TensorIteratorBaseERKT_EUlibE0_EEviT1_.kd
    .uniform_work_group_size: 1
    .uses_dynamic_stack: false
    .vgpr_count:     23
    .vgpr_spill_count: 0
    .wavefront_size: 64
  - .args:
      - .offset:         0
        .size:           4
        .value_kind:     by_value
      - .offset:         4
        .size:           1
        .value_kind:     by_value
      - .address_space:  global
        .offset:         8
        .size:           8
        .value_kind:     global_buffer
    .group_segment_fixed_size: 1024
    .kernarg_segment_align: 8
    .kernarg_segment_size: 16
    .language:       OpenCL C
    .language_version:
      - 2
      - 0
    .max_flat_workgroup_size: 256
    .name:           _ZN2at6native29vectorized_elementwise_kernelILi16ENS0_11FillFunctorIbEESt5arrayIPcLm1EEEEviT0_T1_
    .private_segment_fixed_size: 0
    .sgpr_count:     17
    .sgpr_spill_count: 0
    .symbol:         _ZN2at6native29vectorized_elementwise_kernelILi16ENS0_11FillFunctorIbEESt5arrayIPcLm1EEEEviT0_T1_.kd
    .uniform_work_group_size: 1
    .uses_dynamic_stack: false
    .vgpr_count:     9
    .vgpr_spill_count: 0
    .wavefront_size: 64
  - .args:
      - .offset:         0
        .size:           4
        .value_kind:     by_value
      - .offset:         4
        .size:           1
        .value_kind:     by_value
      - .address_space:  global
        .offset:         8
        .size:           8
        .value_kind:     global_buffer
    .group_segment_fixed_size: 1024
    .kernarg_segment_align: 8
    .kernarg_segment_size: 16
    .language:       OpenCL C
    .language_version:
      - 2
      - 0
    .max_flat_workgroup_size: 256
    .name:           _ZN2at6native29vectorized_elementwise_kernelILi8ENS0_11FillFunctorIbEESt5arrayIPcLm1EEEEviT0_T1_
    .private_segment_fixed_size: 0
    .sgpr_count:     17
    .sgpr_spill_count: 0
    .symbol:         _ZN2at6native29vectorized_elementwise_kernelILi8ENS0_11FillFunctorIbEESt5arrayIPcLm1EEEEviT0_T1_.kd
    .uniform_work_group_size: 1
    .uses_dynamic_stack: false
    .vgpr_count:     9
    .vgpr_spill_count: 0
    .wavefront_size: 64
  - .args:
      - .offset:         0
        .size:           4
        .value_kind:     by_value
      - .offset:         4
        .size:           1
        .value_kind:     by_value
      - .address_space:  global
        .offset:         8
        .size:           8
        .value_kind:     global_buffer
    .group_segment_fixed_size: 1024
    .kernarg_segment_align: 8
    .kernarg_segment_size: 16
    .language:       OpenCL C
    .language_version:
      - 2
      - 0
    .max_flat_workgroup_size: 256
    .name:           _ZN2at6native29vectorized_elementwise_kernelILi4ENS0_11FillFunctorIbEESt5arrayIPcLm1EEEEviT0_T1_
    .private_segment_fixed_size: 0
    .sgpr_count:     17
    .sgpr_spill_count: 0
    .symbol:         _ZN2at6native29vectorized_elementwise_kernelILi4ENS0_11FillFunctorIbEESt5arrayIPcLm1EEEEviT0_T1_.kd
    .uniform_work_group_size: 1
    .uses_dynamic_stack: false
    .vgpr_count:     9
    .vgpr_spill_count: 0
    .wavefront_size: 64
  - .args:
      - .offset:         0
        .size:           4
        .value_kind:     by_value
      - .offset:         4
        .size:           1
        .value_kind:     by_value
      - .address_space:  global
        .offset:         8
        .size:           8
        .value_kind:     global_buffer
    .group_segment_fixed_size: 1024
    .kernarg_segment_align: 8
    .kernarg_segment_size: 16
    .language:       OpenCL C
    .language_version:
      - 2
      - 0
    .max_flat_workgroup_size: 256
    .name:           _ZN2at6native29vectorized_elementwise_kernelILi2ENS0_11FillFunctorIbEESt5arrayIPcLm1EEEEviT0_T1_
    .private_segment_fixed_size: 0
    .sgpr_count:     17
    .sgpr_spill_count: 0
    .symbol:         _ZN2at6native29vectorized_elementwise_kernelILi2ENS0_11FillFunctorIbEESt5arrayIPcLm1EEEEviT0_T1_.kd
    .uniform_work_group_size: 1
    .uses_dynamic_stack: false
    .vgpr_count:     9
    .vgpr_spill_count: 0
    .wavefront_size: 64
  - .args:
      - .offset:         0
        .size:           4
        .value_kind:     by_value
      - .offset:         4
        .size:           1
        .value_kind:     by_value
      - .address_space:  global
        .offset:         8
        .size:           8
        .value_kind:     global_buffer
      - .offset:         16
        .size:           1
        .value_kind:     by_value
      - .offset:         17
        .size:           1
        .value_kind:     by_value
      - .offset:         18
        .size:           1
        .value_kind:     by_value
      - .offset:         19
        .size:           1
        .value_kind:     by_value
    .group_segment_fixed_size: 512
    .kernarg_segment_align: 8
    .kernarg_segment_size: 20
    .language:       OpenCL C
    .language_version:
      - 2
      - 0
    .max_flat_workgroup_size: 256
    .name:           _ZN2at6native27unrolled_elementwise_kernelINS0_11FillFunctorIbEESt5arrayIPcLm1EELi4E23TrivialOffsetCalculatorILi0EjES7_ILi1EjENS0_6memory15LoadWithoutCastENSA_16StoreWithoutCastEEEviT_T0_T2_T3_T4_T5_
    .private_segment_fixed_size: 0
    .sgpr_count:     16
    .sgpr_spill_count: 0
    .symbol:         _ZN2at6native27unrolled_elementwise_kernelINS0_11FillFunctorIbEESt5arrayIPcLm1EELi4E23TrivialOffsetCalculatorILi0EjES7_ILi1EjENS0_6memory15LoadWithoutCastENSA_16StoreWithoutCastEEEviT_T0_T2_T3_T4_T5_.kd
    .uniform_work_group_size: 1
    .uses_dynamic_stack: false
    .vgpr_count:     6
    .vgpr_spill_count: 0
    .wavefront_size: 64
  - .args:
      - .offset:         0
        .size:           4
        .value_kind:     by_value
      - .offset:         8
        .size:           280
        .value_kind:     by_value
    .group_segment_fixed_size: 0
    .kernarg_segment_align: 8
    .kernarg_segment_size: 288
    .language:       OpenCL C
    .language_version:
      - 2
      - 0
    .max_flat_workgroup_size: 128
    .name:           _ZN2at6native32elementwise_kernel_manual_unrollILi128ELi8EZNS0_22gpu_kernel_impl_nocastINS0_11FillFunctorIbEEEEvRNS_18TensorIteratorBaseERKT_EUlibE_EEviT1_
    .private_segment_fixed_size: 0
    .sgpr_count:     57
    .sgpr_spill_count: 0
    .symbol:         _ZN2at6native32elementwise_kernel_manual_unrollILi128ELi8EZNS0_22gpu_kernel_impl_nocastINS0_11FillFunctorIbEEEEvRNS_18TensorIteratorBaseERKT_EUlibE_EEviT1_.kd
    .uniform_work_group_size: 1
    .uses_dynamic_stack: false
    .vgpr_count:     16
    .vgpr_spill_count: 0
    .wavefront_size: 64
  - .args:
      - .offset:         0
        .size:           4
        .value_kind:     by_value
      - .offset:         8
        .size:           16
        .value_kind:     by_value
    .group_segment_fixed_size: 0
    .kernarg_segment_align: 8
    .kernarg_segment_size: 24
    .language:       OpenCL C
    .language_version:
      - 2
      - 0
    .max_flat_workgroup_size: 128
    .name:           _ZN2at6native32elementwise_kernel_manual_unrollILi128ELi4EZNS0_15gpu_kernel_implINS0_11FillFunctorIbEEEEvRNS_18TensorIteratorBaseERKT_EUlibE_EEviT1_
    .private_segment_fixed_size: 0
    .sgpr_count:     58
    .sgpr_spill_count: 0
    .symbol:         _ZN2at6native32elementwise_kernel_manual_unrollILi128ELi4EZNS0_15gpu_kernel_implINS0_11FillFunctorIbEEEEvRNS_18TensorIteratorBaseERKT_EUlibE_EEviT1_.kd
    .uniform_work_group_size: 1
    .uses_dynamic_stack: false
    .vgpr_count:     22
    .vgpr_spill_count: 0
    .wavefront_size: 64
  - .args:
      - .offset:         0
        .size:           4
        .value_kind:     by_value
      - .offset:         8
        .size:           280
        .value_kind:     by_value
    .group_segment_fixed_size: 0
    .kernarg_segment_align: 8
    .kernarg_segment_size: 288
    .language:       OpenCL C
    .language_version:
      - 2
      - 0
    .max_flat_workgroup_size: 128
    .name:           _ZN2at6native32elementwise_kernel_manual_unrollILi128ELi4EZNS0_15gpu_kernel_implINS0_11FillFunctorIbEEEEvRNS_18TensorIteratorBaseERKT_EUlibE0_EEviT1_
    .private_segment_fixed_size: 0
    .sgpr_count:     92
    .sgpr_spill_count: 0
    .symbol:         _ZN2at6native32elementwise_kernel_manual_unrollILi128ELi4EZNS0_15gpu_kernel_implINS0_11FillFunctorIbEEEEvRNS_18TensorIteratorBaseERKT_EUlibE0_EEviT1_.kd
    .uniform_work_group_size: 1
    .uses_dynamic_stack: false
    .vgpr_count:     25
    .vgpr_spill_count: 0
    .wavefront_size: 64
  - .args:
      - .offset:         0
        .size:           4
        .value_kind:     by_value
      - .offset:         4
        .size:           2
        .value_kind:     by_value
      - .address_space:  global
        .offset:         8
        .size:           8
        .value_kind:     global_buffer
    .group_segment_fixed_size: 0
    .kernarg_segment_align: 8
    .kernarg_segment_size: 16
    .language:       OpenCL C
    .language_version:
      - 2
      - 0
    .max_flat_workgroup_size: 256
    .name:           _ZN2at6native29vectorized_elementwise_kernelILi16ENS0_11FillFunctorIN3c104HalfEEESt5arrayIPcLm1EEEEviT0_T1_
    .private_segment_fixed_size: 0
    .sgpr_count:     12
    .sgpr_spill_count: 0
    .symbol:         _ZN2at6native29vectorized_elementwise_kernelILi16ENS0_11FillFunctorIN3c104HalfEEESt5arrayIPcLm1EEEEviT0_T1_.kd
    .uniform_work_group_size: 1
    .uses_dynamic_stack: false
    .vgpr_count:     6
    .vgpr_spill_count: 0
    .wavefront_size: 64
  - .args:
      - .offset:         0
        .size:           4
        .value_kind:     by_value
      - .offset:         4
        .size:           2
        .value_kind:     by_value
      - .address_space:  global
        .offset:         8
        .size:           8
        .value_kind:     global_buffer
    .group_segment_fixed_size: 0
    .kernarg_segment_align: 8
    .kernarg_segment_size: 16
    .language:       OpenCL C
    .language_version:
      - 2
      - 0
    .max_flat_workgroup_size: 256
    .name:           _ZN2at6native29vectorized_elementwise_kernelILi8ENS0_11FillFunctorIN3c104HalfEEESt5arrayIPcLm1EEEEviT0_T1_
    .private_segment_fixed_size: 0
    .sgpr_count:     12
    .sgpr_spill_count: 0
    .symbol:         _ZN2at6native29vectorized_elementwise_kernelILi8ENS0_11FillFunctorIN3c104HalfEEESt5arrayIPcLm1EEEEviT0_T1_.kd
    .uniform_work_group_size: 1
    .uses_dynamic_stack: false
    .vgpr_count:     6
    .vgpr_spill_count: 0
    .wavefront_size: 64
  - .args:
      - .offset:         0
        .size:           4
        .value_kind:     by_value
      - .offset:         4
        .size:           2
        .value_kind:     by_value
      - .address_space:  global
        .offset:         8
        .size:           8
        .value_kind:     global_buffer
    .group_segment_fixed_size: 0
    .kernarg_segment_align: 8
    .kernarg_segment_size: 16
    .language:       OpenCL C
    .language_version:
      - 2
      - 0
    .max_flat_workgroup_size: 256
    .name:           _ZN2at6native29vectorized_elementwise_kernelILi4ENS0_11FillFunctorIN3c104HalfEEESt5arrayIPcLm1EEEEviT0_T1_
    .private_segment_fixed_size: 0
    .sgpr_count:     14
    .sgpr_spill_count: 0
    .symbol:         _ZN2at6native29vectorized_elementwise_kernelILi4ENS0_11FillFunctorIN3c104HalfEEESt5arrayIPcLm1EEEEviT0_T1_.kd
    .uniform_work_group_size: 1
    .uses_dynamic_stack: false
    .vgpr_count:     4
    .vgpr_spill_count: 0
    .wavefront_size: 64
  - .args:
      - .offset:         0
        .size:           4
        .value_kind:     by_value
      - .offset:         4
        .size:           2
        .value_kind:     by_value
      - .address_space:  global
        .offset:         8
        .size:           8
        .value_kind:     global_buffer
    .group_segment_fixed_size: 0
    .kernarg_segment_align: 8
    .kernarg_segment_size: 16
    .language:       OpenCL C
    .language_version:
      - 2
      - 0
    .max_flat_workgroup_size: 256
    .name:           _ZN2at6native29vectorized_elementwise_kernelILi2ENS0_11FillFunctorIN3c104HalfEEESt5arrayIPcLm1EEEEviT0_T1_
    .private_segment_fixed_size: 0
    .sgpr_count:     13
    .sgpr_spill_count: 0
    .symbol:         _ZN2at6native29vectorized_elementwise_kernelILi2ENS0_11FillFunctorIN3c104HalfEEESt5arrayIPcLm1EEEEviT0_T1_.kd
    .uniform_work_group_size: 1
    .uses_dynamic_stack: false
    .vgpr_count:     4
    .vgpr_spill_count: 0
    .wavefront_size: 64
  - .args:
      - .offset:         0
        .size:           4
        .value_kind:     by_value
      - .offset:         4
        .size:           2
        .value_kind:     by_value
      - .address_space:  global
        .offset:         8
        .size:           8
        .value_kind:     global_buffer
      - .offset:         16
        .size:           1
        .value_kind:     by_value
      - .offset:         17
        .size:           1
        .value_kind:     by_value
      - .offset:         18
        .size:           1
        .value_kind:     by_value
      - .offset:         19
        .size:           1
        .value_kind:     by_value
    .group_segment_fixed_size: 0
    .kernarg_segment_align: 8
    .kernarg_segment_size: 20
    .language:       OpenCL C
    .language_version:
      - 2
      - 0
    .max_flat_workgroup_size: 256
    .name:           _ZN2at6native27unrolled_elementwise_kernelINS0_11FillFunctorIN3c104HalfEEESt5arrayIPcLm1EELi4E23TrivialOffsetCalculatorILi0EjES9_ILi1EjENS0_6memory15LoadWithoutCastENSC_16StoreWithoutCastEEEviT_T0_T2_T3_T4_T5_
    .private_segment_fixed_size: 0
    .sgpr_count:     11
    .sgpr_spill_count: 0
    .symbol:         _ZN2at6native27unrolled_elementwise_kernelINS0_11FillFunctorIN3c104HalfEEESt5arrayIPcLm1EELi4E23TrivialOffsetCalculatorILi0EjES9_ILi1EjENS0_6memory15LoadWithoutCastENSC_16StoreWithoutCastEEEviT_T0_T2_T3_T4_T5_.kd
    .uniform_work_group_size: 1
    .uses_dynamic_stack: false
    .vgpr_count:     4
    .vgpr_spill_count: 0
    .wavefront_size: 64
  - .args:
      - .offset:         0
        .size:           4
        .value_kind:     by_value
      - .offset:         8
        .size:           280
        .value_kind:     by_value
    .group_segment_fixed_size: 0
    .kernarg_segment_align: 8
    .kernarg_segment_size: 288
    .language:       OpenCL C
    .language_version:
      - 2
      - 0
    .max_flat_workgroup_size: 128
    .name:           _ZN2at6native32elementwise_kernel_manual_unrollILi128ELi8EZNS0_22gpu_kernel_impl_nocastINS0_11FillFunctorIN3c104HalfEEEEEvRNS_18TensorIteratorBaseERKT_EUlibE_EEviT1_
    .private_segment_fixed_size: 0
    .sgpr_count:     57
    .sgpr_spill_count: 0
    .symbol:         _ZN2at6native32elementwise_kernel_manual_unrollILi128ELi8EZNS0_22gpu_kernel_impl_nocastINS0_11FillFunctorIN3c104HalfEEEEEvRNS_18TensorIteratorBaseERKT_EUlibE_EEviT1_.kd
    .uniform_work_group_size: 1
    .uses_dynamic_stack: false
    .vgpr_count:     16
    .vgpr_spill_count: 0
    .wavefront_size: 64
  - .args:
      - .offset:         0
        .size:           4
        .value_kind:     by_value
      - .offset:         8
        .size:           16
        .value_kind:     by_value
    .group_segment_fixed_size: 0
    .kernarg_segment_align: 8
    .kernarg_segment_size: 24
    .language:       OpenCL C
    .language_version:
      - 2
      - 0
    .max_flat_workgroup_size: 128
    .name:           _ZN2at6native32elementwise_kernel_manual_unrollILi128ELi4EZNS0_15gpu_kernel_implINS0_11FillFunctorIN3c104HalfEEEEEvRNS_18TensorIteratorBaseERKT_EUlibE_EEviT1_
    .private_segment_fixed_size: 0
    .sgpr_count:     66
    .sgpr_spill_count: 0
    .symbol:         _ZN2at6native32elementwise_kernel_manual_unrollILi128ELi4EZNS0_15gpu_kernel_implINS0_11FillFunctorIN3c104HalfEEEEEvRNS_18TensorIteratorBaseERKT_EUlibE_EEviT1_.kd
    .uniform_work_group_size: 1
    .uses_dynamic_stack: false
    .vgpr_count:     21
    .vgpr_spill_count: 0
    .wavefront_size: 64
  - .args:
      - .offset:         0
        .size:           4
        .value_kind:     by_value
      - .offset:         8
        .size:           280
        .value_kind:     by_value
    .group_segment_fixed_size: 0
    .kernarg_segment_align: 8
    .kernarg_segment_size: 288
    .language:       OpenCL C
    .language_version:
      - 2
      - 0
    .max_flat_workgroup_size: 128
    .name:           _ZN2at6native32elementwise_kernel_manual_unrollILi128ELi4EZNS0_15gpu_kernel_implINS0_11FillFunctorIN3c104HalfEEEEEvRNS_18TensorIteratorBaseERKT_EUlibE0_EEviT1_
    .private_segment_fixed_size: 0
    .sgpr_count:     100
    .sgpr_spill_count: 0
    .symbol:         _ZN2at6native32elementwise_kernel_manual_unrollILi128ELi4EZNS0_15gpu_kernel_implINS0_11FillFunctorIN3c104HalfEEEEEvRNS_18TensorIteratorBaseERKT_EUlibE0_EEviT1_.kd
    .uniform_work_group_size: 1
    .uses_dynamic_stack: false
    .vgpr_count:     24
    .vgpr_spill_count: 0
    .wavefront_size: 64
  - .args:
      - .offset:         0
        .size:           4
        .value_kind:     by_value
      - .offset:         4
        .size:           2
        .value_kind:     by_value
      - .address_space:  global
        .offset:         8
        .size:           8
        .value_kind:     global_buffer
    .group_segment_fixed_size: 0
    .kernarg_segment_align: 8
    .kernarg_segment_size: 16
    .language:       OpenCL C
    .language_version:
      - 2
      - 0
    .max_flat_workgroup_size: 256
    .name:           _ZN2at6native29vectorized_elementwise_kernelILi16ENS0_11FillFunctorIN3c108BFloat16EEESt5arrayIPcLm1EEEEviT0_T1_
    .private_segment_fixed_size: 0
    .sgpr_count:     12
    .sgpr_spill_count: 0
    .symbol:         _ZN2at6native29vectorized_elementwise_kernelILi16ENS0_11FillFunctorIN3c108BFloat16EEESt5arrayIPcLm1EEEEviT0_T1_.kd
    .uniform_work_group_size: 1
    .uses_dynamic_stack: false
    .vgpr_count:     6
    .vgpr_spill_count: 0
    .wavefront_size: 64
  - .args:
      - .offset:         0
        .size:           4
        .value_kind:     by_value
      - .offset:         4
        .size:           2
        .value_kind:     by_value
      - .address_space:  global
        .offset:         8
        .size:           8
        .value_kind:     global_buffer
    .group_segment_fixed_size: 0
    .kernarg_segment_align: 8
    .kernarg_segment_size: 16
    .language:       OpenCL C
    .language_version:
      - 2
      - 0
    .max_flat_workgroup_size: 256
    .name:           _ZN2at6native29vectorized_elementwise_kernelILi8ENS0_11FillFunctorIN3c108BFloat16EEESt5arrayIPcLm1EEEEviT0_T1_
    .private_segment_fixed_size: 0
    .sgpr_count:     12
    .sgpr_spill_count: 0
    .symbol:         _ZN2at6native29vectorized_elementwise_kernelILi8ENS0_11FillFunctorIN3c108BFloat16EEESt5arrayIPcLm1EEEEviT0_T1_.kd
    .uniform_work_group_size: 1
    .uses_dynamic_stack: false
    .vgpr_count:     6
    .vgpr_spill_count: 0
    .wavefront_size: 64
  - .args:
      - .offset:         0
        .size:           4
        .value_kind:     by_value
      - .offset:         4
        .size:           2
        .value_kind:     by_value
      - .address_space:  global
        .offset:         8
        .size:           8
        .value_kind:     global_buffer
    .group_segment_fixed_size: 0
    .kernarg_segment_align: 8
    .kernarg_segment_size: 16
    .language:       OpenCL C
    .language_version:
      - 2
      - 0
    .max_flat_workgroup_size: 256
    .name:           _ZN2at6native29vectorized_elementwise_kernelILi4ENS0_11FillFunctorIN3c108BFloat16EEESt5arrayIPcLm1EEEEviT0_T1_
    .private_segment_fixed_size: 0
    .sgpr_count:     14
    .sgpr_spill_count: 0
    .symbol:         _ZN2at6native29vectorized_elementwise_kernelILi4ENS0_11FillFunctorIN3c108BFloat16EEESt5arrayIPcLm1EEEEviT0_T1_.kd
    .uniform_work_group_size: 1
    .uses_dynamic_stack: false
    .vgpr_count:     4
    .vgpr_spill_count: 0
    .wavefront_size: 64
  - .args:
      - .offset:         0
        .size:           4
        .value_kind:     by_value
      - .offset:         4
        .size:           2
        .value_kind:     by_value
      - .address_space:  global
        .offset:         8
        .size:           8
        .value_kind:     global_buffer
    .group_segment_fixed_size: 0
    .kernarg_segment_align: 8
    .kernarg_segment_size: 16
    .language:       OpenCL C
    .language_version:
      - 2
      - 0
    .max_flat_workgroup_size: 256
    .name:           _ZN2at6native29vectorized_elementwise_kernelILi2ENS0_11FillFunctorIN3c108BFloat16EEESt5arrayIPcLm1EEEEviT0_T1_
    .private_segment_fixed_size: 0
    .sgpr_count:     13
    .sgpr_spill_count: 0
    .symbol:         _ZN2at6native29vectorized_elementwise_kernelILi2ENS0_11FillFunctorIN3c108BFloat16EEESt5arrayIPcLm1EEEEviT0_T1_.kd
    .uniform_work_group_size: 1
    .uses_dynamic_stack: false
    .vgpr_count:     4
    .vgpr_spill_count: 0
    .wavefront_size: 64
  - .args:
      - .offset:         0
        .size:           4
        .value_kind:     by_value
      - .offset:         4
        .size:           2
        .value_kind:     by_value
      - .address_space:  global
        .offset:         8
        .size:           8
        .value_kind:     global_buffer
      - .offset:         16
        .size:           1
        .value_kind:     by_value
      - .offset:         17
        .size:           1
        .value_kind:     by_value
      - .offset:         18
        .size:           1
        .value_kind:     by_value
      - .offset:         19
        .size:           1
        .value_kind:     by_value
    .group_segment_fixed_size: 0
    .kernarg_segment_align: 8
    .kernarg_segment_size: 20
    .language:       OpenCL C
    .language_version:
      - 2
      - 0
    .max_flat_workgroup_size: 256
    .name:           _ZN2at6native27unrolled_elementwise_kernelINS0_11FillFunctorIN3c108BFloat16EEESt5arrayIPcLm1EELi4E23TrivialOffsetCalculatorILi0EjES9_ILi1EjENS0_6memory15LoadWithoutCastENSC_16StoreWithoutCastEEEviT_T0_T2_T3_T4_T5_
    .private_segment_fixed_size: 0
    .sgpr_count:     11
    .sgpr_spill_count: 0
    .symbol:         _ZN2at6native27unrolled_elementwise_kernelINS0_11FillFunctorIN3c108BFloat16EEESt5arrayIPcLm1EELi4E23TrivialOffsetCalculatorILi0EjES9_ILi1EjENS0_6memory15LoadWithoutCastENSC_16StoreWithoutCastEEEviT_T0_T2_T3_T4_T5_.kd
    .uniform_work_group_size: 1
    .uses_dynamic_stack: false
    .vgpr_count:     4
    .vgpr_spill_count: 0
    .wavefront_size: 64
  - .args:
      - .offset:         0
        .size:           4
        .value_kind:     by_value
      - .offset:         8
        .size:           280
        .value_kind:     by_value
    .group_segment_fixed_size: 0
    .kernarg_segment_align: 8
    .kernarg_segment_size: 288
    .language:       OpenCL C
    .language_version:
      - 2
      - 0
    .max_flat_workgroup_size: 128
    .name:           _ZN2at6native32elementwise_kernel_manual_unrollILi128ELi8EZNS0_22gpu_kernel_impl_nocastINS0_11FillFunctorIN3c108BFloat16EEEEEvRNS_18TensorIteratorBaseERKT_EUlibE_EEviT1_
    .private_segment_fixed_size: 0
    .sgpr_count:     57
    .sgpr_spill_count: 0
    .symbol:         _ZN2at6native32elementwise_kernel_manual_unrollILi128ELi8EZNS0_22gpu_kernel_impl_nocastINS0_11FillFunctorIN3c108BFloat16EEEEEvRNS_18TensorIteratorBaseERKT_EUlibE_EEviT1_.kd
    .uniform_work_group_size: 1
    .uses_dynamic_stack: false
    .vgpr_count:     16
    .vgpr_spill_count: 0
    .wavefront_size: 64
  - .args:
      - .offset:         0
        .size:           4
        .value_kind:     by_value
      - .offset:         8
        .size:           16
        .value_kind:     by_value
    .group_segment_fixed_size: 0
    .kernarg_segment_align: 8
    .kernarg_segment_size: 24
    .language:       OpenCL C
    .language_version:
      - 2
      - 0
    .max_flat_workgroup_size: 128
    .name:           _ZN2at6native32elementwise_kernel_manual_unrollILi128ELi4EZNS0_15gpu_kernel_implINS0_11FillFunctorIN3c108BFloat16EEEEEvRNS_18TensorIteratorBaseERKT_EUlibE_EEviT1_
    .private_segment_fixed_size: 0
    .sgpr_count:     70
    .sgpr_spill_count: 0
    .symbol:         _ZN2at6native32elementwise_kernel_manual_unrollILi128ELi4EZNS0_15gpu_kernel_implINS0_11FillFunctorIN3c108BFloat16EEEEEvRNS_18TensorIteratorBaseERKT_EUlibE_EEviT1_.kd
    .uniform_work_group_size: 1
    .uses_dynamic_stack: false
    .vgpr_count:     16
    .vgpr_spill_count: 0
    .wavefront_size: 64
  - .args:
      - .offset:         0
        .size:           4
        .value_kind:     by_value
      - .offset:         8
        .size:           280
        .value_kind:     by_value
    .group_segment_fixed_size: 0
    .kernarg_segment_align: 8
    .kernarg_segment_size: 288
    .language:       OpenCL C
    .language_version:
      - 2
      - 0
    .max_flat_workgroup_size: 128
    .name:           _ZN2at6native32elementwise_kernel_manual_unrollILi128ELi4EZNS0_15gpu_kernel_implINS0_11FillFunctorIN3c108BFloat16EEEEEvRNS_18TensorIteratorBaseERKT_EUlibE0_EEviT1_
    .private_segment_fixed_size: 0
    .sgpr_count:     100
    .sgpr_spill_count: 4
    .symbol:         _ZN2at6native32elementwise_kernel_manual_unrollILi128ELi4EZNS0_15gpu_kernel_implINS0_11FillFunctorIN3c108BFloat16EEEEEvRNS_18TensorIteratorBaseERKT_EUlibE0_EEviT1_.kd
    .uniform_work_group_size: 1
    .uses_dynamic_stack: false
    .vgpr_count:     21
    .vgpr_spill_count: 0
    .wavefront_size: 64
  - .args:
      - .offset:         0
        .size:           4
        .value_kind:     by_value
      - .offset:         4
        .size:           1
        .value_kind:     by_value
      - .address_space:  global
        .offset:         8
        .size:           8
        .value_kind:     global_buffer
    .group_segment_fixed_size: 0
    .kernarg_segment_align: 8
    .kernarg_segment_size: 16
    .language:       OpenCL C
    .language_version:
      - 2
      - 0
    .max_flat_workgroup_size: 256
    .name:           _ZN2at6native29vectorized_elementwise_kernelILi16ENS0_11FillFunctorIN3c1011Float8_e5m2EEESt5arrayIPcLm1EEEEviT0_T1_
    .private_segment_fixed_size: 0
    .sgpr_count:     13
    .sgpr_spill_count: 0
    .symbol:         _ZN2at6native29vectorized_elementwise_kernelILi16ENS0_11FillFunctorIN3c1011Float8_e5m2EEESt5arrayIPcLm1EEEEviT0_T1_.kd
    .uniform_work_group_size: 1
    .uses_dynamic_stack: false
    .vgpr_count:     6
    .vgpr_spill_count: 0
    .wavefront_size: 64
  - .args:
      - .offset:         0
        .size:           4
        .value_kind:     by_value
      - .offset:         4
        .size:           1
        .value_kind:     by_value
      - .address_space:  global
        .offset:         8
        .size:           8
        .value_kind:     global_buffer
    .group_segment_fixed_size: 0
    .kernarg_segment_align: 8
    .kernarg_segment_size: 16
    .language:       OpenCL C
    .language_version:
      - 2
      - 0
    .max_flat_workgroup_size: 256
    .name:           _ZN2at6native29vectorized_elementwise_kernelILi8ENS0_11FillFunctorIN3c1011Float8_e5m2EEESt5arrayIPcLm1EEEEviT0_T1_
    .private_segment_fixed_size: 0
    .sgpr_count:     14
    .sgpr_spill_count: 0
    .symbol:         _ZN2at6native29vectorized_elementwise_kernelILi8ENS0_11FillFunctorIN3c1011Float8_e5m2EEESt5arrayIPcLm1EEEEviT0_T1_.kd
    .uniform_work_group_size: 1
    .uses_dynamic_stack: false
    .vgpr_count:     4
    .vgpr_spill_count: 0
    .wavefront_size: 64
  - .args:
      - .offset:         0
        .size:           4
        .value_kind:     by_value
      - .offset:         4
        .size:           1
        .value_kind:     by_value
      - .address_space:  global
        .offset:         8
        .size:           8
        .value_kind:     global_buffer
    .group_segment_fixed_size: 0
    .kernarg_segment_align: 8
    .kernarg_segment_size: 16
    .language:       OpenCL C
    .language_version:
      - 2
      - 0
    .max_flat_workgroup_size: 256
    .name:           _ZN2at6native29vectorized_elementwise_kernelILi4ENS0_11FillFunctorIN3c1011Float8_e5m2EEESt5arrayIPcLm1EEEEviT0_T1_
    .private_segment_fixed_size: 0
    .sgpr_count:     12
    .sgpr_spill_count: 0
    .symbol:         _ZN2at6native29vectorized_elementwise_kernelILi4ENS0_11FillFunctorIN3c1011Float8_e5m2EEESt5arrayIPcLm1EEEEviT0_T1_.kd
    .uniform_work_group_size: 1
    .uses_dynamic_stack: false
    .vgpr_count:     3
    .vgpr_spill_count: 0
    .wavefront_size: 64
  - .args:
      - .offset:         0
        .size:           4
        .value_kind:     by_value
      - .offset:         4
        .size:           1
        .value_kind:     by_value
      - .address_space:  global
        .offset:         8
        .size:           8
        .value_kind:     global_buffer
    .group_segment_fixed_size: 0
    .kernarg_segment_align: 8
    .kernarg_segment_size: 16
    .language:       OpenCL C
    .language_version:
      - 2
      - 0
    .max_flat_workgroup_size: 256
    .name:           _ZN2at6native29vectorized_elementwise_kernelILi2ENS0_11FillFunctorIN3c1011Float8_e5m2EEESt5arrayIPcLm1EEEEviT0_T1_
    .private_segment_fixed_size: 0
    .sgpr_count:     12
    .sgpr_spill_count: 0
    .symbol:         _ZN2at6native29vectorized_elementwise_kernelILi2ENS0_11FillFunctorIN3c1011Float8_e5m2EEESt5arrayIPcLm1EEEEviT0_T1_.kd
    .uniform_work_group_size: 1
    .uses_dynamic_stack: false
    .vgpr_count:     3
    .vgpr_spill_count: 0
    .wavefront_size: 64
  - .args:
      - .offset:         0
        .size:           4
        .value_kind:     by_value
      - .offset:         4
        .size:           1
        .value_kind:     by_value
      - .address_space:  global
        .offset:         8
        .size:           8
        .value_kind:     global_buffer
      - .offset:         16
        .size:           1
        .value_kind:     by_value
      - .offset:         17
        .size:           1
        .value_kind:     by_value
      - .offset:         18
        .size:           1
        .value_kind:     by_value
      - .offset:         19
        .size:           1
        .value_kind:     by_value
    .group_segment_fixed_size: 0
    .kernarg_segment_align: 8
    .kernarg_segment_size: 20
    .language:       OpenCL C
    .language_version:
      - 2
      - 0
    .max_flat_workgroup_size: 256
    .name:           _ZN2at6native27unrolled_elementwise_kernelINS0_11FillFunctorIN3c1011Float8_e5m2EEESt5arrayIPcLm1EELi4E23TrivialOffsetCalculatorILi0EjES9_ILi1EjENS0_6memory15LoadWithoutCastENSC_16StoreWithoutCastEEEviT_T0_T2_T3_T4_T5_
    .private_segment_fixed_size: 0
    .sgpr_count:     11
    .sgpr_spill_count: 0
    .symbol:         _ZN2at6native27unrolled_elementwise_kernelINS0_11FillFunctorIN3c1011Float8_e5m2EEESt5arrayIPcLm1EELi4E23TrivialOffsetCalculatorILi0EjES9_ILi1EjENS0_6memory15LoadWithoutCastENSC_16StoreWithoutCastEEEviT_T0_T2_T3_T4_T5_.kd
    .uniform_work_group_size: 1
    .uses_dynamic_stack: false
    .vgpr_count:     3
    .vgpr_spill_count: 0
    .wavefront_size: 64
  - .args:
      - .offset:         0
        .size:           4
        .value_kind:     by_value
      - .offset:         8
        .size:           280
        .value_kind:     by_value
    .group_segment_fixed_size: 0
    .kernarg_segment_align: 8
    .kernarg_segment_size: 288
    .language:       OpenCL C
    .language_version:
      - 2
      - 0
    .max_flat_workgroup_size: 128
    .name:           _ZN2at6native32elementwise_kernel_manual_unrollILi128ELi8EZNS0_22gpu_kernel_impl_nocastINS0_11FillFunctorIN3c1011Float8_e5m2EEEEEvRNS_18TensorIteratorBaseERKT_EUlibE_EEviT1_
    .private_segment_fixed_size: 0
    .sgpr_count:     57
    .sgpr_spill_count: 0
    .symbol:         _ZN2at6native32elementwise_kernel_manual_unrollILi128ELi8EZNS0_22gpu_kernel_impl_nocastINS0_11FillFunctorIN3c1011Float8_e5m2EEEEEvRNS_18TensorIteratorBaseERKT_EUlibE_EEviT1_.kd
    .uniform_work_group_size: 1
    .uses_dynamic_stack: false
    .vgpr_count:     16
    .vgpr_spill_count: 0
    .wavefront_size: 64
  - .args:
      - .offset:         0
        .size:           4
        .value_kind:     by_value
      - .offset:         8
        .size:           16
        .value_kind:     by_value
    .group_segment_fixed_size: 0
    .kernarg_segment_align: 8
    .kernarg_segment_size: 24
    .language:       OpenCL C
    .language_version:
      - 2
      - 0
    .max_flat_workgroup_size: 128
    .name:           _ZN2at6native32elementwise_kernel_manual_unrollILi128ELi4EZNS0_15gpu_kernel_implINS0_11FillFunctorIN3c1011Float8_e5m2EEEEEvRNS_18TensorIteratorBaseERKT_EUlibE_EEviT1_
    .private_segment_fixed_size: 0
    .sgpr_count:     58
    .sgpr_spill_count: 0
    .symbol:         _ZN2at6native32elementwise_kernel_manual_unrollILi128ELi4EZNS0_15gpu_kernel_implINS0_11FillFunctorIN3c1011Float8_e5m2EEEEEvRNS_18TensorIteratorBaseERKT_EUlibE_EEviT1_.kd
    .uniform_work_group_size: 1
    .uses_dynamic_stack: false
    .vgpr_count:     20
    .vgpr_spill_count: 0
    .wavefront_size: 64
  - .args:
      - .offset:         0
        .size:           4
        .value_kind:     by_value
      - .offset:         8
        .size:           280
        .value_kind:     by_value
    .group_segment_fixed_size: 0
    .kernarg_segment_align: 8
    .kernarg_segment_size: 288
    .language:       OpenCL C
    .language_version:
      - 2
      - 0
    .max_flat_workgroup_size: 128
    .name:           _ZN2at6native32elementwise_kernel_manual_unrollILi128ELi4EZNS0_15gpu_kernel_implINS0_11FillFunctorIN3c1011Float8_e5m2EEEEEvRNS_18TensorIteratorBaseERKT_EUlibE0_EEviT1_
    .private_segment_fixed_size: 0
    .sgpr_count:     92
    .sgpr_spill_count: 0
    .symbol:         _ZN2at6native32elementwise_kernel_manual_unrollILi128ELi4EZNS0_15gpu_kernel_implINS0_11FillFunctorIN3c1011Float8_e5m2EEEEEvRNS_18TensorIteratorBaseERKT_EUlibE0_EEviT1_.kd
    .uniform_work_group_size: 1
    .uses_dynamic_stack: false
    .vgpr_count:     24
    .vgpr_spill_count: 0
    .wavefront_size: 64
  - .args:
      - .offset:         0
        .size:           4
        .value_kind:     by_value
      - .offset:         4
        .size:           1
        .value_kind:     by_value
      - .address_space:  global
        .offset:         8
        .size:           8
        .value_kind:     global_buffer
    .group_segment_fixed_size: 0
    .kernarg_segment_align: 8
    .kernarg_segment_size: 16
    .language:       OpenCL C
    .language_version:
      - 2
      - 0
    .max_flat_workgroup_size: 256
    .name:           _ZN2at6native29vectorized_elementwise_kernelILi16ENS0_11FillFunctorIN3c1015Float8_e5m2fnuzEEESt5arrayIPcLm1EEEEviT0_T1_
    .private_segment_fixed_size: 0
    .sgpr_count:     13
    .sgpr_spill_count: 0
    .symbol:         _ZN2at6native29vectorized_elementwise_kernelILi16ENS0_11FillFunctorIN3c1015Float8_e5m2fnuzEEESt5arrayIPcLm1EEEEviT0_T1_.kd
    .uniform_work_group_size: 1
    .uses_dynamic_stack: false
    .vgpr_count:     6
    .vgpr_spill_count: 0
    .wavefront_size: 64
  - .args:
      - .offset:         0
        .size:           4
        .value_kind:     by_value
      - .offset:         4
        .size:           1
        .value_kind:     by_value
      - .address_space:  global
        .offset:         8
        .size:           8
        .value_kind:     global_buffer
    .group_segment_fixed_size: 0
    .kernarg_segment_align: 8
    .kernarg_segment_size: 16
    .language:       OpenCL C
    .language_version:
      - 2
      - 0
    .max_flat_workgroup_size: 256
    .name:           _ZN2at6native29vectorized_elementwise_kernelILi8ENS0_11FillFunctorIN3c1015Float8_e5m2fnuzEEESt5arrayIPcLm1EEEEviT0_T1_
    .private_segment_fixed_size: 0
    .sgpr_count:     14
    .sgpr_spill_count: 0
    .symbol:         _ZN2at6native29vectorized_elementwise_kernelILi8ENS0_11FillFunctorIN3c1015Float8_e5m2fnuzEEESt5arrayIPcLm1EEEEviT0_T1_.kd
    .uniform_work_group_size: 1
    .uses_dynamic_stack: false
    .vgpr_count:     4
    .vgpr_spill_count: 0
    .wavefront_size: 64
  - .args:
      - .offset:         0
        .size:           4
        .value_kind:     by_value
      - .offset:         4
        .size:           1
        .value_kind:     by_value
      - .address_space:  global
        .offset:         8
        .size:           8
        .value_kind:     global_buffer
    .group_segment_fixed_size: 0
    .kernarg_segment_align: 8
    .kernarg_segment_size: 16
    .language:       OpenCL C
    .language_version:
      - 2
      - 0
    .max_flat_workgroup_size: 256
    .name:           _ZN2at6native29vectorized_elementwise_kernelILi4ENS0_11FillFunctorIN3c1015Float8_e5m2fnuzEEESt5arrayIPcLm1EEEEviT0_T1_
    .private_segment_fixed_size: 0
    .sgpr_count:     12
    .sgpr_spill_count: 0
    .symbol:         _ZN2at6native29vectorized_elementwise_kernelILi4ENS0_11FillFunctorIN3c1015Float8_e5m2fnuzEEESt5arrayIPcLm1EEEEviT0_T1_.kd
    .uniform_work_group_size: 1
    .uses_dynamic_stack: false
    .vgpr_count:     3
    .vgpr_spill_count: 0
    .wavefront_size: 64
  - .args:
      - .offset:         0
        .size:           4
        .value_kind:     by_value
      - .offset:         4
        .size:           1
        .value_kind:     by_value
      - .address_space:  global
        .offset:         8
        .size:           8
        .value_kind:     global_buffer
    .group_segment_fixed_size: 0
    .kernarg_segment_align: 8
    .kernarg_segment_size: 16
    .language:       OpenCL C
    .language_version:
      - 2
      - 0
    .max_flat_workgroup_size: 256
    .name:           _ZN2at6native29vectorized_elementwise_kernelILi2ENS0_11FillFunctorIN3c1015Float8_e5m2fnuzEEESt5arrayIPcLm1EEEEviT0_T1_
    .private_segment_fixed_size: 0
    .sgpr_count:     12
    .sgpr_spill_count: 0
    .symbol:         _ZN2at6native29vectorized_elementwise_kernelILi2ENS0_11FillFunctorIN3c1015Float8_e5m2fnuzEEESt5arrayIPcLm1EEEEviT0_T1_.kd
    .uniform_work_group_size: 1
    .uses_dynamic_stack: false
    .vgpr_count:     3
    .vgpr_spill_count: 0
    .wavefront_size: 64
  - .args:
      - .offset:         0
        .size:           4
        .value_kind:     by_value
      - .offset:         4
        .size:           1
        .value_kind:     by_value
      - .address_space:  global
        .offset:         8
        .size:           8
        .value_kind:     global_buffer
      - .offset:         16
        .size:           1
        .value_kind:     by_value
      - .offset:         17
        .size:           1
        .value_kind:     by_value
      - .offset:         18
        .size:           1
        .value_kind:     by_value
      - .offset:         19
        .size:           1
        .value_kind:     by_value
    .group_segment_fixed_size: 0
    .kernarg_segment_align: 8
    .kernarg_segment_size: 20
    .language:       OpenCL C
    .language_version:
      - 2
      - 0
    .max_flat_workgroup_size: 256
    .name:           _ZN2at6native27unrolled_elementwise_kernelINS0_11FillFunctorIN3c1015Float8_e5m2fnuzEEESt5arrayIPcLm1EELi4E23TrivialOffsetCalculatorILi0EjES9_ILi1EjENS0_6memory15LoadWithoutCastENSC_16StoreWithoutCastEEEviT_T0_T2_T3_T4_T5_
    .private_segment_fixed_size: 0
    .sgpr_count:     11
    .sgpr_spill_count: 0
    .symbol:         _ZN2at6native27unrolled_elementwise_kernelINS0_11FillFunctorIN3c1015Float8_e5m2fnuzEEESt5arrayIPcLm1EELi4E23TrivialOffsetCalculatorILi0EjES9_ILi1EjENS0_6memory15LoadWithoutCastENSC_16StoreWithoutCastEEEviT_T0_T2_T3_T4_T5_.kd
    .uniform_work_group_size: 1
    .uses_dynamic_stack: false
    .vgpr_count:     3
    .vgpr_spill_count: 0
    .wavefront_size: 64
  - .args:
      - .offset:         0
        .size:           4
        .value_kind:     by_value
      - .offset:         8
        .size:           280
        .value_kind:     by_value
    .group_segment_fixed_size: 0
    .kernarg_segment_align: 8
    .kernarg_segment_size: 288
    .language:       OpenCL C
    .language_version:
      - 2
      - 0
    .max_flat_workgroup_size: 128
    .name:           _ZN2at6native32elementwise_kernel_manual_unrollILi128ELi8EZNS0_22gpu_kernel_impl_nocastINS0_11FillFunctorIN3c1015Float8_e5m2fnuzEEEEEvRNS_18TensorIteratorBaseERKT_EUlibE_EEviT1_
    .private_segment_fixed_size: 0
    .sgpr_count:     57
    .sgpr_spill_count: 0
    .symbol:         _ZN2at6native32elementwise_kernel_manual_unrollILi128ELi8EZNS0_22gpu_kernel_impl_nocastINS0_11FillFunctorIN3c1015Float8_e5m2fnuzEEEEEvRNS_18TensorIteratorBaseERKT_EUlibE_EEviT1_.kd
    .uniform_work_group_size: 1
    .uses_dynamic_stack: false
    .vgpr_count:     16
    .vgpr_spill_count: 0
    .wavefront_size: 64
  - .args:
      - .offset:         0
        .size:           4
        .value_kind:     by_value
      - .offset:         8
        .size:           16
        .value_kind:     by_value
    .group_segment_fixed_size: 0
    .kernarg_segment_align: 8
    .kernarg_segment_size: 24
    .language:       OpenCL C
    .language_version:
      - 2
      - 0
    .max_flat_workgroup_size: 128
    .name:           _ZN2at6native32elementwise_kernel_manual_unrollILi128ELi4EZNS0_15gpu_kernel_implINS0_11FillFunctorIN3c1015Float8_e5m2fnuzEEEEEvRNS_18TensorIteratorBaseERKT_EUlibE_EEviT1_
    .private_segment_fixed_size: 0
    .sgpr_count:     40
    .sgpr_spill_count: 0
    .symbol:         _ZN2at6native32elementwise_kernel_manual_unrollILi128ELi4EZNS0_15gpu_kernel_implINS0_11FillFunctorIN3c1015Float8_e5m2fnuzEEEEEvRNS_18TensorIteratorBaseERKT_EUlibE_EEviT1_.kd
    .uniform_work_group_size: 1
    .uses_dynamic_stack: false
    .vgpr_count:     17
    .vgpr_spill_count: 0
    .wavefront_size: 64
  - .args:
      - .offset:         0
        .size:           4
        .value_kind:     by_value
      - .offset:         8
        .size:           280
        .value_kind:     by_value
    .group_segment_fixed_size: 0
    .kernarg_segment_align: 8
    .kernarg_segment_size: 288
    .language:       OpenCL C
    .language_version:
      - 2
      - 0
    .max_flat_workgroup_size: 128
    .name:           _ZN2at6native32elementwise_kernel_manual_unrollILi128ELi4EZNS0_15gpu_kernel_implINS0_11FillFunctorIN3c1015Float8_e5m2fnuzEEEEEvRNS_18TensorIteratorBaseERKT_EUlibE0_EEviT1_
    .private_segment_fixed_size: 0
    .sgpr_count:     73
    .sgpr_spill_count: 0
    .symbol:         _ZN2at6native32elementwise_kernel_manual_unrollILi128ELi4EZNS0_15gpu_kernel_implINS0_11FillFunctorIN3c1015Float8_e5m2fnuzEEEEEvRNS_18TensorIteratorBaseERKT_EUlibE0_EEviT1_.kd
    .uniform_work_group_size: 1
    .uses_dynamic_stack: false
    .vgpr_count:     19
    .vgpr_spill_count: 0
    .wavefront_size: 64
  - .args:
      - .offset:         0
        .size:           4
        .value_kind:     by_value
      - .offset:         4
        .size:           1
        .value_kind:     by_value
      - .address_space:  global
        .offset:         8
        .size:           8
        .value_kind:     global_buffer
    .group_segment_fixed_size: 0
    .kernarg_segment_align: 8
    .kernarg_segment_size: 16
    .language:       OpenCL C
    .language_version:
      - 2
      - 0
    .max_flat_workgroup_size: 256
    .name:           _ZN2at6native29vectorized_elementwise_kernelILi16ENS0_11FillFunctorIN3c1013Float8_e4m3fnEEESt5arrayIPcLm1EEEEviT0_T1_
    .private_segment_fixed_size: 0
    .sgpr_count:     13
    .sgpr_spill_count: 0
    .symbol:         _ZN2at6native29vectorized_elementwise_kernelILi16ENS0_11FillFunctorIN3c1013Float8_e4m3fnEEESt5arrayIPcLm1EEEEviT0_T1_.kd
    .uniform_work_group_size: 1
    .uses_dynamic_stack: false
    .vgpr_count:     6
    .vgpr_spill_count: 0
    .wavefront_size: 64
  - .args:
      - .offset:         0
        .size:           4
        .value_kind:     by_value
      - .offset:         4
        .size:           1
        .value_kind:     by_value
      - .address_space:  global
        .offset:         8
        .size:           8
        .value_kind:     global_buffer
    .group_segment_fixed_size: 0
    .kernarg_segment_align: 8
    .kernarg_segment_size: 16
    .language:       OpenCL C
    .language_version:
      - 2
      - 0
    .max_flat_workgroup_size: 256
    .name:           _ZN2at6native29vectorized_elementwise_kernelILi8ENS0_11FillFunctorIN3c1013Float8_e4m3fnEEESt5arrayIPcLm1EEEEviT0_T1_
    .private_segment_fixed_size: 0
    .sgpr_count:     14
    .sgpr_spill_count: 0
    .symbol:         _ZN2at6native29vectorized_elementwise_kernelILi8ENS0_11FillFunctorIN3c1013Float8_e4m3fnEEESt5arrayIPcLm1EEEEviT0_T1_.kd
    .uniform_work_group_size: 1
    .uses_dynamic_stack: false
    .vgpr_count:     4
    .vgpr_spill_count: 0
    .wavefront_size: 64
  - .args:
      - .offset:         0
        .size:           4
        .value_kind:     by_value
      - .offset:         4
        .size:           1
        .value_kind:     by_value
      - .address_space:  global
        .offset:         8
        .size:           8
        .value_kind:     global_buffer
    .group_segment_fixed_size: 0
    .kernarg_segment_align: 8
    .kernarg_segment_size: 16
    .language:       OpenCL C
    .language_version:
      - 2
      - 0
    .max_flat_workgroup_size: 256
    .name:           _ZN2at6native29vectorized_elementwise_kernelILi4ENS0_11FillFunctorIN3c1013Float8_e4m3fnEEESt5arrayIPcLm1EEEEviT0_T1_
    .private_segment_fixed_size: 0
    .sgpr_count:     12
    .sgpr_spill_count: 0
    .symbol:         _ZN2at6native29vectorized_elementwise_kernelILi4ENS0_11FillFunctorIN3c1013Float8_e4m3fnEEESt5arrayIPcLm1EEEEviT0_T1_.kd
    .uniform_work_group_size: 1
    .uses_dynamic_stack: false
    .vgpr_count:     3
    .vgpr_spill_count: 0
    .wavefront_size: 64
  - .args:
      - .offset:         0
        .size:           4
        .value_kind:     by_value
      - .offset:         4
        .size:           1
        .value_kind:     by_value
      - .address_space:  global
        .offset:         8
        .size:           8
        .value_kind:     global_buffer
    .group_segment_fixed_size: 0
    .kernarg_segment_align: 8
    .kernarg_segment_size: 16
    .language:       OpenCL C
    .language_version:
      - 2
      - 0
    .max_flat_workgroup_size: 256
    .name:           _ZN2at6native29vectorized_elementwise_kernelILi2ENS0_11FillFunctorIN3c1013Float8_e4m3fnEEESt5arrayIPcLm1EEEEviT0_T1_
    .private_segment_fixed_size: 0
    .sgpr_count:     12
    .sgpr_spill_count: 0
    .symbol:         _ZN2at6native29vectorized_elementwise_kernelILi2ENS0_11FillFunctorIN3c1013Float8_e4m3fnEEESt5arrayIPcLm1EEEEviT0_T1_.kd
    .uniform_work_group_size: 1
    .uses_dynamic_stack: false
    .vgpr_count:     3
    .vgpr_spill_count: 0
    .wavefront_size: 64
  - .args:
      - .offset:         0
        .size:           4
        .value_kind:     by_value
      - .offset:         4
        .size:           1
        .value_kind:     by_value
      - .address_space:  global
        .offset:         8
        .size:           8
        .value_kind:     global_buffer
      - .offset:         16
        .size:           1
        .value_kind:     by_value
      - .offset:         17
        .size:           1
        .value_kind:     by_value
      - .offset:         18
        .size:           1
        .value_kind:     by_value
      - .offset:         19
        .size:           1
        .value_kind:     by_value
    .group_segment_fixed_size: 0
    .kernarg_segment_align: 8
    .kernarg_segment_size: 20
    .language:       OpenCL C
    .language_version:
      - 2
      - 0
    .max_flat_workgroup_size: 256
    .name:           _ZN2at6native27unrolled_elementwise_kernelINS0_11FillFunctorIN3c1013Float8_e4m3fnEEESt5arrayIPcLm1EELi4E23TrivialOffsetCalculatorILi0EjES9_ILi1EjENS0_6memory15LoadWithoutCastENSC_16StoreWithoutCastEEEviT_T0_T2_T3_T4_T5_
    .private_segment_fixed_size: 0
    .sgpr_count:     11
    .sgpr_spill_count: 0
    .symbol:         _ZN2at6native27unrolled_elementwise_kernelINS0_11FillFunctorIN3c1013Float8_e4m3fnEEESt5arrayIPcLm1EELi4E23TrivialOffsetCalculatorILi0EjES9_ILi1EjENS0_6memory15LoadWithoutCastENSC_16StoreWithoutCastEEEviT_T0_T2_T3_T4_T5_.kd
    .uniform_work_group_size: 1
    .uses_dynamic_stack: false
    .vgpr_count:     3
    .vgpr_spill_count: 0
    .wavefront_size: 64
  - .args:
      - .offset:         0
        .size:           4
        .value_kind:     by_value
      - .offset:         8
        .size:           280
        .value_kind:     by_value
    .group_segment_fixed_size: 0
    .kernarg_segment_align: 8
    .kernarg_segment_size: 288
    .language:       OpenCL C
    .language_version:
      - 2
      - 0
    .max_flat_workgroup_size: 128
    .name:           _ZN2at6native32elementwise_kernel_manual_unrollILi128ELi8EZNS0_22gpu_kernel_impl_nocastINS0_11FillFunctorIN3c1013Float8_e4m3fnEEEEEvRNS_18TensorIteratorBaseERKT_EUlibE_EEviT1_
    .private_segment_fixed_size: 0
    .sgpr_count:     57
    .sgpr_spill_count: 0
    .symbol:         _ZN2at6native32elementwise_kernel_manual_unrollILi128ELi8EZNS0_22gpu_kernel_impl_nocastINS0_11FillFunctorIN3c1013Float8_e4m3fnEEEEEvRNS_18TensorIteratorBaseERKT_EUlibE_EEviT1_.kd
    .uniform_work_group_size: 1
    .uses_dynamic_stack: false
    .vgpr_count:     16
    .vgpr_spill_count: 0
    .wavefront_size: 64
  - .args:
      - .offset:         0
        .size:           4
        .value_kind:     by_value
      - .offset:         8
        .size:           16
        .value_kind:     by_value
    .group_segment_fixed_size: 0
    .kernarg_segment_align: 8
    .kernarg_segment_size: 24
    .language:       OpenCL C
    .language_version:
      - 2
      - 0
    .max_flat_workgroup_size: 128
    .name:           _ZN2at6native32elementwise_kernel_manual_unrollILi128ELi4EZNS0_15gpu_kernel_implINS0_11FillFunctorIN3c1013Float8_e4m3fnEEEEEvRNS_18TensorIteratorBaseERKT_EUlibE_EEviT1_
    .private_segment_fixed_size: 0
    .sgpr_count:     60
    .sgpr_spill_count: 0
    .symbol:         _ZN2at6native32elementwise_kernel_manual_unrollILi128ELi4EZNS0_15gpu_kernel_implINS0_11FillFunctorIN3c1013Float8_e4m3fnEEEEEvRNS_18TensorIteratorBaseERKT_EUlibE_EEviT1_.kd
    .uniform_work_group_size: 1
    .uses_dynamic_stack: false
    .vgpr_count:     18
    .vgpr_spill_count: 0
    .wavefront_size: 64
  - .args:
      - .offset:         0
        .size:           4
        .value_kind:     by_value
      - .offset:         8
        .size:           280
        .value_kind:     by_value
    .group_segment_fixed_size: 0
    .kernarg_segment_align: 8
    .kernarg_segment_size: 288
    .language:       OpenCL C
    .language_version:
      - 2
      - 0
    .max_flat_workgroup_size: 128
    .name:           _ZN2at6native32elementwise_kernel_manual_unrollILi128ELi4EZNS0_15gpu_kernel_implINS0_11FillFunctorIN3c1013Float8_e4m3fnEEEEEvRNS_18TensorIteratorBaseERKT_EUlibE0_EEviT1_
    .private_segment_fixed_size: 0
    .sgpr_count:     94
    .sgpr_spill_count: 0
    .symbol:         _ZN2at6native32elementwise_kernel_manual_unrollILi128ELi4EZNS0_15gpu_kernel_implINS0_11FillFunctorIN3c1013Float8_e4m3fnEEEEEvRNS_18TensorIteratorBaseERKT_EUlibE0_EEviT1_.kd
    .uniform_work_group_size: 1
    .uses_dynamic_stack: false
    .vgpr_count:     22
    .vgpr_spill_count: 0
    .wavefront_size: 64
  - .args:
      - .offset:         0
        .size:           4
        .value_kind:     by_value
      - .offset:         4
        .size:           1
        .value_kind:     by_value
      - .address_space:  global
        .offset:         8
        .size:           8
        .value_kind:     global_buffer
    .group_segment_fixed_size: 0
    .kernarg_segment_align: 8
    .kernarg_segment_size: 16
    .language:       OpenCL C
    .language_version:
      - 2
      - 0
    .max_flat_workgroup_size: 256
    .name:           _ZN2at6native29vectorized_elementwise_kernelILi16ENS0_11FillFunctorIN3c1015Float8_e4m3fnuzEEESt5arrayIPcLm1EEEEviT0_T1_
    .private_segment_fixed_size: 0
    .sgpr_count:     13
    .sgpr_spill_count: 0
    .symbol:         _ZN2at6native29vectorized_elementwise_kernelILi16ENS0_11FillFunctorIN3c1015Float8_e4m3fnuzEEESt5arrayIPcLm1EEEEviT0_T1_.kd
    .uniform_work_group_size: 1
    .uses_dynamic_stack: false
    .vgpr_count:     6
    .vgpr_spill_count: 0
    .wavefront_size: 64
  - .args:
      - .offset:         0
        .size:           4
        .value_kind:     by_value
      - .offset:         4
        .size:           1
        .value_kind:     by_value
      - .address_space:  global
        .offset:         8
        .size:           8
        .value_kind:     global_buffer
    .group_segment_fixed_size: 0
    .kernarg_segment_align: 8
    .kernarg_segment_size: 16
    .language:       OpenCL C
    .language_version:
      - 2
      - 0
    .max_flat_workgroup_size: 256
    .name:           _ZN2at6native29vectorized_elementwise_kernelILi8ENS0_11FillFunctorIN3c1015Float8_e4m3fnuzEEESt5arrayIPcLm1EEEEviT0_T1_
    .private_segment_fixed_size: 0
    .sgpr_count:     14
    .sgpr_spill_count: 0
    .symbol:         _ZN2at6native29vectorized_elementwise_kernelILi8ENS0_11FillFunctorIN3c1015Float8_e4m3fnuzEEESt5arrayIPcLm1EEEEviT0_T1_.kd
    .uniform_work_group_size: 1
    .uses_dynamic_stack: false
    .vgpr_count:     4
    .vgpr_spill_count: 0
    .wavefront_size: 64
  - .args:
      - .offset:         0
        .size:           4
        .value_kind:     by_value
      - .offset:         4
        .size:           1
        .value_kind:     by_value
      - .address_space:  global
        .offset:         8
        .size:           8
        .value_kind:     global_buffer
    .group_segment_fixed_size: 0
    .kernarg_segment_align: 8
    .kernarg_segment_size: 16
    .language:       OpenCL C
    .language_version:
      - 2
      - 0
    .max_flat_workgroup_size: 256
    .name:           _ZN2at6native29vectorized_elementwise_kernelILi4ENS0_11FillFunctorIN3c1015Float8_e4m3fnuzEEESt5arrayIPcLm1EEEEviT0_T1_
    .private_segment_fixed_size: 0
    .sgpr_count:     12
    .sgpr_spill_count: 0
    .symbol:         _ZN2at6native29vectorized_elementwise_kernelILi4ENS0_11FillFunctorIN3c1015Float8_e4m3fnuzEEESt5arrayIPcLm1EEEEviT0_T1_.kd
    .uniform_work_group_size: 1
    .uses_dynamic_stack: false
    .vgpr_count:     3
    .vgpr_spill_count: 0
    .wavefront_size: 64
  - .args:
      - .offset:         0
        .size:           4
        .value_kind:     by_value
      - .offset:         4
        .size:           1
        .value_kind:     by_value
      - .address_space:  global
        .offset:         8
        .size:           8
        .value_kind:     global_buffer
    .group_segment_fixed_size: 0
    .kernarg_segment_align: 8
    .kernarg_segment_size: 16
    .language:       OpenCL C
    .language_version:
      - 2
      - 0
    .max_flat_workgroup_size: 256
    .name:           _ZN2at6native29vectorized_elementwise_kernelILi2ENS0_11FillFunctorIN3c1015Float8_e4m3fnuzEEESt5arrayIPcLm1EEEEviT0_T1_
    .private_segment_fixed_size: 0
    .sgpr_count:     12
    .sgpr_spill_count: 0
    .symbol:         _ZN2at6native29vectorized_elementwise_kernelILi2ENS0_11FillFunctorIN3c1015Float8_e4m3fnuzEEESt5arrayIPcLm1EEEEviT0_T1_.kd
    .uniform_work_group_size: 1
    .uses_dynamic_stack: false
    .vgpr_count:     3
    .vgpr_spill_count: 0
    .wavefront_size: 64
  - .args:
      - .offset:         0
        .size:           4
        .value_kind:     by_value
      - .offset:         4
        .size:           1
        .value_kind:     by_value
      - .address_space:  global
        .offset:         8
        .size:           8
        .value_kind:     global_buffer
      - .offset:         16
        .size:           1
        .value_kind:     by_value
      - .offset:         17
        .size:           1
        .value_kind:     by_value
      - .offset:         18
        .size:           1
        .value_kind:     by_value
      - .offset:         19
        .size:           1
        .value_kind:     by_value
    .group_segment_fixed_size: 0
    .kernarg_segment_align: 8
    .kernarg_segment_size: 20
    .language:       OpenCL C
    .language_version:
      - 2
      - 0
    .max_flat_workgroup_size: 256
    .name:           _ZN2at6native27unrolled_elementwise_kernelINS0_11FillFunctorIN3c1015Float8_e4m3fnuzEEESt5arrayIPcLm1EELi4E23TrivialOffsetCalculatorILi0EjES9_ILi1EjENS0_6memory15LoadWithoutCastENSC_16StoreWithoutCastEEEviT_T0_T2_T3_T4_T5_
    .private_segment_fixed_size: 0
    .sgpr_count:     11
    .sgpr_spill_count: 0
    .symbol:         _ZN2at6native27unrolled_elementwise_kernelINS0_11FillFunctorIN3c1015Float8_e4m3fnuzEEESt5arrayIPcLm1EELi4E23TrivialOffsetCalculatorILi0EjES9_ILi1EjENS0_6memory15LoadWithoutCastENSC_16StoreWithoutCastEEEviT_T0_T2_T3_T4_T5_.kd
    .uniform_work_group_size: 1
    .uses_dynamic_stack: false
    .vgpr_count:     3
    .vgpr_spill_count: 0
    .wavefront_size: 64
  - .args:
      - .offset:         0
        .size:           4
        .value_kind:     by_value
      - .offset:         8
        .size:           280
        .value_kind:     by_value
    .group_segment_fixed_size: 0
    .kernarg_segment_align: 8
    .kernarg_segment_size: 288
    .language:       OpenCL C
    .language_version:
      - 2
      - 0
    .max_flat_workgroup_size: 128
    .name:           _ZN2at6native32elementwise_kernel_manual_unrollILi128ELi8EZNS0_22gpu_kernel_impl_nocastINS0_11FillFunctorIN3c1015Float8_e4m3fnuzEEEEEvRNS_18TensorIteratorBaseERKT_EUlibE_EEviT1_
    .private_segment_fixed_size: 0
    .sgpr_count:     57
    .sgpr_spill_count: 0
    .symbol:         _ZN2at6native32elementwise_kernel_manual_unrollILi128ELi8EZNS0_22gpu_kernel_impl_nocastINS0_11FillFunctorIN3c1015Float8_e4m3fnuzEEEEEvRNS_18TensorIteratorBaseERKT_EUlibE_EEviT1_.kd
    .uniform_work_group_size: 1
    .uses_dynamic_stack: false
    .vgpr_count:     16
    .vgpr_spill_count: 0
    .wavefront_size: 64
  - .args:
      - .offset:         0
        .size:           4
        .value_kind:     by_value
      - .offset:         8
        .size:           16
        .value_kind:     by_value
    .group_segment_fixed_size: 0
    .kernarg_segment_align: 8
    .kernarg_segment_size: 24
    .language:       OpenCL C
    .language_version:
      - 2
      - 0
    .max_flat_workgroup_size: 128
    .name:           _ZN2at6native32elementwise_kernel_manual_unrollILi128ELi4EZNS0_15gpu_kernel_implINS0_11FillFunctorIN3c1015Float8_e4m3fnuzEEEEEvRNS_18TensorIteratorBaseERKT_EUlibE_EEviT1_
    .private_segment_fixed_size: 0
    .sgpr_count:     41
    .sgpr_spill_count: 0
    .symbol:         _ZN2at6native32elementwise_kernel_manual_unrollILi128ELi4EZNS0_15gpu_kernel_implINS0_11FillFunctorIN3c1015Float8_e4m3fnuzEEEEEvRNS_18TensorIteratorBaseERKT_EUlibE_EEviT1_.kd
    .uniform_work_group_size: 1
    .uses_dynamic_stack: false
    .vgpr_count:     17
    .vgpr_spill_count: 0
    .wavefront_size: 64
  - .args:
      - .offset:         0
        .size:           4
        .value_kind:     by_value
      - .offset:         8
        .size:           280
        .value_kind:     by_value
    .group_segment_fixed_size: 0
    .kernarg_segment_align: 8
    .kernarg_segment_size: 288
    .language:       OpenCL C
    .language_version:
      - 2
      - 0
    .max_flat_workgroup_size: 128
    .name:           _ZN2at6native32elementwise_kernel_manual_unrollILi128ELi4EZNS0_15gpu_kernel_implINS0_11FillFunctorIN3c1015Float8_e4m3fnuzEEEEEvRNS_18TensorIteratorBaseERKT_EUlibE0_EEviT1_
    .private_segment_fixed_size: 0
    .sgpr_count:     73
    .sgpr_spill_count: 0
    .symbol:         _ZN2at6native32elementwise_kernel_manual_unrollILi128ELi4EZNS0_15gpu_kernel_implINS0_11FillFunctorIN3c1015Float8_e4m3fnuzEEEEEvRNS_18TensorIteratorBaseERKT_EUlibE0_EEviT1_.kd
    .uniform_work_group_size: 1
    .uses_dynamic_stack: false
    .vgpr_count:     19
    .vgpr_spill_count: 0
    .wavefront_size: 64
  - .args:
      - .offset:         0
        .size:           4
        .value_kind:     by_value
      - .offset:         4
        .size:           1
        .value_kind:     by_value
      - .address_space:  global
        .offset:         8
        .size:           8
        .value_kind:     global_buffer
    .group_segment_fixed_size: 0
    .kernarg_segment_align: 8
    .kernarg_segment_size: 16
    .language:       OpenCL C
    .language_version:
      - 2
      - 0
    .max_flat_workgroup_size: 256
    .name:           _ZN2at6native29vectorized_elementwise_kernelILi16ENS0_11FillFunctorIN3c1014Float8_e8m0fnuEEESt5arrayIPcLm1EEEEviT0_T1_
    .private_segment_fixed_size: 0
    .sgpr_count:     13
    .sgpr_spill_count: 0
    .symbol:         _ZN2at6native29vectorized_elementwise_kernelILi16ENS0_11FillFunctorIN3c1014Float8_e8m0fnuEEESt5arrayIPcLm1EEEEviT0_T1_.kd
    .uniform_work_group_size: 1
    .uses_dynamic_stack: false
    .vgpr_count:     6
    .vgpr_spill_count: 0
    .wavefront_size: 64
  - .args:
      - .offset:         0
        .size:           4
        .value_kind:     by_value
      - .offset:         4
        .size:           1
        .value_kind:     by_value
      - .address_space:  global
        .offset:         8
        .size:           8
        .value_kind:     global_buffer
    .group_segment_fixed_size: 0
    .kernarg_segment_align: 8
    .kernarg_segment_size: 16
    .language:       OpenCL C
    .language_version:
      - 2
      - 0
    .max_flat_workgroup_size: 256
    .name:           _ZN2at6native29vectorized_elementwise_kernelILi8ENS0_11FillFunctorIN3c1014Float8_e8m0fnuEEESt5arrayIPcLm1EEEEviT0_T1_
    .private_segment_fixed_size: 0
    .sgpr_count:     14
    .sgpr_spill_count: 0
    .symbol:         _ZN2at6native29vectorized_elementwise_kernelILi8ENS0_11FillFunctorIN3c1014Float8_e8m0fnuEEESt5arrayIPcLm1EEEEviT0_T1_.kd
    .uniform_work_group_size: 1
    .uses_dynamic_stack: false
    .vgpr_count:     4
    .vgpr_spill_count: 0
    .wavefront_size: 64
  - .args:
      - .offset:         0
        .size:           4
        .value_kind:     by_value
      - .offset:         4
        .size:           1
        .value_kind:     by_value
      - .address_space:  global
        .offset:         8
        .size:           8
        .value_kind:     global_buffer
    .group_segment_fixed_size: 0
    .kernarg_segment_align: 8
    .kernarg_segment_size: 16
    .language:       OpenCL C
    .language_version:
      - 2
      - 0
    .max_flat_workgroup_size: 256
    .name:           _ZN2at6native29vectorized_elementwise_kernelILi4ENS0_11FillFunctorIN3c1014Float8_e8m0fnuEEESt5arrayIPcLm1EEEEviT0_T1_
    .private_segment_fixed_size: 0
    .sgpr_count:     12
    .sgpr_spill_count: 0
    .symbol:         _ZN2at6native29vectorized_elementwise_kernelILi4ENS0_11FillFunctorIN3c1014Float8_e8m0fnuEEESt5arrayIPcLm1EEEEviT0_T1_.kd
    .uniform_work_group_size: 1
    .uses_dynamic_stack: false
    .vgpr_count:     3
    .vgpr_spill_count: 0
    .wavefront_size: 64
  - .args:
      - .offset:         0
        .size:           4
        .value_kind:     by_value
      - .offset:         4
        .size:           1
        .value_kind:     by_value
      - .address_space:  global
        .offset:         8
        .size:           8
        .value_kind:     global_buffer
    .group_segment_fixed_size: 0
    .kernarg_segment_align: 8
    .kernarg_segment_size: 16
    .language:       OpenCL C
    .language_version:
      - 2
      - 0
    .max_flat_workgroup_size: 256
    .name:           _ZN2at6native29vectorized_elementwise_kernelILi2ENS0_11FillFunctorIN3c1014Float8_e8m0fnuEEESt5arrayIPcLm1EEEEviT0_T1_
    .private_segment_fixed_size: 0
    .sgpr_count:     12
    .sgpr_spill_count: 0
    .symbol:         _ZN2at6native29vectorized_elementwise_kernelILi2ENS0_11FillFunctorIN3c1014Float8_e8m0fnuEEESt5arrayIPcLm1EEEEviT0_T1_.kd
    .uniform_work_group_size: 1
    .uses_dynamic_stack: false
    .vgpr_count:     3
    .vgpr_spill_count: 0
    .wavefront_size: 64
  - .args:
      - .offset:         0
        .size:           4
        .value_kind:     by_value
      - .offset:         4
        .size:           1
        .value_kind:     by_value
      - .address_space:  global
        .offset:         8
        .size:           8
        .value_kind:     global_buffer
      - .offset:         16
        .size:           1
        .value_kind:     by_value
      - .offset:         17
        .size:           1
        .value_kind:     by_value
      - .offset:         18
        .size:           1
        .value_kind:     by_value
      - .offset:         19
        .size:           1
        .value_kind:     by_value
    .group_segment_fixed_size: 0
    .kernarg_segment_align: 8
    .kernarg_segment_size: 20
    .language:       OpenCL C
    .language_version:
      - 2
      - 0
    .max_flat_workgroup_size: 256
    .name:           _ZN2at6native27unrolled_elementwise_kernelINS0_11FillFunctorIN3c1014Float8_e8m0fnuEEESt5arrayIPcLm1EELi4E23TrivialOffsetCalculatorILi0EjES9_ILi1EjENS0_6memory15LoadWithoutCastENSC_16StoreWithoutCastEEEviT_T0_T2_T3_T4_T5_
    .private_segment_fixed_size: 0
    .sgpr_count:     11
    .sgpr_spill_count: 0
    .symbol:         _ZN2at6native27unrolled_elementwise_kernelINS0_11FillFunctorIN3c1014Float8_e8m0fnuEEESt5arrayIPcLm1EELi4E23TrivialOffsetCalculatorILi0EjES9_ILi1EjENS0_6memory15LoadWithoutCastENSC_16StoreWithoutCastEEEviT_T0_T2_T3_T4_T5_.kd
    .uniform_work_group_size: 1
    .uses_dynamic_stack: false
    .vgpr_count:     3
    .vgpr_spill_count: 0
    .wavefront_size: 64
  - .args:
      - .offset:         0
        .size:           4
        .value_kind:     by_value
      - .offset:         8
        .size:           280
        .value_kind:     by_value
    .group_segment_fixed_size: 0
    .kernarg_segment_align: 8
    .kernarg_segment_size: 288
    .language:       OpenCL C
    .language_version:
      - 2
      - 0
    .max_flat_workgroup_size: 128
    .name:           _ZN2at6native32elementwise_kernel_manual_unrollILi128ELi8EZNS0_22gpu_kernel_impl_nocastINS0_11FillFunctorIN3c1014Float8_e8m0fnuEEEEEvRNS_18TensorIteratorBaseERKT_EUlibE_EEviT1_
    .private_segment_fixed_size: 0
    .sgpr_count:     57
    .sgpr_spill_count: 0
    .symbol:         _ZN2at6native32elementwise_kernel_manual_unrollILi128ELi8EZNS0_22gpu_kernel_impl_nocastINS0_11FillFunctorIN3c1014Float8_e8m0fnuEEEEEvRNS_18TensorIteratorBaseERKT_EUlibE_EEviT1_.kd
    .uniform_work_group_size: 1
    .uses_dynamic_stack: false
    .vgpr_count:     16
    .vgpr_spill_count: 0
    .wavefront_size: 64
  - .args:
      - .offset:         0
        .size:           4
        .value_kind:     by_value
      - .offset:         8
        .size:           16
        .value_kind:     by_value
    .group_segment_fixed_size: 0
    .kernarg_segment_align: 8
    .kernarg_segment_size: 24
    .language:       OpenCL C
    .language_version:
      - 2
      - 0
    .max_flat_workgroup_size: 128
    .name:           _ZN2at6native32elementwise_kernel_manual_unrollILi128ELi4EZNS0_15gpu_kernel_implINS0_11FillFunctorIN3c1014Float8_e8m0fnuEEEEEvRNS_18TensorIteratorBaseERKT_EUlibE_EEviT1_
    .private_segment_fixed_size: 0
    .sgpr_count:     55
    .sgpr_spill_count: 0
    .symbol:         _ZN2at6native32elementwise_kernel_manual_unrollILi128ELi4EZNS0_15gpu_kernel_implINS0_11FillFunctorIN3c1014Float8_e8m0fnuEEEEEvRNS_18TensorIteratorBaseERKT_EUlibE_EEviT1_.kd
    .uniform_work_group_size: 1
    .uses_dynamic_stack: false
    .vgpr_count:     26
    .vgpr_spill_count: 0
    .wavefront_size: 64
  - .args:
      - .offset:         0
        .size:           4
        .value_kind:     by_value
      - .offset:         8
        .size:           280
        .value_kind:     by_value
    .group_segment_fixed_size: 0
    .kernarg_segment_align: 8
    .kernarg_segment_size: 288
    .language:       OpenCL C
    .language_version:
      - 2
      - 0
    .max_flat_workgroup_size: 128
    .name:           _ZN2at6native32elementwise_kernel_manual_unrollILi128ELi4EZNS0_15gpu_kernel_implINS0_11FillFunctorIN3c1014Float8_e8m0fnuEEEEEvRNS_18TensorIteratorBaseERKT_EUlibE0_EEviT1_
    .private_segment_fixed_size: 0
    .sgpr_count:     89
    .sgpr_spill_count: 0
    .symbol:         _ZN2at6native32elementwise_kernel_manual_unrollILi128ELi4EZNS0_15gpu_kernel_implINS0_11FillFunctorIN3c1014Float8_e8m0fnuEEEEEvRNS_18TensorIteratorBaseERKT_EUlibE0_EEviT1_.kd
    .uniform_work_group_size: 1
    .uses_dynamic_stack: false
    .vgpr_count:     30
    .vgpr_spill_count: 0
    .wavefront_size: 64
  - .args:
      - .offset:         0
        .size:           4
        .value_kind:     by_value
      - .offset:         4
        .size:           2
        .value_kind:     by_value
      - .address_space:  global
        .offset:         8
        .size:           8
        .value_kind:     global_buffer
    .group_segment_fixed_size: 0
    .kernarg_segment_align: 8
    .kernarg_segment_size: 16
    .language:       OpenCL C
    .language_version:
      - 2
      - 0
    .max_flat_workgroup_size: 256
    .name:           _ZN2at6native29vectorized_elementwise_kernelILi16ENS0_11FillFunctorItEESt5arrayIPcLm1EEEEviT0_T1_
    .private_segment_fixed_size: 0
    .sgpr_count:     16
    .sgpr_spill_count: 0
    .symbol:         _ZN2at6native29vectorized_elementwise_kernelILi16ENS0_11FillFunctorItEESt5arrayIPcLm1EEEEviT0_T1_.kd
    .uniform_work_group_size: 1
    .uses_dynamic_stack: false
    .vgpr_count:     9
    .vgpr_spill_count: 0
    .wavefront_size: 64
  - .args:
      - .offset:         0
        .size:           4
        .value_kind:     by_value
      - .offset:         4
        .size:           2
        .value_kind:     by_value
      - .address_space:  global
        .offset:         8
        .size:           8
        .value_kind:     global_buffer
    .group_segment_fixed_size: 0
    .kernarg_segment_align: 8
    .kernarg_segment_size: 16
    .language:       OpenCL C
    .language_version:
      - 2
      - 0
    .max_flat_workgroup_size: 256
    .name:           _ZN2at6native29vectorized_elementwise_kernelILi8ENS0_11FillFunctorItEESt5arrayIPcLm1EEEEviT0_T1_
    .private_segment_fixed_size: 0
    .sgpr_count:     16
    .sgpr_spill_count: 0
    .symbol:         _ZN2at6native29vectorized_elementwise_kernelILi8ENS0_11FillFunctorItEESt5arrayIPcLm1EEEEviT0_T1_.kd
    .uniform_work_group_size: 1
    .uses_dynamic_stack: false
    .vgpr_count:     9
    .vgpr_spill_count: 0
    .wavefront_size: 64
  - .args:
      - .offset:         0
        .size:           4
        .value_kind:     by_value
      - .offset:         4
        .size:           2
        .value_kind:     by_value
      - .address_space:  global
        .offset:         8
        .size:           8
        .value_kind:     global_buffer
    .group_segment_fixed_size: 0
    .kernarg_segment_align: 8
    .kernarg_segment_size: 16
    .language:       OpenCL C
    .language_version:
      - 2
      - 0
    .max_flat_workgroup_size: 256
    .name:           _ZN2at6native29vectorized_elementwise_kernelILi4ENS0_11FillFunctorItEESt5arrayIPcLm1EEEEviT0_T1_
    .private_segment_fixed_size: 0
    .sgpr_count:     16
    .sgpr_spill_count: 0
    .symbol:         _ZN2at6native29vectorized_elementwise_kernelILi4ENS0_11FillFunctorItEESt5arrayIPcLm1EEEEviT0_T1_.kd
    .uniform_work_group_size: 1
    .uses_dynamic_stack: false
    .vgpr_count:     9
    .vgpr_spill_count: 0
    .wavefront_size: 64
  - .args:
      - .offset:         0
        .size:           4
        .value_kind:     by_value
      - .offset:         4
        .size:           2
        .value_kind:     by_value
      - .address_space:  global
        .offset:         8
        .size:           8
        .value_kind:     global_buffer
    .group_segment_fixed_size: 0
    .kernarg_segment_align: 8
    .kernarg_segment_size: 16
    .language:       OpenCL C
    .language_version:
      - 2
      - 0
    .max_flat_workgroup_size: 256
    .name:           _ZN2at6native29vectorized_elementwise_kernelILi2ENS0_11FillFunctorItEESt5arrayIPcLm1EEEEviT0_T1_
    .private_segment_fixed_size: 0
    .sgpr_count:     16
    .sgpr_spill_count: 0
    .symbol:         _ZN2at6native29vectorized_elementwise_kernelILi2ENS0_11FillFunctorItEESt5arrayIPcLm1EEEEviT0_T1_.kd
    .uniform_work_group_size: 1
    .uses_dynamic_stack: false
    .vgpr_count:     9
    .vgpr_spill_count: 0
    .wavefront_size: 64
  - .args:
      - .offset:         0
        .size:           4
        .value_kind:     by_value
      - .offset:         4
        .size:           2
        .value_kind:     by_value
      - .address_space:  global
        .offset:         8
        .size:           8
        .value_kind:     global_buffer
      - .offset:         16
        .size:           1
        .value_kind:     by_value
      - .offset:         17
        .size:           1
        .value_kind:     by_value
      - .offset:         18
        .size:           1
        .value_kind:     by_value
      - .offset:         19
        .size:           1
        .value_kind:     by_value
    .group_segment_fixed_size: 0
    .kernarg_segment_align: 8
    .kernarg_segment_size: 20
    .language:       OpenCL C
    .language_version:
      - 2
      - 0
    .max_flat_workgroup_size: 256
    .name:           _ZN2at6native27unrolled_elementwise_kernelINS0_11FillFunctorItEESt5arrayIPcLm1EELi4E23TrivialOffsetCalculatorILi0EjES7_ILi1EjENS0_6memory15LoadWithoutCastENSA_16StoreWithoutCastEEEviT_T0_T2_T3_T4_T5_
    .private_segment_fixed_size: 0
    .sgpr_count:     16
    .sgpr_spill_count: 0
    .symbol:         _ZN2at6native27unrolled_elementwise_kernelINS0_11FillFunctorItEESt5arrayIPcLm1EELi4E23TrivialOffsetCalculatorILi0EjES7_ILi1EjENS0_6memory15LoadWithoutCastENSA_16StoreWithoutCastEEEviT_T0_T2_T3_T4_T5_.kd
    .uniform_work_group_size: 1
    .uses_dynamic_stack: false
    .vgpr_count:     6
    .vgpr_spill_count: 0
    .wavefront_size: 64
  - .args:
      - .offset:         0
        .size:           4
        .value_kind:     by_value
      - .offset:         8
        .size:           280
        .value_kind:     by_value
    .group_segment_fixed_size: 0
    .kernarg_segment_align: 8
    .kernarg_segment_size: 288
    .language:       OpenCL C
    .language_version:
      - 2
      - 0
    .max_flat_workgroup_size: 128
    .name:           _ZN2at6native32elementwise_kernel_manual_unrollILi128ELi8EZNS0_22gpu_kernel_impl_nocastINS0_11FillFunctorItEEEEvRNS_18TensorIteratorBaseERKT_EUlibE_EEviT1_
    .private_segment_fixed_size: 0
    .sgpr_count:     57
    .sgpr_spill_count: 0
    .symbol:         _ZN2at6native32elementwise_kernel_manual_unrollILi128ELi8EZNS0_22gpu_kernel_impl_nocastINS0_11FillFunctorItEEEEvRNS_18TensorIteratorBaseERKT_EUlibE_EEviT1_.kd
    .uniform_work_group_size: 1
    .uses_dynamic_stack: false
    .vgpr_count:     16
    .vgpr_spill_count: 0
    .wavefront_size: 64
  - .args:
      - .offset:         0
        .size:           4
        .value_kind:     by_value
      - .offset:         8
        .size:           16
        .value_kind:     by_value
    .group_segment_fixed_size: 0
    .kernarg_segment_align: 8
    .kernarg_segment_size: 24
    .language:       OpenCL C
    .language_version:
      - 2
      - 0
    .max_flat_workgroup_size: 128
    .name:           _ZN2at6native32elementwise_kernel_manual_unrollILi128ELi4EZNS0_15gpu_kernel_implINS0_11FillFunctorItEEEEvRNS_18TensorIteratorBaseERKT_EUlibE_EEviT1_
    .private_segment_fixed_size: 0
    .sgpr_count:     59
    .sgpr_spill_count: 0
    .symbol:         _ZN2at6native32elementwise_kernel_manual_unrollILi128ELi4EZNS0_15gpu_kernel_implINS0_11FillFunctorItEEEEvRNS_18TensorIteratorBaseERKT_EUlibE_EEviT1_.kd
    .uniform_work_group_size: 1
    .uses_dynamic_stack: false
    .vgpr_count:     23
    .vgpr_spill_count: 0
    .wavefront_size: 64
  - .args:
      - .offset:         0
        .size:           4
        .value_kind:     by_value
      - .offset:         8
        .size:           280
        .value_kind:     by_value
    .group_segment_fixed_size: 0
    .kernarg_segment_align: 8
    .kernarg_segment_size: 288
    .language:       OpenCL C
    .language_version:
      - 2
      - 0
    .max_flat_workgroup_size: 128
    .name:           _ZN2at6native32elementwise_kernel_manual_unrollILi128ELi4EZNS0_15gpu_kernel_implINS0_11FillFunctorItEEEEvRNS_18TensorIteratorBaseERKT_EUlibE0_EEviT1_
    .private_segment_fixed_size: 0
    .sgpr_count:     94
    .sgpr_spill_count: 0
    .symbol:         _ZN2at6native32elementwise_kernel_manual_unrollILi128ELi4EZNS0_15gpu_kernel_implINS0_11FillFunctorItEEEEvRNS_18TensorIteratorBaseERKT_EUlibE0_EEviT1_.kd
    .uniform_work_group_size: 1
    .uses_dynamic_stack: false
    .vgpr_count:     26
    .vgpr_spill_count: 0
    .wavefront_size: 64
  - .args:
      - .offset:         0
        .size:           4
        .value_kind:     by_value
      - .offset:         4
        .size:           4
        .value_kind:     by_value
      - .address_space:  global
        .offset:         8
        .size:           8
        .value_kind:     global_buffer
    .group_segment_fixed_size: 0
    .kernarg_segment_align: 8
    .kernarg_segment_size: 16
    .language:       OpenCL C
    .language_version:
      - 2
      - 0
    .max_flat_workgroup_size: 256
    .name:           _ZN2at6native29vectorized_elementwise_kernelILi16ENS0_11FillFunctorIjEESt5arrayIPcLm1EEEEviT0_T1_
    .private_segment_fixed_size: 0
    .sgpr_count:     13
    .sgpr_spill_count: 0
    .symbol:         _ZN2at6native29vectorized_elementwise_kernelILi16ENS0_11FillFunctorIjEESt5arrayIPcLm1EEEEviT0_T1_.kd
    .uniform_work_group_size: 1
    .uses_dynamic_stack: false
    .vgpr_count:     8
    .vgpr_spill_count: 0
    .wavefront_size: 64
  - .args:
      - .offset:         0
        .size:           4
        .value_kind:     by_value
      - .offset:         4
        .size:           4
        .value_kind:     by_value
      - .address_space:  global
        .offset:         8
        .size:           8
        .value_kind:     global_buffer
    .group_segment_fixed_size: 0
    .kernarg_segment_align: 8
    .kernarg_segment_size: 16
    .language:       OpenCL C
    .language_version:
      - 2
      - 0
    .max_flat_workgroup_size: 256
    .name:           _ZN2at6native29vectorized_elementwise_kernelILi8ENS0_11FillFunctorIjEESt5arrayIPcLm1EEEEviT0_T1_
    .private_segment_fixed_size: 0
    .sgpr_count:     13
    .sgpr_spill_count: 0
    .symbol:         _ZN2at6native29vectorized_elementwise_kernelILi8ENS0_11FillFunctorIjEESt5arrayIPcLm1EEEEviT0_T1_.kd
    .uniform_work_group_size: 1
    .uses_dynamic_stack: false
    .vgpr_count:     8
    .vgpr_spill_count: 0
    .wavefront_size: 64
  - .args:
      - .offset:         0
        .size:           4
        .value_kind:     by_value
      - .offset:         4
        .size:           4
        .value_kind:     by_value
      - .address_space:  global
        .offset:         8
        .size:           8
        .value_kind:     global_buffer
    .group_segment_fixed_size: 0
    .kernarg_segment_align: 8
    .kernarg_segment_size: 16
    .language:       OpenCL C
    .language_version:
      - 2
      - 0
    .max_flat_workgroup_size: 256
    .name:           _ZN2at6native29vectorized_elementwise_kernelILi4ENS0_11FillFunctorIjEESt5arrayIPcLm1EEEEviT0_T1_
    .private_segment_fixed_size: 0
    .sgpr_count:     13
    .sgpr_spill_count: 0
    .symbol:         _ZN2at6native29vectorized_elementwise_kernelILi4ENS0_11FillFunctorIjEESt5arrayIPcLm1EEEEviT0_T1_.kd
    .uniform_work_group_size: 1
    .uses_dynamic_stack: false
    .vgpr_count:     8
    .vgpr_spill_count: 0
    .wavefront_size: 64
  - .args:
      - .offset:         0
        .size:           4
        .value_kind:     by_value
      - .offset:         4
        .size:           4
        .value_kind:     by_value
      - .address_space:  global
        .offset:         8
        .size:           8
        .value_kind:     global_buffer
    .group_segment_fixed_size: 0
    .kernarg_segment_align: 8
    .kernarg_segment_size: 16
    .language:       OpenCL C
    .language_version:
      - 2
      - 0
    .max_flat_workgroup_size: 256
    .name:           _ZN2at6native29vectorized_elementwise_kernelILi2ENS0_11FillFunctorIjEESt5arrayIPcLm1EEEEviT0_T1_
    .private_segment_fixed_size: 0
    .sgpr_count:     13
    .sgpr_spill_count: 0
    .symbol:         _ZN2at6native29vectorized_elementwise_kernelILi2ENS0_11FillFunctorIjEESt5arrayIPcLm1EEEEviT0_T1_.kd
    .uniform_work_group_size: 1
    .uses_dynamic_stack: false
    .vgpr_count:     8
    .vgpr_spill_count: 0
    .wavefront_size: 64
  - .args:
      - .offset:         0
        .size:           4
        .value_kind:     by_value
      - .offset:         4
        .size:           4
        .value_kind:     by_value
      - .address_space:  global
        .offset:         8
        .size:           8
        .value_kind:     global_buffer
      - .offset:         16
        .size:           1
        .value_kind:     by_value
      - .offset:         17
        .size:           1
        .value_kind:     by_value
      - .offset:         18
        .size:           1
        .value_kind:     by_value
      - .offset:         19
        .size:           1
        .value_kind:     by_value
    .group_segment_fixed_size: 0
    .kernarg_segment_align: 8
    .kernarg_segment_size: 20
    .language:       OpenCL C
    .language_version:
      - 2
      - 0
    .max_flat_workgroup_size: 256
    .name:           _ZN2at6native27unrolled_elementwise_kernelINS0_11FillFunctorIjEESt5arrayIPcLm1EELi4E23TrivialOffsetCalculatorILi0EjES7_ILi1EjENS0_6memory15LoadWithoutCastENSA_16StoreWithoutCastEEEviT_T0_T2_T3_T4_T5_
    .private_segment_fixed_size: 0
    .sgpr_count:     11
    .sgpr_spill_count: 0
    .symbol:         _ZN2at6native27unrolled_elementwise_kernelINS0_11FillFunctorIjEESt5arrayIPcLm1EELi4E23TrivialOffsetCalculatorILi0EjES7_ILi1EjENS0_6memory15LoadWithoutCastENSA_16StoreWithoutCastEEEviT_T0_T2_T3_T4_T5_.kd
    .uniform_work_group_size: 1
    .uses_dynamic_stack: false
    .vgpr_count:     8
    .vgpr_spill_count: 0
    .wavefront_size: 64
  - .args:
      - .offset:         0
        .size:           4
        .value_kind:     by_value
      - .offset:         8
        .size:           280
        .value_kind:     by_value
    .group_segment_fixed_size: 0
    .kernarg_segment_align: 8
    .kernarg_segment_size: 288
    .language:       OpenCL C
    .language_version:
      - 2
      - 0
    .max_flat_workgroup_size: 128
    .name:           _ZN2at6native32elementwise_kernel_manual_unrollILi128ELi4EZNS0_22gpu_kernel_impl_nocastINS0_11FillFunctorIjEEEEvRNS_18TensorIteratorBaseERKT_EUlibE_EEviT1_
    .private_segment_fixed_size: 0
    .sgpr_count:     57
    .sgpr_spill_count: 0
    .symbol:         _ZN2at6native32elementwise_kernel_manual_unrollILi128ELi4EZNS0_22gpu_kernel_impl_nocastINS0_11FillFunctorIjEEEEvRNS_18TensorIteratorBaseERKT_EUlibE_EEviT1_.kd
    .uniform_work_group_size: 1
    .uses_dynamic_stack: false
    .vgpr_count:     12
    .vgpr_spill_count: 0
    .wavefront_size: 64
  - .args:
      - .offset:         0
        .size:           4
        .value_kind:     by_value
      - .offset:         8
        .size:           24
        .value_kind:     by_value
    .group_segment_fixed_size: 0
    .kernarg_segment_align: 8
    .kernarg_segment_size: 32
    .language:       OpenCL C
    .language_version:
      - 2
      - 0
    .max_flat_workgroup_size: 128
    .name:           _ZN2at6native32elementwise_kernel_manual_unrollILi128ELi4EZNS0_15gpu_kernel_implINS0_11FillFunctorIjEEEEvRNS_18TensorIteratorBaseERKT_EUlibE_EEviT1_
    .private_segment_fixed_size: 0
    .sgpr_count:     59
    .sgpr_spill_count: 0
    .symbol:         _ZN2at6native32elementwise_kernel_manual_unrollILi128ELi4EZNS0_15gpu_kernel_implINS0_11FillFunctorIjEEEEvRNS_18TensorIteratorBaseERKT_EUlibE_EEviT1_.kd
    .uniform_work_group_size: 1
    .uses_dynamic_stack: false
    .vgpr_count:     23
    .vgpr_spill_count: 0
    .wavefront_size: 64
  - .args:
      - .offset:         0
        .size:           4
        .value_kind:     by_value
      - .offset:         8
        .size:           280
        .value_kind:     by_value
    .group_segment_fixed_size: 0
    .kernarg_segment_align: 8
    .kernarg_segment_size: 288
    .language:       OpenCL C
    .language_version:
      - 2
      - 0
    .max_flat_workgroup_size: 128
    .name:           _ZN2at6native32elementwise_kernel_manual_unrollILi128ELi4EZNS0_15gpu_kernel_implINS0_11FillFunctorIjEEEEvRNS_18TensorIteratorBaseERKT_EUlibE0_EEviT1_
    .private_segment_fixed_size: 0
    .sgpr_count:     92
    .sgpr_spill_count: 0
    .symbol:         _ZN2at6native32elementwise_kernel_manual_unrollILi128ELi4EZNS0_15gpu_kernel_implINS0_11FillFunctorIjEEEEvRNS_18TensorIteratorBaseERKT_EUlibE0_EEviT1_.kd
    .uniform_work_group_size: 1
    .uses_dynamic_stack: false
    .vgpr_count:     26
    .vgpr_spill_count: 0
    .wavefront_size: 64
  - .args:
      - .offset:         0
        .size:           4
        .value_kind:     by_value
      - .offset:         8
        .size:           8
        .value_kind:     by_value
      - .address_space:  global
        .offset:         16
        .size:           8
        .value_kind:     global_buffer
    .group_segment_fixed_size: 0
    .kernarg_segment_align: 8
    .kernarg_segment_size: 24
    .language:       OpenCL C
    .language_version:
      - 2
      - 0
    .max_flat_workgroup_size: 256
    .name:           _ZN2at6native29vectorized_elementwise_kernelILi16ENS0_11FillFunctorImEESt5arrayIPcLm1EEEEviT0_T1_
    .private_segment_fixed_size: 0
    .sgpr_count:     20
    .sgpr_spill_count: 0
    .symbol:         _ZN2at6native29vectorized_elementwise_kernelILi16ENS0_11FillFunctorImEESt5arrayIPcLm1EEEEviT0_T1_.kd
    .uniform_work_group_size: 1
    .uses_dynamic_stack: false
    .vgpr_count:     12
    .vgpr_spill_count: 0
    .wavefront_size: 64
  - .args:
      - .offset:         0
        .size:           4
        .value_kind:     by_value
      - .offset:         8
        .size:           8
        .value_kind:     by_value
      - .address_space:  global
        .offset:         16
        .size:           8
        .value_kind:     global_buffer
    .group_segment_fixed_size: 0
    .kernarg_segment_align: 8
    .kernarg_segment_size: 24
    .language:       OpenCL C
    .language_version:
      - 2
      - 0
    .max_flat_workgroup_size: 256
    .name:           _ZN2at6native29vectorized_elementwise_kernelILi8ENS0_11FillFunctorImEESt5arrayIPcLm1EEEEviT0_T1_
    .private_segment_fixed_size: 0
    .sgpr_count:     20
    .sgpr_spill_count: 0
    .symbol:         _ZN2at6native29vectorized_elementwise_kernelILi8ENS0_11FillFunctorImEESt5arrayIPcLm1EEEEviT0_T1_.kd
    .uniform_work_group_size: 1
    .uses_dynamic_stack: false
    .vgpr_count:     12
    .vgpr_spill_count: 0
    .wavefront_size: 64
  - .args:
      - .offset:         0
        .size:           4
        .value_kind:     by_value
      - .offset:         8
        .size:           8
        .value_kind:     by_value
      - .address_space:  global
        .offset:         16
        .size:           8
        .value_kind:     global_buffer
    .group_segment_fixed_size: 0
    .kernarg_segment_align: 8
    .kernarg_segment_size: 24
    .language:       OpenCL C
    .language_version:
      - 2
      - 0
    .max_flat_workgroup_size: 256
    .name:           _ZN2at6native29vectorized_elementwise_kernelILi4ENS0_11FillFunctorImEESt5arrayIPcLm1EEEEviT0_T1_
    .private_segment_fixed_size: 0
    .sgpr_count:     20
    .sgpr_spill_count: 0
    .symbol:         _ZN2at6native29vectorized_elementwise_kernelILi4ENS0_11FillFunctorImEESt5arrayIPcLm1EEEEviT0_T1_.kd
    .uniform_work_group_size: 1
    .uses_dynamic_stack: false
    .vgpr_count:     12
    .vgpr_spill_count: 0
    .wavefront_size: 64
  - .args:
      - .offset:         0
        .size:           4
        .value_kind:     by_value
      - .offset:         8
        .size:           8
        .value_kind:     by_value
      - .address_space:  global
        .offset:         16
        .size:           8
        .value_kind:     global_buffer
    .group_segment_fixed_size: 0
    .kernarg_segment_align: 8
    .kernarg_segment_size: 24
    .language:       OpenCL C
    .language_version:
      - 2
      - 0
    .max_flat_workgroup_size: 256
    .name:           _ZN2at6native29vectorized_elementwise_kernelILi2ENS0_11FillFunctorImEESt5arrayIPcLm1EEEEviT0_T1_
    .private_segment_fixed_size: 0
    .sgpr_count:     20
    .sgpr_spill_count: 0
    .symbol:         _ZN2at6native29vectorized_elementwise_kernelILi2ENS0_11FillFunctorImEESt5arrayIPcLm1EEEEviT0_T1_.kd
    .uniform_work_group_size: 1
    .uses_dynamic_stack: false
    .vgpr_count:     12
    .vgpr_spill_count: 0
    .wavefront_size: 64
  - .args:
      - .offset:         0
        .size:           4
        .value_kind:     by_value
      - .offset:         8
        .size:           8
        .value_kind:     by_value
      - .address_space:  global
        .offset:         16
        .size:           8
        .value_kind:     global_buffer
      - .offset:         24
        .size:           1
        .value_kind:     by_value
      - .offset:         25
        .size:           1
        .value_kind:     by_value
      - .offset:         26
        .size:           1
        .value_kind:     by_value
      - .offset:         27
        .size:           1
        .value_kind:     by_value
    .group_segment_fixed_size: 0
    .kernarg_segment_align: 8
    .kernarg_segment_size: 28
    .language:       OpenCL C
    .language_version:
      - 2
      - 0
    .max_flat_workgroup_size: 256
    .name:           _ZN2at6native27unrolled_elementwise_kernelINS0_11FillFunctorImEESt5arrayIPcLm1EELi4E23TrivialOffsetCalculatorILi0EjES7_ILi1EjENS0_6memory15LoadWithoutCastENSA_16StoreWithoutCastEEEviT_T0_T2_T3_T4_T5_
    .private_segment_fixed_size: 0
    .sgpr_count:     12
    .sgpr_spill_count: 0
    .symbol:         _ZN2at6native27unrolled_elementwise_kernelINS0_11FillFunctorImEESt5arrayIPcLm1EELi4E23TrivialOffsetCalculatorILi0EjES7_ILi1EjENS0_6memory15LoadWithoutCastENSA_16StoreWithoutCastEEEviT_T0_T2_T3_T4_T5_.kd
    .uniform_work_group_size: 1
    .uses_dynamic_stack: false
    .vgpr_count:     12
    .vgpr_spill_count: 0
    .wavefront_size: 64
  - .args:
      - .offset:         0
        .size:           4
        .value_kind:     by_value
      - .offset:         8
        .size:           280
        .value_kind:     by_value
    .group_segment_fixed_size: 0
    .kernarg_segment_align: 8
    .kernarg_segment_size: 288
    .language:       OpenCL C
    .language_version:
      - 2
      - 0
    .max_flat_workgroup_size: 128
    .name:           _ZN2at6native32elementwise_kernel_manual_unrollILi128ELi4EZNS0_22gpu_kernel_impl_nocastINS0_11FillFunctorImEEEEvRNS_18TensorIteratorBaseERKT_EUlibE_EEviT1_
    .private_segment_fixed_size: 0
    .sgpr_count:     58
    .sgpr_spill_count: 0
    .symbol:         _ZN2at6native32elementwise_kernel_manual_unrollILi128ELi4EZNS0_22gpu_kernel_impl_nocastINS0_11FillFunctorImEEEEvRNS_18TensorIteratorBaseERKT_EUlibE_EEviT1_.kd
    .uniform_work_group_size: 1
    .uses_dynamic_stack: false
    .vgpr_count:     12
    .vgpr_spill_count: 0
    .wavefront_size: 64
  - .args:
      - .offset:         0
        .size:           4
        .value_kind:     by_value
      - .offset:         8
        .size:           32
        .value_kind:     by_value
    .group_segment_fixed_size: 0
    .kernarg_segment_align: 8
    .kernarg_segment_size: 40
    .language:       OpenCL C
    .language_version:
      - 2
      - 0
    .max_flat_workgroup_size: 128
    .name:           _ZN2at6native32elementwise_kernel_manual_unrollILi128ELi4EZNS0_15gpu_kernel_implINS0_11FillFunctorImEEEEvRNS_18TensorIteratorBaseERKT_EUlibE_EEviT1_
    .private_segment_fixed_size: 0
    .sgpr_count:     58
    .sgpr_spill_count: 0
    .symbol:         _ZN2at6native32elementwise_kernel_manual_unrollILi128ELi4EZNS0_15gpu_kernel_implINS0_11FillFunctorImEEEEvRNS_18TensorIteratorBaseERKT_EUlibE_EEviT1_.kd
    .uniform_work_group_size: 1
    .uses_dynamic_stack: false
    .vgpr_count:     23
    .vgpr_spill_count: 0
    .wavefront_size: 64
  - .args:
      - .offset:         0
        .size:           4
        .value_kind:     by_value
      - .offset:         8
        .size:           288
        .value_kind:     by_value
    .group_segment_fixed_size: 0
    .kernarg_segment_align: 8
    .kernarg_segment_size: 296
    .language:       OpenCL C
    .language_version:
      - 2
      - 0
    .max_flat_workgroup_size: 128
    .name:           _ZN2at6native32elementwise_kernel_manual_unrollILi128ELi4EZNS0_15gpu_kernel_implINS0_11FillFunctorImEEEEvRNS_18TensorIteratorBaseERKT_EUlibE0_EEviT1_
    .private_segment_fixed_size: 0
    .sgpr_count:     91
    .sgpr_spill_count: 0
    .symbol:         _ZN2at6native32elementwise_kernel_manual_unrollILi128ELi4EZNS0_15gpu_kernel_implINS0_11FillFunctorImEEEEvRNS_18TensorIteratorBaseERKT_EUlibE0_EEviT1_.kd
    .uniform_work_group_size: 1
    .uses_dynamic_stack: false
    .vgpr_count:     26
    .vgpr_spill_count: 0
    .wavefront_size: 64
amdhsa.target:   amdgcn-amd-amdhsa--gfx906
amdhsa.version:
  - 1
  - 2
...

	.end_amdgpu_metadata
